;; amdgpu-corpus repo=ggml-org/llama.cpp kind=compiled arch=gfx906 opt=O3
	.amdgcn_target "amdgcn-amd-amdhsa--gfx906"
	.amdhsa_code_object_version 6
	.section	.text._ZL15flash_attn_tileILi64ELi64ELi8ELi8ELb0EEvPKcS1_S1_S1_S1_PKiPfP15HIP_vector_typeIfLj2EEffffjfiS5_IjLj3EEiiiiiiiiiiiliiliiiiil,"axG",@progbits,_ZL15flash_attn_tileILi64ELi64ELi8ELi8ELb0EEvPKcS1_S1_S1_S1_PKiPfP15HIP_vector_typeIfLj2EEffffjfiS5_IjLj3EEiiiiiiiiiiiliiliiiiil,comdat
	.globl	_ZL15flash_attn_tileILi64ELi64ELi8ELi8ELb0EEvPKcS1_S1_S1_S1_PKiPfP15HIP_vector_typeIfLj2EEffffjfiS5_IjLj3EEiiiiiiiiiiiliiliiiiil ; -- Begin function _ZL15flash_attn_tileILi64ELi64ELi8ELi8ELb0EEvPKcS1_S1_S1_S1_PKiPfP15HIP_vector_typeIfLj2EEffffjfiS5_IjLj3EEiiiiiiiiiiiliiliiiiil
	.p2align	8
	.type	_ZL15flash_attn_tileILi64ELi64ELi8ELi8ELb0EEvPKcS1_S1_S1_S1_PKiPfP15HIP_vector_typeIfLj2EEffffjfiS5_IjLj3EEiiiiiiiiiiiliiliiiiil,@function
_ZL15flash_attn_tileILi64ELi64ELi8ELi8ELb0EEvPKcS1_S1_S1_S1_PKiPfP15HIP_vector_typeIfLj2EEffffjfiS5_IjLj3EEiiiiiiiiiiiliiliiiiil: ; @_ZL15flash_attn_tileILi64ELi64ELi8ELi8ELb0EEvPKcS1_S1_S1_S1_PKiPfP15HIP_vector_typeIfLj2EEffffjfiS5_IjLj3EEiiiiiiiiiiiliiliiiiil
; %bb.0:
	s_mov_b64 s[42:43], s[2:3]
	s_mov_b64 s[40:41], s[0:1]
	s_load_dwordx4 s[0:3], s[4:5], 0x5c
	s_load_dwordx2 s[30:31], s[4:5], 0x80
	s_add_u32 s40, s40, s9
	s_addc_u32 s41, s41, 0
	v_mov_b32_e32 v47, v0
	s_waitcnt lgkmcnt(0)
	s_ashr_i32 s9, s3, 31
	s_lshr_b32 s9, s9, 29
	s_add_i32 s9, s3, s9
	s_ashr_i32 s9, s9, 3
	v_cvt_f32_u32_e32 v0, s9
	s_sub_i32 s10, 0, s9
	s_load_dwordx2 s[36:37], s[4:5], 0xb8
	s_mov_b64 s[34:35], 0
	v_rcp_iflag_f32_e32 v0, v0
	v_mul_f32_e32 v0, 0x4f7ffffe, v0
	v_cvt_u32_f32_e32 v0, v0
	v_readfirstlane_b32 s11, v0
	s_mul_i32 s10, s10, s11
	s_mul_hi_u32 s10, s11, s10
	s_add_i32 s11, s11, s10
	s_mul_hi_u32 s10, s8, s11
	s_mul_i32 s11, s10, s9
	s_sub_i32 s11, s8, s11
	s_add_i32 s12, s10, 1
	s_sub_i32 s13, s11, s9
	s_cmp_ge_u32 s11, s9
	s_cselect_b32 s10, s12, s10
	s_cselect_b32 s11, s13, s11
	s_add_i32 s12, s10, 1
	s_cmp_ge_u32 s11, s9
	s_cselect_b32 s33, s12, s10
	s_abs_i32 s9, s31
	v_cvt_f32_u32_e32 v0, s9
	s_lshl_b32 s8, s8, 3
	s_mul_i32 s12, s33, s3
	s_sub_i32 s13, 0, s9
	v_rcp_iflag_f32_e32 v0, v0
	s_sub_i32 s28, s8, s12
	s_abs_i32 s11, s3
	s_xor_b32 s10, s3, s31
	v_mul_f32_e32 v0, 0x4f7ffffe, v0
	v_cvt_u32_f32_e32 v0, v0
	s_ashr_i32 s10, s10, 31
	v_readfirstlane_b32 s8, v0
	s_mul_i32 s13, s13, s8
	s_mul_hi_u32 s12, s8, s13
	s_add_i32 s8, s8, s12
	s_mul_hi_u32 s8, s11, s8
	s_mul_i32 s12, s8, s9
	s_sub_i32 s11, s11, s12
	s_add_i32 s13, s8, 1
	s_sub_i32 s12, s11, s9
	s_cmp_ge_u32 s11, s9
	s_cselect_b32 s8, s13, s8
	s_cselect_b32 s11, s12, s11
	s_add_i32 s12, s8, 1
	s_cmp_ge_u32 s11, s9
	s_cselect_b32 s8, s12, s8
	s_xor_b32 s8, s8, s10
	s_sub_i32 s31, s8, s10
	s_abs_i32 s29, s31
	v_cvt_f32_u32_e32 v0, s29
	s_load_dwordx16 s[8:23], s[4:5], 0x0
	v_rcp_iflag_f32_e32 v0, v0
	s_waitcnt lgkmcnt(0)
	s_cmp_eq_u64 s[14:15], 0
	v_mul_f32_e32 v0, 0x4f7ffffe, v0
	v_cvt_u32_f32_e32 v0, v0
	v_readfirstlane_b32 s38, v0
	s_cbranch_scc1 .LBB0_2
; %bb.1:
	s_abs_i32 s26, s36
	v_cvt_f32_u32_e32 v0, s26
	s_sub_i32 s35, 0, s26
	s_abs_i32 s34, s33
	s_ashr_i32 s27, s33, 31
	v_rcp_iflag_f32_e32 v0, v0
	s_load_dwordx2 s[24:25], s[4:5], 0xc8
	v_mul_f32_e32 v0, 0x4f7ffffe, v0
	v_cvt_u32_f32_e32 v0, v0
	v_readfirstlane_b32 s36, v0
	s_mul_i32 s35, s35, s36
	s_mul_hi_u32 s35, s36, s35
	s_add_i32 s36, s36, s35
	s_mul_hi_u32 s35, s34, s36
	s_mul_i32 s35, s35, s26
	s_sub_i32 s34, s34, s35
	s_sub_i32 s35, s34, s26
	s_cmp_ge_u32 s34, s26
	s_cselect_b32 s34, s35, s34
	s_sub_i32 s35, s34, s26
	s_cmp_ge_u32 s34, s26
	s_cselect_b32 s26, s35, s34
	s_xor_b32 s26, s26, s27
	s_sub_i32 s26, s26, s27
	s_ashr_i32 s27, s26, 31
	s_waitcnt lgkmcnt(0)
	s_mul_hi_u32 s34, s24, s26
	s_mul_i32 s27, s24, s27
	s_mul_i32 s25, s25, s26
	s_add_i32 s27, s34, s27
	s_add_i32 s27, s27, s25
	s_mul_i32 s24, s24, s26
	s_add_u32 s34, s14, s24
	s_addc_u32 s35, s15, s27
.LBB0_2:
	s_load_dwordx4 s[24:27], s[4:5], 0x70
	v_lshl_add_u32 v48, s6, 3, v1
	v_mul_hi_u32 v0, s0, v48
	s_waitcnt lgkmcnt(0)
	s_mul_i32 s0, s33, s26
	v_add_u32_e32 v0, v48, v0
	s_ashr_i32 s15, s0, 31
	v_lshrrev_b32_e32 v0, s1, v0
	s_mul_i32 s14, s28, s25
	s_add_u32 s0, s8, s0
	v_mul_lo_u32 v0, v0, s2
	s_addc_u32 s8, s9, s15
	s_ashr_i32 s1, s14, 31
	s_add_u32 s14, s0, s14
	s_addc_u32 s15, s8, s1
	s_ashr_i32 s1, s24, 31
	s_mov_b32 s0, s24
	v_sub_u32_e32 v2, v48, v0
	s_lshr_b64 s[8:9], s[0:1], 2
	v_mad_u64_u32 v[3:4], s[8:9], s8, v2, 0
	s_lshr_b32 s0, s1, 2
	s_ashr_i32 s9, s25, 31
	v_mov_b32_e32 v0, v4
	v_mad_u64_u32 v[4:5], s[0:1], s0, v2, v[0:1]
	v_mov_b32_e32 v0, s15
	s_mov_b32 s8, s25
	v_lshlrev_b64 v[3:4], 2, v[3:4]
	s_lshr_b64 s[0:1], s[8:9], 2
	v_add_co_u32_e32 v3, vcc, s14, v3
	v_addc_co_u32_e32 v0, vcc, v0, v4, vcc
	v_lshlrev_b32_e32 v4, 3, v47
	v_add_co_u32_e32 v3, vcc, v3, v4
	v_addc_co_u32_e32 v4, vcc, 0, v0, vcc
	s_and_b32 s8, s25, -4
	v_mov_b32_e32 v0, s9
	v_add_co_u32_e32 v5, vcc, s8, v3
	v_addc_co_u32_e32 v6, vcc, v4, v0, vcc
	global_load_dwordx2 v[7:8], v[3:4], off
	global_load_dwordx2 v[9:10], v[5:6], off
	v_mad_u64_u32 v[5:6], s[24:25], s0, 12, v[3:4]
	s_lshl_b64 s[14:15], s[0:1], 3
	v_mov_b32_e32 v0, s15
	v_add_co_u32_e32 v11, vcc, s14, v3
	v_addc_co_u32_e32 v12, vcc, v4, v0, vcc
	v_mov_b32_e32 v0, v6
	s_lshr_b32 s24, s9, 2
	v_mad_u64_u32 v[13:14], s[14:15], s24, 12, v[0:1]
	v_mad_u64_u32 v[14:15], s[14:15], s0, 20, v[3:4]
	s_andn2_b32 s9, s9, -2.0
	s_lshl_b64 s[8:9], s[8:9], 2
	v_mov_b32_e32 v0, s9
	v_add_co_u32_e32 v16, vcc, s8, v3
	v_addc_co_u32_e32 v17, vcc, v4, v0, vcc
	v_mov_b32_e32 v0, v15
	global_load_dwordx2 v[18:19], v[11:12], off
	global_load_dwordx2 v[20:21], v[16:17], off
	v_mad_u64_u32 v[11:12], s[8:9], s24, 20, v[0:1]
	v_mov_b32_e32 v6, v13
	v_mad_u64_u32 v[12:13], s[8:9], s0, 24, v[3:4]
	v_mad_u64_u32 v[3:4], s[0:1], s0, 28, v[3:4]
	v_mov_b32_e32 v0, v13
	v_mov_b32_e32 v15, v11
	global_load_dwordx2 v[16:17], v[5:6], off
	global_load_dwordx2 v[22:23], v[14:15], off
	v_mad_u64_u32 v[5:6], s[8:9], s24, 24, v[0:1]
	v_mov_b32_e32 v0, v4
	s_cmp_eq_u64 s[18:19], 0
	v_mov_b32_e32 v13, v5
	v_mad_u64_u32 v[4:5], s[0:1], s24, 28, v[0:1]
	global_load_dwordx2 v[5:6], v[12:13], off
	s_nop 0
	global_load_dwordx2 v[11:12], v[3:4], off
	s_load_dword s0, s[4:5], 0x40
	v_lshlrev_b32_e32 v3, 10, v1
	v_add_u32_e32 v51, 0x4400, v3
	v_lshl_or_b32 v0, v47, 2, v51
	s_waitcnt vmcnt(7) lgkmcnt(0)
	v_fma_mixlo_f16 v4, s0, v7, 0
	v_fma_mixlo_f16 v7, s0, v8, 0
	v_lshlrev_b32_e32 v7, 16, v7
	s_waitcnt vmcnt(6)
	v_fma_mixlo_f16 v8, s0, v9, 0
	v_fma_mixlo_f16 v9, s0, v10, 0
	v_or_b32_sdwa v4, v7, v4 dst_sel:DWORD dst_unused:UNUSED_PAD src0_sel:DWORD src1_sel:WORD_0
	v_lshlrev_b32_e32 v7, 16, v9
	v_or_b32_sdwa v7, v7, v8 dst_sel:DWORD dst_unused:UNUSED_PAD src0_sel:DWORD src1_sel:WORD_0
	ds_write2_b32 v0, v4, v7 offset1:32
	s_waitcnt vmcnt(5)
	v_fma_mixlo_f16 v13, s0, v19, 0
	s_waitcnt vmcnt(4)
	v_fma_mixlo_f16 v15, s0, v21, 0
	v_fma_mixlo_f16 v10, s0, v18, 0
	v_fma_mixlo_f16 v14, s0, v20, 0
	v_lshlrev_b32_e32 v9, 16, v13
	v_lshlrev_b32_e32 v13, 16, v15
	v_or_b32_sdwa v8, v9, v10 dst_sel:DWORD dst_unused:UNUSED_PAD src0_sel:DWORD src1_sel:WORD_0
	v_or_b32_sdwa v9, v13, v14 dst_sel:DWORD dst_unused:UNUSED_PAD src0_sel:DWORD src1_sel:WORD_0
	s_waitcnt vmcnt(3)
	v_fma_mixlo_f16 v7, s0, v17, 0
	v_fma_mixlo_f16 v4, s0, v16, 0
	s_waitcnt vmcnt(2)
	v_fma_mixlo_f16 v13, s0, v23, 0
	v_lshlrev_b32_e32 v7, 16, v7
	v_fma_mixlo_f16 v10, s0, v22, 0
	v_lshlrev_b32_e32 v13, 16, v13
	v_or_b32_sdwa v4, v7, v4 dst_sel:DWORD dst_unused:UNUSED_PAD src0_sel:DWORD src1_sel:WORD_0
	ds_write2_b32 v0, v8, v4 offset0:64 offset1:96
	v_or_b32_sdwa v4, v13, v10 dst_sel:DWORD dst_unused:UNUSED_PAD src0_sel:DWORD src1_sel:WORD_0
	ds_write2_b32 v0, v9, v4 offset0:128 offset1:160
	s_waitcnt vmcnt(1)
	v_fma_mixlo_f16 v4, s0, v5, 0
	v_fma_mixlo_f16 v5, s0, v6, 0
	v_lshlrev_b32_e32 v5, 16, v5
	s_waitcnt vmcnt(0)
	v_fma_mixlo_f16 v6, s0, v12, 0
	v_or_b32_sdwa v4, v5, v4 dst_sel:DWORD dst_unused:UNUSED_PAD src0_sel:DWORD src1_sel:WORD_0
	v_fma_mixlo_f16 v5, s0, v11, 0
	v_lshlrev_b32_e32 v6, 16, v6
	v_or_b32_sdwa v5, v6, v5 dst_sel:DWORD dst_unused:UNUSED_PAD src0_sel:DWORD src1_sel:WORD_0
	ds_write2_b32 v0, v4, v5 offset0:192 offset1:224
	s_waitcnt lgkmcnt(0)
	s_barrier
	s_cbranch_scc1 .LBB0_4
; %bb.3:
	s_load_dword s0, s[4:5], 0xd0
	s_mov_b32 s1, 0
	s_waitcnt lgkmcnt(0)
	s_mul_i32 s0, s0, s33
	s_add_i32 s0, s0, s6
	s_lshl_b64 s[0:1], s[0:1], 2
	s_add_u32 s0, s18, s0
	s_addc_u32 s1, s19, s1
	s_load_dword s30, s[0:1], 0x0
.LBB0_4:
	s_lshl_b32 s6, s7, 6
	s_waitcnt lgkmcnt(0)
	s_cmp_lt_i32 s6, s30
	v_mbcnt_lo_u32_b32 v4, -1, 0
	s_cbranch_scc1 .LBB0_7
; %bb.5:
	v_mbcnt_hi_u32_b32 v53, -1, v4
	v_and_b32_e32 v0, 0x60, v53
	v_add_u32_e32 v54, 32, v0
	v_xor_b32_e32 v58, 16, v53
	v_xor_b32_e32 v59, 8, v53
	;; [unrolled: 1-line block ×5, first 2 shown]
	s_cbranch_execz .LBB0_8
; %bb.6:
	v_mov_b32_e32 v85, 0
	v_mov_b32_e32 v52, 0
	;; [unrolled: 1-line block ×24, first 2 shown]
	s_branch .LBB0_11
.LBB0_7:
                                        ; implicit-def: $vgpr53
                                        ; implicit-def: $vgpr54
                                        ; implicit-def: $vgpr58
                                        ; implicit-def: $vgpr59
                                        ; implicit-def: $vgpr56
                                        ; implicit-def: $vgpr57
                                        ; implicit-def: $vgpr55
.LBB0_8:
	s_sub_i32 s0, 0, s29
	s_mul_i32 s0, s0, s38
	buffer_store_dword v48, off, s[40:43], 0 offset:36 ; 4-byte Folded Spill
	s_mul_hi_u32 s0, s38, s0
	s_add_i32 s38, s38, s0
	s_load_dwordx2 s[0:1], s[4:5], 0x8c
	s_load_dwordx4 s[24:27], s[4:5], 0x98
	s_abs_i32 s18, s28
	s_mul_hi_u32 s19, s18, s38
	s_ashr_i32 s36, s28, 31
	s_waitcnt lgkmcnt(0)
	s_ashr_i32 s9, s0, 2
	s_ashr_i32 s0, s33, 31
	;; [unrolled: 1-line block ×4, first 2 shown]
	s_mul_hi_u32 s37, s24, s33
	s_mul_i32 s38, s24, s0
	s_add_i32 s37, s37, s38
	s_mul_i32 s25, s25, s33
	s_ashr_i32 s31, s31, 31
	s_add_i32 s37, s37, s25
	s_mul_i32 s24, s24, s33
	s_add_u32 s10, s10, s24
	s_mul_i32 s25, s19, s29
	s_addc_u32 s11, s11, s37
	s_sub_i32 s18, s18, s25
	s_xor_b32 s24, s36, s31
	s_add_i32 s25, s19, 1
	s_sub_i32 s31, s18, s29
	s_cmp_ge_u32 s18, s29
	s_cselect_b32 s19, s25, s19
	s_cselect_b32 s18, s31, s18
	s_add_i32 s25, s19, 1
	s_cmp_ge_u32 s18, s29
	s_load_dwordx2 s[14:15], s[4:5], 0xa8
	s_cselect_b32 s18, s25, s19
	s_xor_b32 s18, s18, s24
	s_sub_i32 s18, s18, s24
	s_mul_i32 s1, s18, s1
	s_ashr_i32 s19, s1, 31
	s_add_u32 s10, s10, s1
	s_waitcnt lgkmcnt(0)
	s_mul_hi_u32 s1, s14, s33
	s_mul_i32 s0, s14, s0
	s_addc_u32 s11, s11, s19
	s_add_i32 s0, s1, s0
	s_mul_i32 s1, s15, s33
	s_add_i32 s0, s0, s1
	s_mul_i32 s1, s14, s33
	s_add_u32 s1, s12, s1
	s_mul_i32 s18, s18, s27
	s_addc_u32 s0, s13, s0
	s_ashr_i32 s13, s18, 31
	v_lshlrev_b32_e32 v60, 2, v47
	s_add_u32 s12, s1, s18
	v_lshrrev_b32_e32 v0, 3, v47
	v_and_b32_e32 v11, 28, v60
	s_addc_u32 s13, s0, s13
	v_lshl_add_u32 v0, v1, 2, v0
	v_lshlrev_b32_e32 v1, 2, v11
	s_movk_i32 s0, 0x90
	v_mad_u32_u24 v7, v0, s0, v1
	v_mad_u64_u32 v[9:10], s[0:1], v2, s26, v[47:48]
	buffer_store_dword v7, off, s[40:43], 0 ; 4-byte Folded Spill
	v_add_u32_e32 v7, 0x1200, v7
	v_add_u32_e32 v64, 0x2400, v3
	v_mov_b32_e32 v3, v47
	buffer_store_dword v7, off, s[40:43], 0 offset:4 ; 4-byte Folded Spill
	buffer_store_dword v9, off, s[40:43], 0 offset:8 ; 4-byte Folded Spill
	s_nop 0
	buffer_store_dword v10, off, s[40:43], 0 offset:12 ; 4-byte Folded Spill
	buffer_store_dword v3, off, s[40:43], 0 offset:28 ; 4-byte Folded Spill
	s_nop 0
	buffer_store_dword v4, off, s[40:43], 0 offset:32 ; 4-byte Folded Spill
	v_mul_lo_u32 v5, s9, v0
	v_mul_lo_u32 v2, s8, v0
	v_lshl_or_b32 v0, v0, 7, v1
	buffer_store_dword v0, off, s[40:43], 0 offset:16 ; 4-byte Folded Spill
	v_lshl_add_u32 v7, s9, 5, v5
	v_add_u32_e32 v0, 0x1000, v0
	v_lshl_add_u32 v9, s8, 5, v2
	v_ashrrev_i32_e32 v6, 31, v5
	v_ashrrev_i32_e32 v8, 31, v7
	;; [unrolled: 1-line block ×3, first 2 shown]
	buffer_store_dword v0, off, s[40:43], 0 offset:20 ; 4-byte Folded Spill
	v_ashrrev_i32_e32 v10, 31, v9
	v_lshlrev_b32_e32 v12, 4, v47
	s_add_u32 s0, s4, 0xd0
	v_lshlrev_b64 v[65:66], 2, v[5:6]
	v_lshlrev_b64 v[125:126], 2, v[7:8]
	;; [unrolled: 1-line block ×4, first 2 shown]
	v_mov_b32_e32 v78, 0
	v_mul_u32_u24_e32 v63, 0x90, v47
	s_addc_u32 s1, s5, 0
	v_mov_b32_e32 v1, 0xfeffffff
	v_lshlrev_b32_e32 v67, 2, v11
	s_mov_b32 s14, 0x3fb8aa3b
	s_mov_b32 s15, 0xc2ce8ed0
	;; [unrolled: 1-line block ×3, first 2 shown]
	v_mov_b32_e32 v69, 0x7f800000
	s_mov_b32 s19, 0x10001
	v_add_u32_e32 v70, v64, v12
	v_add_u32_e32 v50, 0xc00, v60
	;; [unrolled: 1-line block ×5, first 2 shown]
	v_mov_b32_e32 v79, 0
	v_mov_b32_e32 v80, 0
	v_mov_b32_e32 v81, 0
	v_mov_b32_e32 v82, 0
	v_mov_b32_e32 v83, 0
	v_mov_b32_e32 v84, 0
	v_mov_b32_e32 v85, 0
	v_mov_b32_e32 v2, 0xfeffffff
	v_mov_b32_e32 v3, 0xfeffffff
	v_mov_b32_e32 v5, 0xfeffffff
	v_mov_b32_e32 v6, 0xfeffffff
	v_mov_b32_e32 v7, 0xfeffffff
	v_mov_b32_e32 v8, 0xfeffffff
	v_mov_b32_e32 v13, 0
	v_mov_b32_e32 v14, 0
	v_mov_b32_e32 v15, 0
	v_mov_b32_e32 v16, 0
	v_mov_b32_e32 v17, 0
	v_mov_b32_e32 v18, 0
	v_mov_b32_e32 v19, 0
	v_mov_b32_e32 v52, 0
	v_mbcnt_hi_u32_b32 v53, -1, v4
	v_and_b32_e32 v0, 0x60, v53
	v_add_u32_e32 v54, 32, v0
	v_mov_b32_e32 v0, s35
	v_xor_b32_e32 v58, 16, v53
	v_xor_b32_e32 v59, 8, v53
	;; [unrolled: 1-line block ×5, first 2 shown]
	buffer_store_dword v0, off, s[40:43], 0 offset:24 ; 4-byte Folded Spill
	v_add_u32_e32 v0, 0x1000, v60
	v_mov_b32_e32 v4, 0xfeffffff
.LBB0_9:                                ; =>This Inner Loop Header: Depth=1
	s_mul_hi_i32 s25, s6, s9
	s_mul_i32 s24, s6, s9
	s_lshl_b64 s[24:25], s[24:25], 2
	s_add_u32 s24, s10, s24
	s_addc_u32 s25, s11, s25
	v_mov_b32_e32 v99, v2
	v_mov_b32_e32 v100, v1
	v_add_co_u32_e32 v1, vcc, s24, v65
	v_mov_b32_e32 v2, s25
	v_addc_co_u32_e32 v2, vcc, v2, v66, vcc
	v_add_co_u32_e32 v1, vcc, v1, v67
	v_addc_co_u32_e32 v2, vcc, 0, v2, vcc
	v_mov_b32_e32 v93, v5
	v_mov_b32_e32 v95, v4
	;; [unrolled: 1-line block ×3, first 2 shown]
	global_load_dwordx4 v[1:4], v[1:2], off
	v_mov_b32_e32 v101, 0
	buffer_load_dword v5, off, s[40:43], 0  ; 4-byte Folded Reload
	v_mov_b32_e32 v86, v19
	v_mov_b32_e32 v88, v18
	;; [unrolled: 1-line block ×17, first 2 shown]
	s_waitcnt vmcnt(0)
	ds_write_b128 v5, v[1:4]
	v_add_co_u32_e32 v1, vcc, s24, v125
	v_mov_b32_e32 v2, s25
	v_addc_co_u32_e32 v2, vcc, v2, v126, vcc
	v_add_co_u32_e32 v1, vcc, v1, v67
	v_addc_co_u32_e32 v2, vcc, 0, v2, vcc
	global_load_dwordx4 v[1:4], v[1:2], off
	v_cmp_lt_i32_e32 vcc, v58, v54
	buffer_load_dword v5, off, s[40:43], 0 offset:4 ; 4-byte Folded Reload
	s_mul_hi_i32 s25, s6, s8
	s_mul_i32 s24, s6, s8
	s_lshl_b64 s[24:25], s[24:25], 2
	s_add_u32 s26, s12, s24
	s_addc_u32 s24, s13, s25
	s_waitcnt vmcnt(0)
	ds_write_b128 v5, v[1:4]
	s_waitcnt lgkmcnt(0)
	s_barrier
	ds_read_b128 v[37:40], v63
	ds_read_b128 v[1:4], v63 offset:4608
	ds_read_b128 v[33:36], v51
	ds_read_b128 v[29:32], v51 offset:128
	ds_read_b128 v[25:28], v51 offset:256
	;; [unrolled: 1-line block ×7, first 2 shown]
	s_waitcnt lgkmcnt(7)
	;;#ASMSTART
	v_dot2_f32_f16 v101, v37, v33, v101
	;;#ASMEND
	;;#ASMSTART
	v_dot2_f32_f16 v101, v38, v34, v101
	;;#ASMEND
	;;#ASMSTART
	v_dot2_f32_f16 v101, v39, v35, v101
	;;#ASMEND
	;;#ASMSTART
	v_dot2_f32_f16 v101, v40, v36, v101
	;;#ASMEND
	s_waitcnt lgkmcnt(6)
	;;#ASMSTART
	v_dot2_f32_f16 v102, v37, v29, v102
	;;#ASMEND
	;;#ASMSTART
	v_dot2_f32_f16 v102, v38, v30, v102
	;;#ASMEND
	;;#ASMSTART
	v_dot2_f32_f16 v102, v39, v31, v102
	;;#ASMEND
	;;#ASMSTART
	v_dot2_f32_f16 v102, v40, v32, v102
	;;#ASMEND
	;; [unrolled: 13-line block ×7, first 2 shown]
	s_waitcnt lgkmcnt(0)
	;;#ASMSTART
	v_dot2_f32_f16 v108, v37, v5, v108
	;;#ASMEND
	;;#ASMSTART
	v_dot2_f32_f16 v108, v38, v6, v108
	;;#ASMEND
	;;#ASMSTART
	v_dot2_f32_f16 v108, v39, v7, v108
	;;#ASMEND
	v_mov_b32_e32 v37, 0
	;;#ASMSTART
	v_dot2_f32_f16 v108, v40, v8, v108
	;;#ASMEND
	;;#ASMSTART
	v_dot2_f32_f16 v37, v1, v33, v37
	;;#ASMEND
	;;#ASMSTART
	v_dot2_f32_f16 v37, v2, v34, v37
	;;#ASMEND
	;;#ASMSTART
	v_dot2_f32_f16 v37, v3, v35, v37
	;;#ASMEND
	v_mov_b32_e32 v33, 0
	;;#ASMSTART
	v_dot2_f32_f16 v37, v4, v36, v37
	;;#ASMEND
	;; [unrolled: 13-line block ×8, first 2 shown]
	;;#ASMSTART
	v_dot2_f32_f16 v9, v1, v5, v9
	;;#ASMEND
	;;#ASMSTART
	v_dot2_f32_f16 v9, v2, v6, v9
	;;#ASMEND
	;; [unrolled: 3-line block ×4, first 2 shown]
	ds_read_b128 v[1:4], v63 offset:16
	ds_read_b128 v[5:8], v63 offset:4624
	;; [unrolled: 1-line block ×10, first 2 shown]
	s_waitcnt lgkmcnt(7)
	;;#ASMSTART
	v_dot2_f32_f16 v101, v1, v109, v101
	;;#ASMEND
	;;#ASMSTART
	v_dot2_f32_f16 v101, v2, v110, v101
	;;#ASMEND
	;;#ASMSTART
	v_dot2_f32_f16 v101, v3, v111, v101
	;;#ASMEND
	;;#ASMSTART
	v_dot2_f32_f16 v101, v4, v112, v101
	;;#ASMEND
	s_waitcnt lgkmcnt(6)
	;;#ASMSTART
	v_dot2_f32_f16 v102, v1, v113, v102
	;;#ASMEND
	;;#ASMSTART
	v_dot2_f32_f16 v102, v2, v114, v102
	;;#ASMEND
	;;#ASMSTART
	v_dot2_f32_f16 v102, v3, v115, v102
	;;#ASMEND
	;;#ASMSTART
	v_dot2_f32_f16 v102, v4, v116, v102
	;;#ASMEND
	;; [unrolled: 13-line block ×8, first 2 shown]
	;;#ASMSTART
	v_dot2_f32_f16 v37, v5, v109, v37
	;;#ASMEND
	;;#ASMSTART
	v_dot2_f32_f16 v37, v6, v110, v37
	;;#ASMEND
	;; [unrolled: 3-line block ×32, first 2 shown]
	ds_read_b128 v[1:4], v63 offset:32
	ds_read_b128 v[5:8], v63 offset:4640
	;; [unrolled: 1-line block ×10, first 2 shown]
	s_waitcnt lgkmcnt(7)
	;;#ASMSTART
	v_dot2_f32_f16 v101, v1, v38, v101
	;;#ASMEND
	;;#ASMSTART
	v_dot2_f32_f16 v101, v2, v39, v101
	;;#ASMEND
	;;#ASMSTART
	v_dot2_f32_f16 v101, v3, v40, v101
	;;#ASMEND
	;;#ASMSTART
	v_dot2_f32_f16 v101, v4, v41, v101
	;;#ASMEND
	s_waitcnt lgkmcnt(6)
	;;#ASMSTART
	v_dot2_f32_f16 v102, v1, v42, v102
	;;#ASMEND
	;;#ASMSTART
	v_dot2_f32_f16 v102, v2, v43, v102
	;;#ASMEND
	;;#ASMSTART
	v_dot2_f32_f16 v102, v3, v44, v102
	;;#ASMEND
	;;#ASMSTART
	v_dot2_f32_f16 v102, v4, v45, v102
	;;#ASMEND
	;; [unrolled: 13-line block ×8, first 2 shown]
	;;#ASMSTART
	v_dot2_f32_f16 v37, v5, v38, v37
	;;#ASMEND
	;;#ASMSTART
	v_dot2_f32_f16 v37, v6, v39, v37
	;;#ASMEND
	;; [unrolled: 3-line block ×32, first 2 shown]
	ds_read_b128 v[1:4], v63 offset:48
	ds_read_b128 v[5:8], v63 offset:4656
	;; [unrolled: 1-line block ×10, first 2 shown]
	s_waitcnt lgkmcnt(7)
	;;#ASMSTART
	v_dot2_f32_f16 v101, v1, v38, v101
	;;#ASMEND
	;;#ASMSTART
	v_dot2_f32_f16 v101, v2, v39, v101
	;;#ASMEND
	;;#ASMSTART
	v_dot2_f32_f16 v101, v3, v40, v101
	;;#ASMEND
	;;#ASMSTART
	v_dot2_f32_f16 v101, v4, v41, v101
	;;#ASMEND
	s_waitcnt lgkmcnt(6)
	;;#ASMSTART
	v_dot2_f32_f16 v102, v1, v42, v102
	;;#ASMEND
	;;#ASMSTART
	v_dot2_f32_f16 v102, v2, v43, v102
	;;#ASMEND
	;;#ASMSTART
	v_dot2_f32_f16 v102, v3, v44, v102
	;;#ASMEND
	;;#ASMSTART
	v_dot2_f32_f16 v102, v4, v45, v102
	;;#ASMEND
	;; [unrolled: 13-line block ×8, first 2 shown]
	;;#ASMSTART
	v_dot2_f32_f16 v37, v5, v38, v37
	;;#ASMEND
	;;#ASMSTART
	v_dot2_f32_f16 v37, v6, v39, v37
	;;#ASMEND
	;; [unrolled: 3-line block ×32, first 2 shown]
	ds_read_b128 v[1:4], v63 offset:64
	ds_read_b128 v[5:8], v63 offset:4672
	;; [unrolled: 1-line block ×10, first 2 shown]
	s_waitcnt lgkmcnt(7)
	;;#ASMSTART
	v_dot2_f32_f16 v101, v1, v38, v101
	;;#ASMEND
	;;#ASMSTART
	v_dot2_f32_f16 v101, v2, v39, v101
	;;#ASMEND
	;;#ASMSTART
	v_dot2_f32_f16 v101, v3, v40, v101
	;;#ASMEND
	;;#ASMSTART
	v_dot2_f32_f16 v101, v4, v41, v101
	;;#ASMEND
	s_waitcnt lgkmcnt(6)
	;;#ASMSTART
	v_dot2_f32_f16 v102, v1, v42, v102
	;;#ASMEND
	;;#ASMSTART
	v_dot2_f32_f16 v102, v2, v43, v102
	;;#ASMEND
	;;#ASMSTART
	v_dot2_f32_f16 v102, v3, v44, v102
	;;#ASMEND
	;;#ASMSTART
	v_dot2_f32_f16 v102, v4, v45, v102
	;;#ASMEND
	;; [unrolled: 13-line block ×8, first 2 shown]
	;;#ASMSTART
	v_dot2_f32_f16 v37, v5, v38, v37
	;;#ASMEND
	;;#ASMSTART
	v_dot2_f32_f16 v37, v6, v39, v37
	;;#ASMEND
	;; [unrolled: 3-line block ×32, first 2 shown]
	ds_read_b128 v[1:4], v63 offset:80
	ds_read_b128 v[5:8], v63 offset:4688
	;; [unrolled: 1-line block ×10, first 2 shown]
	s_waitcnt lgkmcnt(7)
	;;#ASMSTART
	v_dot2_f32_f16 v101, v1, v38, v101
	;;#ASMEND
	;;#ASMSTART
	v_dot2_f32_f16 v101, v2, v39, v101
	;;#ASMEND
	;;#ASMSTART
	v_dot2_f32_f16 v101, v3, v40, v101
	;;#ASMEND
	;;#ASMSTART
	v_dot2_f32_f16 v101, v4, v41, v101
	;;#ASMEND
	s_waitcnt lgkmcnt(6)
	;;#ASMSTART
	v_dot2_f32_f16 v102, v1, v42, v102
	;;#ASMEND
	;;#ASMSTART
	v_dot2_f32_f16 v102, v2, v43, v102
	;;#ASMEND
	;;#ASMSTART
	v_dot2_f32_f16 v102, v3, v44, v102
	;;#ASMEND
	;;#ASMSTART
	v_dot2_f32_f16 v102, v4, v45, v102
	;;#ASMEND
	;; [unrolled: 13-line block ×8, first 2 shown]
	;;#ASMSTART
	v_dot2_f32_f16 v37, v5, v38, v37
	;;#ASMEND
	;;#ASMSTART
	v_dot2_f32_f16 v37, v6, v39, v37
	;;#ASMEND
	;; [unrolled: 3-line block ×32, first 2 shown]
	ds_read_b128 v[1:4], v63 offset:96
	ds_read_b128 v[5:8], v63 offset:4704
	;; [unrolled: 1-line block ×10, first 2 shown]
	s_waitcnt lgkmcnt(7)
	;;#ASMSTART
	v_dot2_f32_f16 v101, v1, v38, v101
	;;#ASMEND
	;;#ASMSTART
	v_dot2_f32_f16 v101, v2, v39, v101
	;;#ASMEND
	;;#ASMSTART
	v_dot2_f32_f16 v101, v3, v40, v101
	;;#ASMEND
	;;#ASMSTART
	v_dot2_f32_f16 v101, v4, v41, v101
	;;#ASMEND
	s_waitcnt lgkmcnt(6)
	;;#ASMSTART
	v_dot2_f32_f16 v102, v1, v42, v102
	;;#ASMEND
	;;#ASMSTART
	v_dot2_f32_f16 v102, v2, v43, v102
	;;#ASMEND
	;;#ASMSTART
	v_dot2_f32_f16 v102, v3, v44, v102
	;;#ASMEND
	;;#ASMSTART
	v_dot2_f32_f16 v102, v4, v45, v102
	;;#ASMEND
	;; [unrolled: 13-line block ×8, first 2 shown]
	;;#ASMSTART
	v_dot2_f32_f16 v37, v5, v38, v37
	;;#ASMEND
	;;#ASMSTART
	v_dot2_f32_f16 v37, v6, v39, v37
	;;#ASMEND
	;; [unrolled: 3-line block ×32, first 2 shown]
	ds_read_b128 v[1:4], v63 offset:112
	ds_read_b128 v[5:8], v63 offset:4720
	;; [unrolled: 1-line block ×10, first 2 shown]
	s_waitcnt lgkmcnt(7)
	;;#ASMSTART
	v_dot2_f32_f16 v101, v1, v38, v101
	;;#ASMEND
	;;#ASMSTART
	v_dot2_f32_f16 v101, v2, v39, v101
	;;#ASMEND
	;;#ASMSTART
	v_dot2_f32_f16 v101, v3, v40, v101
	;;#ASMEND
	;;#ASMSTART
	v_dot2_f32_f16 v101, v4, v41, v101
	;;#ASMEND
	s_waitcnt lgkmcnt(6)
	;;#ASMSTART
	v_dot2_f32_f16 v102, v1, v42, v102
	;;#ASMEND
	;;#ASMSTART
	v_dot2_f32_f16 v102, v2, v43, v102
	;;#ASMEND
	;;#ASMSTART
	v_dot2_f32_f16 v102, v3, v44, v102
	;;#ASMEND
	;;#ASMSTART
	v_dot2_f32_f16 v102, v4, v45, v102
	;;#ASMEND
	;; [unrolled: 13-line block ×8, first 2 shown]
	;;#ASMSTART
	v_dot2_f32_f16 v37, v5, v38, v37
	;;#ASMEND
	;;#ASMSTART
	v_dot2_f32_f16 v37, v6, v39, v37
	;;#ASMEND
	;; [unrolled: 3-line block ×32, first 2 shown]
	buffer_load_dword v1, off, s[40:43], 0 offset:8 ; 4-byte Folded Reload
	buffer_load_dword v2, off, s[40:43], 0 offset:12 ; 4-byte Folded Reload
	;; [unrolled: 1-line block ×3, first 2 shown]
	s_waitcnt vmcnt(1)
	v_cndmask_b32_e32 v2, v53, v58, vcc
	v_cmp_lt_i32_e32 vcc, v59, v54
	v_lshlrev_b32_e32 v8, 2, v2
	v_cndmask_b32_e32 v2, v53, v59, vcc
	v_cmp_lt_i32_e32 vcc, v56, v54
	v_lshlrev_b32_e32 v11, 2, v2
	;; [unrolled: 3-line block ×4, first 2 shown]
	v_cndmask_b32_e32 v2, v53, v55, vcc
	v_lshlrev_b32_e32 v20, 2, v2
	v_add_u32_e32 v1, s6, v1
	v_ashrrev_i32_e32 v2, 31, v1
	v_lshlrev_b64 v[1:2], 1, v[1:2]
	v_add_co_u32_e32 v1, vcc, s34, v1
	s_waitcnt vmcnt(0)
	v_addc_co_u32_e32 v2, vcc, v3, v2, vcc
	global_load_ushort v3, v[1:2], off
	s_waitcnt vmcnt(0)
	v_cvt_f32_f16_e32 v10, v3
	global_load_ushort v1, v[1:2], off offset:64
	s_waitcnt vmcnt(0)
	s_barrier
	v_add_f32_e32 v22, v101, v10
	v_add_f32_e32 v3, 0x40051340, v22
	;; [unrolled: 1-line block ×7, first 2 shown]
	v_cvt_f32_f16_e32 v23, v1
	v_add_f32_e32 v28, v37, v23
	v_add_f32_e32 v1, 0x40051340, v28
	v_max3_f32 v1, v100, v3, v1
	ds_bpermute_b32 v2, v8, v1
	v_add_f32_e32 v31, v33, v23
	v_add_f32_e32 v3, 0x40051340, v31
	v_add_f32_e32 v33, v29, v23
	v_add_f32_e32 v4, 0x40051340, v33
	s_waitcnt lgkmcnt(0)
	v_max_f32_e32 v2, v2, v2
	v_max_f32_e32 v1, v1, v2
	ds_bpermute_b32 v2, v11, v1
	v_add_f32_e32 v16, v25, v23
	v_add_f32_e32 v5, 0x40051340, v16
	v_add_f32_e32 v24, v21, v23
	v_add_f32_e32 v6, 0x40051340, v24
	s_waitcnt lgkmcnt(0)
	v_max_f32_e32 v2, v2, v2
	v_max_f32_e32 v1, v1, v2
	;; [unrolled: 8-line block ×3, first 2 shown]
	ds_bpermute_b32 v2, v15, v1
	v_add_f32_e32 v12, 0x40051340, v19
	s_waitcnt lgkmcnt(0)
	v_max_f32_e32 v2, v2, v2
	v_max_f32_e32 v1, v1, v2
	ds_bpermute_b32 v2, v20, v1
	s_waitcnt lgkmcnt(0)
	v_max_f32_e32 v2, v2, v2
	v_max_f32_e32 v1, v1, v2
	v_add_f32_e32 v2, 0x40051340, v30
	v_max3_f32 v2, v99, v2, v3
	ds_bpermute_b32 v3, v8, v2
	s_waitcnt lgkmcnt(0)
	v_max_f32_e32 v3, v3, v3
	v_max_f32_e32 v2, v2, v3
	ds_bpermute_b32 v3, v11, v2
	s_waitcnt lgkmcnt(0)
	v_max_f32_e32 v3, v3, v3
	v_max_f32_e32 v2, v2, v3
	ds_bpermute_b32 v3, v14, v2
	s_waitcnt lgkmcnt(0)
	v_max_f32_e32 v3, v3, v3
	v_max_f32_e32 v2, v2, v3
	ds_bpermute_b32 v3, v15, v2
	s_waitcnt lgkmcnt(0)
	v_max_f32_e32 v3, v3, v3
	v_max_f32_e32 v2, v2, v3
	ds_bpermute_b32 v3, v20, v2
	s_waitcnt lgkmcnt(0)
	v_max_f32_e32 v3, v3, v3
	v_max_f32_e32 v2, v2, v3
	v_add_f32_e32 v3, 0x40051340, v32
	v_max3_f32 v3, v97, v3, v4
	ds_bpermute_b32 v4, v8, v3
	s_waitcnt lgkmcnt(0)
	v_max_f32_e32 v4, v4, v4
	v_max_f32_e32 v3, v3, v4
	ds_bpermute_b32 v4, v11, v3
	s_waitcnt lgkmcnt(0)
	v_max_f32_e32 v4, v4, v4
	v_max_f32_e32 v3, v3, v4
	ds_bpermute_b32 v4, v14, v3
	s_waitcnt lgkmcnt(0)
	v_max_f32_e32 v4, v4, v4
	v_max_f32_e32 v3, v3, v4
	ds_bpermute_b32 v4, v15, v3
	;; [unrolled: 22-line block ×3, first 2 shown]
	s_waitcnt lgkmcnt(0)
	v_max_f32_e32 v5, v5, v5
	v_max_f32_e32 v4, v4, v5
	ds_bpermute_b32 v5, v20, v4
	s_waitcnt lgkmcnt(0)
	v_max_f32_e32 v5, v5, v5
	v_max_f32_e32 v4, v4, v5
	v_add_f32_e32 v5, 0x40051340, v27
	v_max3_f32 v5, v93, v5, v6
	ds_bpermute_b32 v6, v8, v5
	v_sub_f32_e32 v16, v16, v4
	s_waitcnt lgkmcnt(0)
	v_max_f32_e32 v6, v6, v6
	v_max_f32_e32 v5, v5, v6
	ds_bpermute_b32 v6, v11, v5
	s_waitcnt lgkmcnt(0)
	v_max_f32_e32 v6, v6, v6
	v_max_f32_e32 v5, v5, v6
	ds_bpermute_b32 v6, v14, v5
	;; [unrolled: 4-line block ×4, first 2 shown]
	s_waitcnt lgkmcnt(0)
	v_max_f32_e32 v6, v6, v6
	v_max_f32_e32 v5, v5, v6
	v_add_f32_e32 v6, 0x40051340, v25
	v_max3_f32 v6, v91, v6, v7
	ds_bpermute_b32 v7, v8, v6
	v_sub_f32_e32 v24, v24, v5
	s_waitcnt lgkmcnt(0)
	v_max_f32_e32 v7, v7, v7
	v_max_f32_e32 v6, v6, v7
	ds_bpermute_b32 v7, v11, v6
	s_waitcnt lgkmcnt(0)
	v_max_f32_e32 v7, v7, v7
	v_max_f32_e32 v6, v6, v7
	ds_bpermute_b32 v7, v14, v6
	;; [unrolled: 4-line block ×4, first 2 shown]
	s_waitcnt lgkmcnt(0)
	v_max_f32_e32 v7, v7, v7
	v_max_f32_e32 v6, v6, v7
	v_add_f32_e32 v7, 0x40051340, v26
	v_max3_f32 v7, v89, v7, v12
	ds_bpermute_b32 v12, v8, v7
	v_sub_f32_e32 v25, v25, v6
	v_sub_f32_e32 v18, v18, v6
	s_waitcnt lgkmcnt(0)
	v_max_f32_e32 v12, v12, v12
	v_max_f32_e32 v7, v7, v12
	ds_bpermute_b32 v12, v11, v7
	s_waitcnt lgkmcnt(0)
	v_max_f32_e32 v12, v12, v12
	v_max_f32_e32 v7, v7, v12
	ds_bpermute_b32 v12, v14, v7
	;; [unrolled: 4-line block ×4, first 2 shown]
	s_waitcnt lgkmcnt(0)
	v_max_f32_e32 v12, v12, v12
	v_max_f32_e32 v7, v7, v12
	v_add_f32_e32 v12, v108, v10
	v_add_f32_e32 v10, v9, v23
	;; [unrolled: 1-line block ×4, first 2 shown]
	v_max3_f32 v9, v87, v13, v9
	ds_bpermute_b32 v8, v8, v9
	v_sub_f32_e32 v26, v26, v7
	v_sub_f32_e32 v19, v19, v7
	s_waitcnt lgkmcnt(0)
	v_max_f32_e32 v8, v8, v8
	v_max_f32_e32 v8, v9, v8
	ds_bpermute_b32 v9, v11, v8
	s_waitcnt lgkmcnt(0)
	v_max_f32_e32 v9, v9, v9
	v_max_f32_e32 v8, v8, v9
	ds_bpermute_b32 v9, v14, v8
	v_sub_f32_e32 v14, v100, v1
	s_waitcnt lgkmcnt(0)
	v_max_f32_e32 v9, v9, v9
	v_max_f32_e32 v8, v8, v9
	ds_bpermute_b32 v9, v15, v8
	s_waitcnt lgkmcnt(0)
	v_max_f32_e32 v9, v9, v9
	v_max_f32_e32 v8, v8, v9
	ds_bpermute_b32 v9, v20, v8
	s_waitcnt lgkmcnt(0)
	v_max_f32_e32 v9, v9, v9
	v_max_f32_e32 v8, v8, v9
	v_sub_f32_e32 v9, v22, v1
	v_mul_f32_e32 v11, 0x3fb8aa3b, v9
	v_fma_f32 v13, v9, s14, -v11
	v_rndne_f32_e32 v15, v11
	v_fmac_f32_e32 v13, 0x32a5705f, v9
	v_sub_f32_e32 v11, v11, v15
	v_add_f32_e32 v11, v11, v13
	v_exp_f32_e32 v11, v11
	v_cvt_i32_f32_e32 v13, v15
	v_cmp_ngt_f32_e32 vcc, s15, v9
	v_sub_f32_e32 v12, v12, v8
	v_sub_f32_e32 v10, v10, v8
	v_ldexp_f32 v11, v11, v13
	v_sub_f32_e32 v13, v28, v1
	v_mul_f32_e32 v15, 0x3fb8aa3b, v13
	v_fma_f32 v17, v13, s14, -v15
	v_rndne_f32_e32 v20, v15
	v_fmac_f32_e32 v17, 0x32a5705f, v13
	v_sub_f32_e32 v15, v15, v20
	v_add_f32_e32 v15, v15, v17
	v_exp_f32_e32 v15, v15
	v_cvt_i32_f32_e32 v17, v20
	v_cndmask_b32_e32 v11, 0, v11, vcc
	v_cmp_nlt_f32_e32 vcc, s18, v9
	v_cndmask_b32_e32 v11, v69, v11, vcc
	v_ldexp_f32 v15, v15, v17
	v_cmp_ngt_f32_e32 vcc, s15, v13
	v_cndmask_b32_e32 v15, 0, v15, vcc
	v_cmp_nlt_f32_e32 vcc, s18, v13
	v_cndmask_b32_e32 v15, v69, v15, vcc
	v_cvt_f16_f32_e32 v9, v11
	v_add_f32_e32 v13, v11, v15
	v_cvt_f16_f32_e32 v11, v15
	v_mul_f32_e32 v15, 0x3fb8aa3b, v14
	v_fma_f32 v17, v14, s14, -v15
	v_rndne_f32_e32 v20, v15
	v_fmac_f32_e32 v17, 0x32a5705f, v14
	v_sub_f32_e32 v15, v15, v20
	v_add_f32_e32 v15, v15, v17
	v_exp_f32_e32 v15, v15
	v_cvt_i32_f32_e32 v17, v20
	v_cmp_ngt_f32_e32 vcc, s15, v14
	v_ldexp_f32 v15, v15, v17
	v_cndmask_b32_e32 v15, 0, v15, vcc
	v_cmp_nlt_f32_e32 vcc, s18, v14
	v_cndmask_b32_e32 v14, v69, v15, vcc
	v_fmac_f32_e32 v13, v98, v14
	v_cvt_f16_f32_e32 v14, v14
	v_sub_f32_e32 v15, v99, v2
	v_mul_u32_u24_e32 v14, 0x10001, v14
	v_pk_mul_f16 v20, v85, v14
	v_sub_f32_e32 v14, v30, v2
	v_mul_f32_e32 v17, 0x3fb8aa3b, v14
	v_fma_f32 v21, v14, s14, -v17
	v_rndne_f32_e32 v22, v17
	v_fmac_f32_e32 v21, 0x32a5705f, v14
	v_sub_f32_e32 v17, v17, v22
	v_add_f32_e32 v17, v17, v21
	v_exp_f32_e32 v17, v17
	v_cvt_i32_f32_e32 v21, v22
	v_cmp_ngt_f32_e32 vcc, s15, v14
	v_ldexp_f32 v17, v17, v21
	v_cndmask_b32_e32 v17, 0, v17, vcc
	v_cmp_nlt_f32_e32 vcc, s18, v14
	v_cndmask_b32_e32 v14, v69, v17, vcc
	v_sub_f32_e32 v17, v31, v2
	v_mul_f32_e32 v21, 0x3fb8aa3b, v17
	v_fma_f32 v22, v17, s14, -v21
	v_rndne_f32_e32 v23, v21
	v_fmac_f32_e32 v22, 0x32a5705f, v17
	v_sub_f32_e32 v21, v21, v23
	v_add_f32_e32 v21, v21, v22
	v_exp_f32_e32 v21, v21
	v_cvt_i32_f32_e32 v22, v23
	v_cmp_ngt_f32_e32 vcc, s15, v17
	v_cvt_f16_f32_e32 v28, v14
	v_ldexp_f32 v21, v21, v22
	v_cndmask_b32_e32 v21, 0, v21, vcc
	v_cmp_nlt_f32_e32 vcc, s18, v17
	v_cndmask_b32_e32 v17, v69, v21, vcc
	v_add_f32_e32 v14, v14, v17
	v_cvt_f16_f32_e32 v29, v17
	v_mul_f32_e32 v17, 0x3fb8aa3b, v15
	v_fma_f32 v21, v15, s14, -v17
	v_rndne_f32_e32 v22, v17
	v_fmac_f32_e32 v21, 0x32a5705f, v15
	v_sub_f32_e32 v17, v17, v22
	v_add_f32_e32 v17, v17, v21
	v_exp_f32_e32 v17, v17
	v_cvt_i32_f32_e32 v21, v22
	v_cmp_ngt_f32_e32 vcc, s15, v15
	v_ldexp_f32 v17, v17, v21
	v_cndmask_b32_e32 v17, 0, v17, vcc
	v_cmp_nlt_f32_e32 vcc, s18, v15
	v_cndmask_b32_e32 v15, v69, v17, vcc
	v_fmac_f32_e32 v14, v96, v15
	v_cvt_f16_f32_e32 v15, v15
	v_sub_f32_e32 v17, v97, v3
	v_mul_u32_u24_e32 v15, 0x10001, v15
	v_pk_mul_f16 v21, v84, v15
	v_sub_f32_e32 v15, v32, v3
	v_mul_f32_e32 v22, 0x3fb8aa3b, v15
	v_fma_f32 v23, v15, s14, -v22
	v_rndne_f32_e32 v30, v22
	v_fmac_f32_e32 v23, 0x32a5705f, v15
	v_sub_f32_e32 v22, v22, v30
	v_add_f32_e32 v22, v22, v23
	v_exp_f32_e32 v22, v22
	v_cvt_i32_f32_e32 v23, v30
	v_cmp_ngt_f32_e32 vcc, s15, v15
	v_ldexp_f32 v22, v22, v23
	v_cndmask_b32_e32 v22, 0, v22, vcc
	v_cmp_nlt_f32_e32 vcc, s18, v15
	v_cndmask_b32_e32 v15, v69, v22, vcc
	v_sub_f32_e32 v22, v33, v3
	v_mul_f32_e32 v23, 0x3fb8aa3b, v22
	v_fma_f32 v31, v22, s14, -v23
	v_rndne_f32_e32 v32, v23
	v_fmac_f32_e32 v31, 0x32a5705f, v22
	v_sub_f32_e32 v23, v23, v32
	v_add_f32_e32 v23, v23, v31
	v_exp_f32_e32 v23, v23
	v_cvt_i32_f32_e32 v31, v32
	v_cmp_ngt_f32_e32 vcc, s15, v22
	v_cvt_f16_f32_e32 v30, v15
	v_ldexp_f32 v23, v23, v31
	v_cndmask_b32_e32 v23, 0, v23, vcc
	v_cmp_nlt_f32_e32 vcc, s18, v22
	v_cndmask_b32_e32 v22, v69, v23, vcc
	v_add_f32_e32 v15, v15, v22
	v_cvt_f16_f32_e32 v31, v22
	v_mul_f32_e32 v22, 0x3fb8aa3b, v17
	v_fma_f32 v23, v17, s14, -v22
	v_rndne_f32_e32 v32, v22
	v_fmac_f32_e32 v23, 0x32a5705f, v17
	v_sub_f32_e32 v22, v22, v32
	v_add_f32_e32 v22, v22, v23
	v_exp_f32_e32 v22, v22
	v_cvt_i32_f32_e32 v23, v32
	v_cmp_ngt_f32_e32 vcc, s15, v17
	v_ldexp_f32 v22, v22, v23
	v_sub_f32_e32 v23, v34, v4
	v_mul_f32_e32 v32, 0x3fb8aa3b, v23
	v_fma_f32 v33, v23, s14, -v32
	v_rndne_f32_e32 v34, v32
	v_fmac_f32_e32 v33, 0x32a5705f, v23
	v_sub_f32_e32 v32, v32, v34
	v_add_f32_e32 v32, v32, v33
	v_exp_f32_e32 v32, v32
	v_cvt_i32_f32_e32 v33, v34
	v_cndmask_b32_e32 v22, 0, v22, vcc
	v_cmp_nlt_f32_e32 vcc, s18, v17
	v_cndmask_b32_e32 v17, v69, v22, vcc
	v_ldexp_f32 v32, v32, v33
	v_mul_f32_e32 v33, 0x3fb8aa3b, v16
	v_fma_f32 v34, v16, s14, -v33
	v_rndne_f32_e32 v35, v33
	v_fmac_f32_e32 v34, 0x32a5705f, v16
	v_sub_f32_e32 v33, v33, v35
	v_add_f32_e32 v33, v33, v34
	v_exp_f32_e32 v33, v33
	v_cvt_i32_f32_e32 v34, v35
	v_fmac_f32_e32 v15, v94, v17
	v_cvt_f16_f32_e32 v17, v17
	v_cmp_ngt_f32_e32 vcc, s15, v23
	v_cndmask_b32_e32 v32, 0, v32, vcc
	v_cmp_nlt_f32_e32 vcc, s18, v23
	v_cndmask_b32_e32 v23, v69, v32, vcc
	v_ldexp_f32 v33, v33, v34
	v_cmp_ngt_f32_e32 vcc, s15, v16
	v_mul_u32_u24_e32 v17, 0x10001, v17
	v_cndmask_b32_e32 v33, 0, v33, vcc
	v_cmp_nlt_f32_e32 vcc, s18, v16
	v_pk_mul_f16 v22, v83, v17
	v_sub_f32_e32 v17, v95, v4
	v_cndmask_b32_e32 v33, v69, v33, vcc
	v_cvt_f16_f32_e32 v32, v23
	v_add_f32_e32 v16, v23, v33
	v_mul_f32_e32 v23, 0x3fb8aa3b, v17
	v_cvt_f16_f32_e32 v36, v33
	v_fma_f32 v33, v17, s14, -v23
	v_rndne_f32_e32 v34, v23
	v_fmac_f32_e32 v33, 0x32a5705f, v17
	v_sub_f32_e32 v23, v23, v34
	v_add_f32_e32 v23, v23, v33
	v_exp_f32_e32 v23, v23
	v_cvt_i32_f32_e32 v33, v34
	v_cmp_ngt_f32_e32 vcc, s15, v17
	v_pack_b32_f16 v31, v31, v36
	v_ldexp_f32 v23, v23, v33
	v_cndmask_b32_e32 v23, 0, v23, vcc
	v_cmp_nlt_f32_e32 vcc, s18, v17
	v_cndmask_b32_e32 v17, v69, v23, vcc
	v_fmac_f32_e32 v16, v92, v17
	v_cvt_f16_f32_e32 v17, v17
	v_sub_f32_e32 v33, v93, v5
	v_mul_u32_u24_e32 v17, 0x10001, v17
	v_pk_mul_f16 v23, v82, v17
	v_sub_f32_e32 v17, v27, v5
	v_mul_f32_e32 v27, 0x3fb8aa3b, v17
	v_fma_f32 v34, v17, s14, -v27
	v_rndne_f32_e32 v35, v27
	v_fmac_f32_e32 v34, 0x32a5705f, v17
	v_sub_f32_e32 v27, v27, v35
	v_add_f32_e32 v27, v27, v34
	v_exp_f32_e32 v27, v27
	v_cvt_i32_f32_e32 v34, v35
	v_cmp_ngt_f32_e32 vcc, s15, v17
	v_ldexp_f32 v27, v27, v34
	v_cndmask_b32_e32 v27, 0, v27, vcc
	v_cmp_nlt_f32_e32 vcc, s18, v17
	v_cndmask_b32_e32 v17, v69, v27, vcc
	v_mul_f32_e32 v27, 0x3fb8aa3b, v24
	v_fma_f32 v35, v24, s14, -v27
	v_rndne_f32_e32 v37, v27
	v_fmac_f32_e32 v35, 0x32a5705f, v24
	v_sub_f32_e32 v27, v27, v37
	v_add_f32_e32 v27, v27, v35
	v_exp_f32_e32 v27, v27
	v_cvt_i32_f32_e32 v35, v37
	v_cmp_ngt_f32_e32 vcc, s15, v24
	v_cvt_f16_f32_e32 v34, v17
	v_ldexp_f32 v27, v27, v35
	v_cndmask_b32_e32 v27, 0, v27, vcc
	v_cmp_nlt_f32_e32 vcc, s18, v24
	v_cndmask_b32_e32 v24, v69, v27, vcc
	v_add_f32_e32 v17, v17, v24
	v_cvt_f16_f32_e32 v37, v24
	v_mul_f32_e32 v24, 0x3fb8aa3b, v33
	v_fma_f32 v27, v33, s14, -v24
	v_rndne_f32_e32 v35, v24
	v_fmac_f32_e32 v27, 0x32a5705f, v33
	v_sub_f32_e32 v24, v24, v35
	v_add_f32_e32 v24, v24, v27
	v_exp_f32_e32 v24, v24
	v_cvt_i32_f32_e32 v27, v35
	v_cmp_ngt_f32_e32 vcc, s15, v33
	v_ldexp_f32 v24, v24, v27
	v_cndmask_b32_e32 v24, 0, v24, vcc
	v_cmp_nlt_f32_e32 vcc, s18, v33
	v_mul_f32_e32 v33, 0x3fb8aa3b, v25
	v_fma_f32 v35, v25, s14, -v33
	v_rndne_f32_e32 v38, v33
	v_fmac_f32_e32 v35, 0x32a5705f, v25
	v_sub_f32_e32 v33, v33, v38
	v_add_f32_e32 v33, v33, v35
	v_exp_f32_e32 v33, v33
	v_cvt_i32_f32_e32 v35, v38
	v_cndmask_b32_e32 v24, v69, v24, vcc
	v_cmp_ngt_f32_e32 vcc, s15, v25
	v_sub_f32_e32 v27, v91, v6
	v_ldexp_f32 v33, v33, v35
	v_mul_f32_e32 v35, 0x3fb8aa3b, v18
	v_fma_f32 v38, v18, s14, -v35
	v_rndne_f32_e32 v39, v35
	v_fmac_f32_e32 v38, 0x32a5705f, v18
	v_sub_f32_e32 v35, v35, v39
	v_add_f32_e32 v35, v35, v38
	v_exp_f32_e32 v35, v35
	v_cvt_i32_f32_e32 v38, v39
	v_cndmask_b32_e32 v33, 0, v33, vcc
	v_cmp_nlt_f32_e32 vcc, s18, v25
	v_cndmask_b32_e32 v25, v69, v33, vcc
	v_ldexp_f32 v35, v35, v38
	v_cmp_ngt_f32_e32 vcc, s15, v18
	v_cndmask_b32_e32 v35, 0, v35, vcc
	v_cmp_nlt_f32_e32 vcc, s18, v18
	v_cndmask_b32_e32 v35, v69, v35, vcc
	v_cvt_f16_f32_e32 v33, v25
	v_add_f32_e32 v18, v25, v35
	v_mul_f32_e32 v25, 0x3fb8aa3b, v27
	v_cvt_f16_f32_e32 v38, v35
	v_fma_f32 v35, v27, s14, -v25
	v_rndne_f32_e32 v39, v25
	v_fmac_f32_e32 v35, 0x32a5705f, v27
	v_sub_f32_e32 v25, v25, v39
	v_add_f32_e32 v25, v25, v35
	v_exp_f32_e32 v25, v25
	v_cvt_i32_f32_e32 v35, v39
	v_cmp_ngt_f32_e32 vcc, s15, v27
	v_pack_b32_f16 v34, v34, v33
	v_pack_b32_f16 v33, v30, v32
	v_ldexp_f32 v25, v25, v35
	v_mul_f32_e32 v35, 0x3fb8aa3b, v26
	v_fma_f32 v39, v26, s14, -v35
	v_rndne_f32_e32 v40, v35
	v_fmac_f32_e32 v39, 0x32a5705f, v26
	v_sub_f32_e32 v35, v35, v40
	v_add_f32_e32 v35, v35, v39
	v_exp_f32_e32 v35, v35
	v_cvt_i32_f32_e32 v39, v40
	v_cndmask_b32_e32 v25, 0, v25, vcc
	v_cmp_nlt_f32_e32 vcc, s18, v27
	v_cndmask_b32_e32 v25, v69, v25, vcc
	v_ldexp_f32 v35, v35, v39
	v_mul_f32_e32 v39, 0x3fb8aa3b, v19
	v_fma_f32 v40, v19, s14, -v39
	v_rndne_f32_e32 v41, v39
	v_fmac_f32_e32 v40, 0x32a5705f, v19
	v_sub_f32_e32 v39, v39, v41
	v_add_f32_e32 v39, v39, v40
	v_exp_f32_e32 v39, v39
	v_cvt_i32_f32_e32 v40, v41
	v_cmp_ngt_f32_e32 vcc, s15, v26
	v_cndmask_b32_e32 v35, 0, v35, vcc
	v_cmp_nlt_f32_e32 vcc, s18, v26
	v_cndmask_b32_e32 v26, v69, v35, vcc
	v_ldexp_f32 v39, v39, v40
	v_cmp_ngt_f32_e32 vcc, s15, v19
	v_cndmask_b32_e32 v39, 0, v39, vcc
	v_cmp_nlt_f32_e32 vcc, s18, v19
	v_sub_f32_e32 v27, v89, v7
	v_cndmask_b32_e32 v39, v69, v39, vcc
	v_cvt_f16_f32_e32 v35, v26
	v_add_f32_e32 v19, v26, v39
	v_mul_f32_e32 v26, 0x3fb8aa3b, v27
	v_fma_f32 v40, v27, s14, -v26
	v_rndne_f32_e32 v41, v26
	v_fmac_f32_e32 v40, 0x32a5705f, v27
	v_sub_f32_e32 v26, v26, v41
	v_add_f32_e32 v26, v26, v40
	v_exp_f32_e32 v26, v26
	v_cvt_i32_f32_e32 v40, v41
	v_cmp_ngt_f32_e32 vcc, s15, v27
	v_cvt_f16_f32_e32 v39, v39
	v_pack_b32_f16 v32, v9, v28
	v_ldexp_f32 v26, v26, v40
	v_mul_f32_e32 v40, 0x3fb8aa3b, v12
	v_fma_f32 v41, v12, s14, -v40
	v_rndne_f32_e32 v42, v40
	v_fmac_f32_e32 v41, 0x32a5705f, v12
	v_sub_f32_e32 v40, v40, v42
	v_add_f32_e32 v40, v40, v41
	v_exp_f32_e32 v40, v40
	v_cvt_i32_f32_e32 v41, v42
	v_cndmask_b32_e32 v26, 0, v26, vcc
	v_cmp_nlt_f32_e32 vcc, s18, v27
	v_cndmask_b32_e32 v26, v69, v26, vcc
	v_ldexp_f32 v40, v40, v41
	v_mul_f32_e32 v41, 0x3fb8aa3b, v10
	v_fma_f32 v42, v10, s14, -v41
	v_rndne_f32_e32 v43, v41
	v_fmac_f32_e32 v42, 0x32a5705f, v10
	v_sub_f32_e32 v41, v41, v43
	v_add_f32_e32 v41, v41, v42
	v_exp_f32_e32 v41, v41
	v_cvt_i32_f32_e32 v42, v43
	v_cmp_ngt_f32_e32 vcc, s15, v12
	v_cndmask_b32_e32 v40, 0, v40, vcc
	v_cmp_nlt_f32_e32 vcc, s18, v12
	v_cndmask_b32_e32 v12, v69, v40, vcc
	v_ldexp_f32 v41, v41, v42
	v_cmp_ngt_f32_e32 vcc, s15, v10
	v_sub_f32_e32 v27, v87, v8
	v_cndmask_b32_e32 v41, 0, v41, vcc
	v_cmp_nlt_f32_e32 vcc, s18, v10
	v_cndmask_b32_e32 v10, v69, v41, vcc
	v_mul_f32_e32 v41, 0x3fb8aa3b, v27
	v_fma_f32 v42, v27, s14, -v41
	v_rndne_f32_e32 v43, v41
	v_fmac_f32_e32 v42, 0x32a5705f, v27
	v_sub_f32_e32 v41, v41, v43
	v_add_f32_e32 v41, v41, v42
	v_exp_f32_e32 v41, v41
	v_cvt_i32_f32_e32 v42, v43
	v_cvt_f16_f32_e32 v40, v12
	v_add_f32_e32 v12, v12, v10
	v_cvt_f16_f32_e32 v10, v10
	v_ldexp_f32 v41, v41, v42
	v_cmp_ngt_f32_e32 vcc, s15, v27
	v_cndmask_b32_e32 v41, 0, v41, vcc
	v_cmp_nlt_f32_e32 vcc, s18, v27
	v_pack_b32_f16 v35, v35, v40
	v_cndmask_b32_e32 v27, v69, v41, vcc
	ds_write_b128 v70, v[32:35]
	v_pack_b32_f16 v33, v39, v10
	v_add_co_u32_e32 v9, vcc, s26, v61
	v_mov_b32_e32 v10, s24
	v_addc_co_u32_e32 v10, vcc, v10, v62, vcc
	v_add_co_u32_e32 v9, vcc, v9, v67
	v_pack_b32_f16 v32, v37, v38
	v_pack_b32_f16 v30, v11, v29
	v_addc_co_u32_e32 v10, vcc, 0, v10, vcc
	ds_write_b128 v70, v[30:33] offset:512
	global_load_dwordx4 v[28:31], v[9:10], off
	v_mov_b32_e32 v41, v52
	buffer_load_dword v9, off, s[40:43], 0 offset:16 ; 4-byte Folded Reload
	v_mov_b32_e32 v52, v12
	v_cvt_f16_f32_e32 v12, v27
	v_fmac_f32_e32 v52, v41, v27
	v_add_co_u32_e32 v11, vcc, s26, v75
	v_mul_u32_u24_e32 v12, 0x10001, v12
	v_pk_mul_f16 v27, v78, v12
	v_mov_b32_e32 v12, s24
	v_addc_co_u32_e32 v12, vcc, v12, v76, vcc
	v_add_co_u32_e32 v11, vcc, v11, v67
	v_addc_co_u32_e32 v12, vcc, 0, v12, vcc
	v_fmac_f32_e32 v17, v90, v24
	v_cvt_f16_f32_e32 v24, v24
	v_fmac_f32_e32 v18, v88, v25
	v_cvt_f16_f32_e32 v25, v25
	v_fmac_f32_e32 v19, v86, v26
	v_mul_u32_u24_e32 v24, 0x10001, v24
	v_cvt_f16_f32_e32 v26, v26
	v_mul_u32_u24_e32 v25, 0x10001, v25
	v_pk_mul_f16 v24, v81, v24
	v_pk_mul_f16 v25, v80, v25
	v_mul_u32_u24_e32 v26, 0x10001, v26
	v_pk_mul_f16 v26, v79, v26
	s_waitcnt vmcnt(0)
	ds_write_b128 v9, v[28:31]
	global_load_dwordx4 v[9:12], v[11:12], off
	s_nop 0
	buffer_load_dword v28, off, s[40:43], 0 offset:20 ; 4-byte Folded Reload
	s_waitcnt vmcnt(0)
	ds_write_b128 v28, v[9:12]
	s_waitcnt lgkmcnt(0)
	s_barrier
	ds_read2_b32 v[40:41], v60 offset1:32
	ds_read_b128 v[9:12], v64
	ds_read_b128 v[28:31], v64 offset:16
	ds_read_b128 v[32:35], v64 offset:32
	;; [unrolled: 1-line block ×3, first 2 shown]
	s_waitcnt lgkmcnt(3)
	v_mul_u32_u24_sdwa v42, v9, s19 dst_sel:DWORD dst_unused:UNUSED_PAD src0_sel:WORD_0 src1_sel:DWORD
	v_mul_u32_u24_sdwa v9, v9, s19 dst_sel:DWORD dst_unused:UNUSED_PAD src0_sel:WORD_1 src1_sel:DWORD
	v_mul_u32_u24_sdwa v43, v10, s19 dst_sel:DWORD dst_unused:UNUSED_PAD src0_sel:WORD_0 src1_sel:DWORD
	v_mul_u32_u24_sdwa v10, v10, s19 dst_sel:DWORD dst_unused:UNUSED_PAD src0_sel:WORD_1 src1_sel:DWORD
	;; [unrolled: 2-line block ×4, first 2 shown]
	v_pk_fma_f16 v20, v40, v42, v20
	v_pk_fma_f16 v9, v40, v9, v21
	;; [unrolled: 1-line block ×7, first 2 shown]
	s_waitcnt lgkmcnt(2)
	v_mul_u32_u24_sdwa v24, v28, s19 dst_sel:DWORD dst_unused:UNUSED_PAD src0_sel:WORD_0 src1_sel:DWORD
	v_mul_u32_u24_sdwa v25, v28, s19 dst_sel:DWORD dst_unused:UNUSED_PAD src0_sel:WORD_1 src1_sel:DWORD
	v_mul_u32_u24_sdwa v27, v29, s19 dst_sel:DWORD dst_unused:UNUSED_PAD src0_sel:WORD_1 src1_sel:DWORD
	v_pk_fma_f16 v20, v41, v24, v20
	v_pk_fma_f16 v24, v41, v25, v9
	;; [unrolled: 1-line block ×3, first 2 shown]
	ds_read2_b32 v[9:10], v60 offset0:64 offset1:96
	v_pk_fma_f16 v23, v40, v45, v26
	v_mul_u32_u24_sdwa v26, v29, s19 dst_sel:DWORD dst_unused:UNUSED_PAD src0_sel:WORD_0 src1_sel:DWORD
	v_mul_u32_u24_sdwa v28, v30, s19 dst_sel:DWORD dst_unused:UNUSED_PAD src0_sel:WORD_0 src1_sel:DWORD
	v_mul_u32_u24_sdwa v29, v30, s19 dst_sel:DWORD dst_unused:UNUSED_PAD src0_sel:WORD_1 src1_sel:DWORD
	v_mul_u32_u24_sdwa v30, v31, s19 dst_sel:DWORD dst_unused:UNUSED_PAD src0_sel:WORD_0 src1_sel:DWORD
	v_mul_u32_u24_sdwa v31, v31, s19 dst_sel:DWORD dst_unused:UNUSED_PAD src0_sel:WORD_1 src1_sel:DWORD
	v_pk_fma_f16 v21, v41, v26, v21
	v_pk_fma_f16 v22, v41, v28, v22
	;; [unrolled: 1-line block ×5, first 2 shown]
	s_waitcnt lgkmcnt(2)
	v_mul_u32_u24_sdwa v26, v32, s19 dst_sel:DWORD dst_unused:UNUSED_PAD src0_sel:WORD_0 src1_sel:DWORD
	v_mul_u32_u24_sdwa v27, v32, s19 dst_sel:DWORD dst_unused:UNUSED_PAD src0_sel:WORD_1 src1_sel:DWORD
	v_mul_u32_u24_sdwa v28, v33, s19 dst_sel:DWORD dst_unused:UNUSED_PAD src0_sel:WORD_0 src1_sel:DWORD
	v_mul_u32_u24_sdwa v29, v33, s19 dst_sel:DWORD dst_unused:UNUSED_PAD src0_sel:WORD_1 src1_sel:DWORD
	;; [unrolled: 2-line block ×4, first 2 shown]
	s_waitcnt lgkmcnt(0)
	v_pk_fma_f16 v20, v9, v26, v20
	v_pk_fma_f16 v24, v9, v27, v24
	;; [unrolled: 1-line block ×8, first 2 shown]
	v_mul_u32_u24_sdwa v12, v36, s19 dst_sel:DWORD dst_unused:UNUSED_PAD src0_sel:WORD_0 src1_sel:DWORD
	v_mul_u32_u24_sdwa v26, v36, s19 dst_sel:DWORD dst_unused:UNUSED_PAD src0_sel:WORD_1 src1_sel:DWORD
	v_mul_u32_u24_sdwa v27, v37, s19 dst_sel:DWORD dst_unused:UNUSED_PAD src0_sel:WORD_0 src1_sel:DWORD
	v_mul_u32_u24_sdwa v28, v37, s19 dst_sel:DWORD dst_unused:UNUSED_PAD src0_sel:WORD_1 src1_sel:DWORD
	;; [unrolled: 2-line block ×4, first 2 shown]
	v_pk_fma_f16 v33, v10, v12, v20
	v_pk_fma_f16 v24, v10, v26, v24
	;; [unrolled: 1-line block ×8, first 2 shown]
	ds_read2_b32 v[20:21], v60 offset0:128 offset1:160
	ds_read_b128 v[9:12], v64 offset:64
	v_add_u32_e32 v34, 0x400, v60
	s_waitcnt lgkmcnt(0)
	v_mul_u32_u24_sdwa v29, v9, s19 dst_sel:DWORD dst_unused:UNUSED_PAD src0_sel:WORD_0 src1_sel:DWORD
	v_mul_u32_u24_sdwa v9, v9, s19 dst_sel:DWORD dst_unused:UNUSED_PAD src0_sel:WORD_1 src1_sel:DWORD
	v_mul_u32_u24_sdwa v30, v10, s19 dst_sel:DWORD dst_unused:UNUSED_PAD src0_sel:WORD_0 src1_sel:DWORD
	v_mul_u32_u24_sdwa v10, v10, s19 dst_sel:DWORD dst_unused:UNUSED_PAD src0_sel:WORD_1 src1_sel:DWORD
	;; [unrolled: 2-line block ×4, first 2 shown]
	v_pk_fma_f16 v29, v20, v29, v33
	v_pk_fma_f16 v24, v20, v9, v24
	;; [unrolled: 1-line block ×8, first 2 shown]
	ds_read_b128 v[9:12], v64 offset:80
	s_waitcnt lgkmcnt(0)
	v_mul_u32_u24_sdwa v28, v9, s19 dst_sel:DWORD dst_unused:UNUSED_PAD src0_sel:WORD_0 src1_sel:DWORD
	v_mul_u32_u24_sdwa v9, v9, s19 dst_sel:DWORD dst_unused:UNUSED_PAD src0_sel:WORD_1 src1_sel:DWORD
	v_mul_u32_u24_sdwa v30, v10, s19 dst_sel:DWORD dst_unused:UNUSED_PAD src0_sel:WORD_0 src1_sel:DWORD
	v_mul_u32_u24_sdwa v10, v10, s19 dst_sel:DWORD dst_unused:UNUSED_PAD src0_sel:WORD_1 src1_sel:DWORD
	;; [unrolled: 2-line block ×4, first 2 shown]
	v_pk_fma_f16 v28, v21, v28, v29
	v_pk_fma_f16 v24, v21, v9, v24
	;; [unrolled: 1-line block ×8, first 2 shown]
	ds_read2_b32 v[20:21], v60 offset0:192 offset1:224
	ds_read_b128 v[9:12], v64 offset:96
	s_waitcnt lgkmcnt(0)
	v_mul_u32_u24_sdwa v30, v9, s19 dst_sel:DWORD dst_unused:UNUSED_PAD src0_sel:WORD_0 src1_sel:DWORD
	v_mul_u32_u24_sdwa v9, v9, s19 dst_sel:DWORD dst_unused:UNUSED_PAD src0_sel:WORD_1 src1_sel:DWORD
	v_mul_u32_u24_sdwa v31, v10, s19 dst_sel:DWORD dst_unused:UNUSED_PAD src0_sel:WORD_0 src1_sel:DWORD
	v_mul_u32_u24_sdwa v10, v10, s19 dst_sel:DWORD dst_unused:UNUSED_PAD src0_sel:WORD_1 src1_sel:DWORD
	;; [unrolled: 2-line block ×4, first 2 shown]
	v_pk_fma_f16 v28, v20, v30, v28
	v_pk_fma_f16 v24, v20, v9, v24
	;; [unrolled: 1-line block ×8, first 2 shown]
	ds_read_b128 v[9:12], v64 offset:112
	s_waitcnt lgkmcnt(0)
	v_mul_u32_u24_sdwa v29, v9, s19 dst_sel:DWORD dst_unused:UNUSED_PAD src0_sel:WORD_0 src1_sel:DWORD
	v_mul_u32_u24_sdwa v9, v9, s19 dst_sel:DWORD dst_unused:UNUSED_PAD src0_sel:WORD_1 src1_sel:DWORD
	v_mul_u32_u24_sdwa v30, v10, s19 dst_sel:DWORD dst_unused:UNUSED_PAD src0_sel:WORD_0 src1_sel:DWORD
	v_mul_u32_u24_sdwa v10, v10, s19 dst_sel:DWORD dst_unused:UNUSED_PAD src0_sel:WORD_1 src1_sel:DWORD
	;; [unrolled: 2-line block ×4, first 2 shown]
	v_pk_fma_f16 v28, v21, v29, v28
	v_pk_fma_f16 v24, v21, v9, v24
	;; [unrolled: 1-line block ×8, first 2 shown]
	ds_read2_b32 v[20:21], v34 offset1:32
	ds_read_b128 v[9:12], v64 offset:128
	s_waitcnt lgkmcnt(0)
	v_mul_u32_u24_sdwa v30, v9, s19 dst_sel:DWORD dst_unused:UNUSED_PAD src0_sel:WORD_0 src1_sel:DWORD
	v_mul_u32_u24_sdwa v9, v9, s19 dst_sel:DWORD dst_unused:UNUSED_PAD src0_sel:WORD_1 src1_sel:DWORD
	v_mul_u32_u24_sdwa v31, v10, s19 dst_sel:DWORD dst_unused:UNUSED_PAD src0_sel:WORD_0 src1_sel:DWORD
	v_mul_u32_u24_sdwa v10, v10, s19 dst_sel:DWORD dst_unused:UNUSED_PAD src0_sel:WORD_1 src1_sel:DWORD
	v_mul_u32_u24_sdwa v32, v11, s19 dst_sel:DWORD dst_unused:UNUSED_PAD src0_sel:WORD_0 src1_sel:DWORD
	v_mul_u32_u24_sdwa v11, v11, s19 dst_sel:DWORD dst_unused:UNUSED_PAD src0_sel:WORD_1 src1_sel:DWORD
	v_mul_u32_u24_sdwa v33, v12, s19 dst_sel:DWORD dst_unused:UNUSED_PAD src0_sel:WORD_0 src1_sel:DWORD
	v_mul_u32_u24_sdwa v12, v12, s19 dst_sel:DWORD dst_unused:UNUSED_PAD src0_sel:WORD_1 src1_sel:DWORD
	v_pk_fma_f16 v28, v20, v30, v28
	v_pk_fma_f16 v24, v20, v9, v24
	v_pk_fma_f16 v26, v20, v31, v26
	v_pk_fma_f16 v25, v20, v10, v25
	v_pk_fma_f16 v22, v20, v32, v22
	v_pk_fma_f16 v27, v20, v11, v27
	v_pk_fma_f16 v23, v20, v33, v23
	v_pk_fma_f16 v20, v20, v12, v29
	ds_read_b128 v[9:12], v64 offset:144
	s_waitcnt lgkmcnt(0)
	v_mul_u32_u24_sdwa v29, v9, s19 dst_sel:DWORD dst_unused:UNUSED_PAD src0_sel:WORD_0 src1_sel:DWORD
	v_mul_u32_u24_sdwa v9, v9, s19 dst_sel:DWORD dst_unused:UNUSED_PAD src0_sel:WORD_1 src1_sel:DWORD
	v_mul_u32_u24_sdwa v30, v10, s19 dst_sel:DWORD dst_unused:UNUSED_PAD src0_sel:WORD_0 src1_sel:DWORD
	v_mul_u32_u24_sdwa v10, v10, s19 dst_sel:DWORD dst_unused:UNUSED_PAD src0_sel:WORD_1 src1_sel:DWORD
	v_mul_u32_u24_sdwa v31, v11, s19 dst_sel:DWORD dst_unused:UNUSED_PAD src0_sel:WORD_0 src1_sel:DWORD
	v_mul_u32_u24_sdwa v11, v11, s19 dst_sel:DWORD dst_unused:UNUSED_PAD src0_sel:WORD_1 src1_sel:DWORD
	v_mul_u32_u24_sdwa v32, v12, s19 dst_sel:DWORD dst_unused:UNUSED_PAD src0_sel:WORD_0 src1_sel:DWORD
	v_mul_u32_u24_sdwa v12, v12, s19 dst_sel:DWORD dst_unused:UNUSED_PAD src0_sel:WORD_1 src1_sel:DWORD
	v_pk_fma_f16 v28, v21, v29, v28
	v_pk_fma_f16 v24, v21, v9, v24
	v_pk_fma_f16 v26, v21, v30, v26
	v_pk_fma_f16 v25, v21, v10, v25
	v_pk_fma_f16 v22, v21, v31, v22
	v_pk_fma_f16 v27, v21, v11, v27
	v_pk_fma_f16 v23, v21, v32, v23
	v_pk_fma_f16 v29, v21, v12, v20
	ds_read2_b32 v[20:21], v34 offset0:64 offset1:96
	ds_read_b128 v[9:12], v64 offset:160
	s_waitcnt lgkmcnt(0)
	v_mul_u32_u24_sdwa v30, v9, s19 dst_sel:DWORD dst_unused:UNUSED_PAD src0_sel:WORD_0 src1_sel:DWORD
	v_mul_u32_u24_sdwa v9, v9, s19 dst_sel:DWORD dst_unused:UNUSED_PAD src0_sel:WORD_1 src1_sel:DWORD
	v_mul_u32_u24_sdwa v31, v10, s19 dst_sel:DWORD dst_unused:UNUSED_PAD src0_sel:WORD_0 src1_sel:DWORD
	v_mul_u32_u24_sdwa v10, v10, s19 dst_sel:DWORD dst_unused:UNUSED_PAD src0_sel:WORD_1 src1_sel:DWORD
	v_mul_u32_u24_sdwa v32, v11, s19 dst_sel:DWORD dst_unused:UNUSED_PAD src0_sel:WORD_0 src1_sel:DWORD
	v_mul_u32_u24_sdwa v11, v11, s19 dst_sel:DWORD dst_unused:UNUSED_PAD src0_sel:WORD_1 src1_sel:DWORD
	v_mul_u32_u24_sdwa v33, v12, s19 dst_sel:DWORD dst_unused:UNUSED_PAD src0_sel:WORD_0 src1_sel:DWORD
	v_mul_u32_u24_sdwa v12, v12, s19 dst_sel:DWORD dst_unused:UNUSED_PAD src0_sel:WORD_1 src1_sel:DWORD
	v_pk_fma_f16 v28, v20, v30, v28
	v_pk_fma_f16 v24, v20, v9, v24
	v_pk_fma_f16 v26, v20, v31, v26
	v_pk_fma_f16 v25, v20, v10, v25
	v_pk_fma_f16 v22, v20, v32, v22
	v_pk_fma_f16 v27, v20, v11, v27
	v_pk_fma_f16 v23, v20, v33, v23
	v_pk_fma_f16 v20, v20, v12, v29
	ds_read_b128 v[9:12], v64 offset:176
	s_waitcnt lgkmcnt(0)
	v_mul_u32_u24_sdwa v29, v9, s19 dst_sel:DWORD dst_unused:UNUSED_PAD src0_sel:WORD_0 src1_sel:DWORD
	v_mul_u32_u24_sdwa v9, v9, s19 dst_sel:DWORD dst_unused:UNUSED_PAD src0_sel:WORD_1 src1_sel:DWORD
	v_mul_u32_u24_sdwa v30, v10, s19 dst_sel:DWORD dst_unused:UNUSED_PAD src0_sel:WORD_0 src1_sel:DWORD
	v_mul_u32_u24_sdwa v10, v10, s19 dst_sel:DWORD dst_unused:UNUSED_PAD src0_sel:WORD_1 src1_sel:DWORD
	v_mul_u32_u24_sdwa v31, v11, s19 dst_sel:DWORD dst_unused:UNUSED_PAD src0_sel:WORD_0 src1_sel:DWORD
	v_mul_u32_u24_sdwa v11, v11, s19 dst_sel:DWORD dst_unused:UNUSED_PAD src0_sel:WORD_1 src1_sel:DWORD
	v_mul_u32_u24_sdwa v32, v12, s19 dst_sel:DWORD dst_unused:UNUSED_PAD src0_sel:WORD_0 src1_sel:DWORD
	v_mul_u32_u24_sdwa v12, v12, s19 dst_sel:DWORD dst_unused:UNUSED_PAD src0_sel:WORD_1 src1_sel:DWORD
	v_pk_fma_f16 v28, v21, v29, v28
	v_pk_fma_f16 v24, v21, v9, v24
	v_pk_fma_f16 v26, v21, v30, v26
	v_pk_fma_f16 v25, v21, v10, v25
	v_pk_fma_f16 v22, v21, v31, v22
	v_pk_fma_f16 v27, v21, v11, v27
	v_pk_fma_f16 v23, v21, v32, v23
	v_pk_fma_f16 v29, v21, v12, v20
	ds_read2_b32 v[20:21], v34 offset0:128 offset1:160
	;; [unrolled: 37-line block ×3, first 2 shown]
	ds_read_b128 v[9:12], v64 offset:224
	v_add_u32_e32 v34, 0x800, v60
	s_waitcnt lgkmcnt(0)
	v_mul_u32_u24_sdwa v30, v9, s19 dst_sel:DWORD dst_unused:UNUSED_PAD src0_sel:WORD_0 src1_sel:DWORD
	v_mul_u32_u24_sdwa v9, v9, s19 dst_sel:DWORD dst_unused:UNUSED_PAD src0_sel:WORD_1 src1_sel:DWORD
	v_mul_u32_u24_sdwa v31, v10, s19 dst_sel:DWORD dst_unused:UNUSED_PAD src0_sel:WORD_0 src1_sel:DWORD
	v_mul_u32_u24_sdwa v10, v10, s19 dst_sel:DWORD dst_unused:UNUSED_PAD src0_sel:WORD_1 src1_sel:DWORD
	;; [unrolled: 2-line block ×4, first 2 shown]
	v_pk_fma_f16 v28, v20, v30, v28
	v_pk_fma_f16 v24, v20, v9, v24
	;; [unrolled: 1-line block ×8, first 2 shown]
	ds_read_b128 v[9:12], v64 offset:240
	s_waitcnt lgkmcnt(0)
	v_mul_u32_u24_sdwa v29, v9, s19 dst_sel:DWORD dst_unused:UNUSED_PAD src0_sel:WORD_0 src1_sel:DWORD
	v_mul_u32_u24_sdwa v9, v9, s19 dst_sel:DWORD dst_unused:UNUSED_PAD src0_sel:WORD_1 src1_sel:DWORD
	v_mul_u32_u24_sdwa v30, v10, s19 dst_sel:DWORD dst_unused:UNUSED_PAD src0_sel:WORD_0 src1_sel:DWORD
	v_mul_u32_u24_sdwa v10, v10, s19 dst_sel:DWORD dst_unused:UNUSED_PAD src0_sel:WORD_1 src1_sel:DWORD
	;; [unrolled: 2-line block ×4, first 2 shown]
	v_pk_fma_f16 v28, v21, v29, v28
	v_pk_fma_f16 v24, v21, v9, v24
	;; [unrolled: 1-line block ×8, first 2 shown]
	ds_read2_b32 v[20:21], v34 offset1:32
	ds_read_b128 v[9:12], v64 offset:256
	s_waitcnt lgkmcnt(0)
	v_mul_u32_u24_sdwa v30, v9, s19 dst_sel:DWORD dst_unused:UNUSED_PAD src0_sel:WORD_0 src1_sel:DWORD
	v_mul_u32_u24_sdwa v9, v9, s19 dst_sel:DWORD dst_unused:UNUSED_PAD src0_sel:WORD_1 src1_sel:DWORD
	v_mul_u32_u24_sdwa v31, v10, s19 dst_sel:DWORD dst_unused:UNUSED_PAD src0_sel:WORD_0 src1_sel:DWORD
	v_mul_u32_u24_sdwa v10, v10, s19 dst_sel:DWORD dst_unused:UNUSED_PAD src0_sel:WORD_1 src1_sel:DWORD
	v_mul_u32_u24_sdwa v32, v11, s19 dst_sel:DWORD dst_unused:UNUSED_PAD src0_sel:WORD_0 src1_sel:DWORD
	v_mul_u32_u24_sdwa v11, v11, s19 dst_sel:DWORD dst_unused:UNUSED_PAD src0_sel:WORD_1 src1_sel:DWORD
	v_mul_u32_u24_sdwa v33, v12, s19 dst_sel:DWORD dst_unused:UNUSED_PAD src0_sel:WORD_0 src1_sel:DWORD
	v_mul_u32_u24_sdwa v12, v12, s19 dst_sel:DWORD dst_unused:UNUSED_PAD src0_sel:WORD_1 src1_sel:DWORD
	v_pk_fma_f16 v28, v20, v30, v28
	v_pk_fma_f16 v24, v20, v9, v24
	v_pk_fma_f16 v26, v20, v31, v26
	v_pk_fma_f16 v25, v20, v10, v25
	v_pk_fma_f16 v22, v20, v32, v22
	v_pk_fma_f16 v27, v20, v11, v27
	v_pk_fma_f16 v23, v20, v33, v23
	v_pk_fma_f16 v20, v20, v12, v29
	ds_read_b128 v[9:12], v64 offset:272
	s_waitcnt lgkmcnt(0)
	v_mul_u32_u24_sdwa v29, v9, s19 dst_sel:DWORD dst_unused:UNUSED_PAD src0_sel:WORD_0 src1_sel:DWORD
	v_mul_u32_u24_sdwa v9, v9, s19 dst_sel:DWORD dst_unused:UNUSED_PAD src0_sel:WORD_1 src1_sel:DWORD
	v_mul_u32_u24_sdwa v30, v10, s19 dst_sel:DWORD dst_unused:UNUSED_PAD src0_sel:WORD_0 src1_sel:DWORD
	v_mul_u32_u24_sdwa v10, v10, s19 dst_sel:DWORD dst_unused:UNUSED_PAD src0_sel:WORD_1 src1_sel:DWORD
	v_mul_u32_u24_sdwa v31, v11, s19 dst_sel:DWORD dst_unused:UNUSED_PAD src0_sel:WORD_0 src1_sel:DWORD
	v_mul_u32_u24_sdwa v11, v11, s19 dst_sel:DWORD dst_unused:UNUSED_PAD src0_sel:WORD_1 src1_sel:DWORD
	v_mul_u32_u24_sdwa v32, v12, s19 dst_sel:DWORD dst_unused:UNUSED_PAD src0_sel:WORD_0 src1_sel:DWORD
	v_mul_u32_u24_sdwa v12, v12, s19 dst_sel:DWORD dst_unused:UNUSED_PAD src0_sel:WORD_1 src1_sel:DWORD
	v_pk_fma_f16 v28, v21, v29, v28
	v_pk_fma_f16 v24, v21, v9, v24
	v_pk_fma_f16 v26, v21, v30, v26
	v_pk_fma_f16 v25, v21, v10, v25
	v_pk_fma_f16 v22, v21, v31, v22
	v_pk_fma_f16 v27, v21, v11, v27
	v_pk_fma_f16 v23, v21, v32, v23
	v_pk_fma_f16 v29, v21, v12, v20
	ds_read2_b32 v[20:21], v34 offset0:64 offset1:96
	ds_read_b128 v[9:12], v64 offset:288
	s_waitcnt lgkmcnt(0)
	v_mul_u32_u24_sdwa v30, v9, s19 dst_sel:DWORD dst_unused:UNUSED_PAD src0_sel:WORD_0 src1_sel:DWORD
	v_mul_u32_u24_sdwa v9, v9, s19 dst_sel:DWORD dst_unused:UNUSED_PAD src0_sel:WORD_1 src1_sel:DWORD
	v_mul_u32_u24_sdwa v31, v10, s19 dst_sel:DWORD dst_unused:UNUSED_PAD src0_sel:WORD_0 src1_sel:DWORD
	v_mul_u32_u24_sdwa v10, v10, s19 dst_sel:DWORD dst_unused:UNUSED_PAD src0_sel:WORD_1 src1_sel:DWORD
	v_mul_u32_u24_sdwa v32, v11, s19 dst_sel:DWORD dst_unused:UNUSED_PAD src0_sel:WORD_0 src1_sel:DWORD
	v_mul_u32_u24_sdwa v11, v11, s19 dst_sel:DWORD dst_unused:UNUSED_PAD src0_sel:WORD_1 src1_sel:DWORD
	v_mul_u32_u24_sdwa v33, v12, s19 dst_sel:DWORD dst_unused:UNUSED_PAD src0_sel:WORD_0 src1_sel:DWORD
	v_mul_u32_u24_sdwa v12, v12, s19 dst_sel:DWORD dst_unused:UNUSED_PAD src0_sel:WORD_1 src1_sel:DWORD
	v_pk_fma_f16 v28, v20, v30, v28
	v_pk_fma_f16 v24, v20, v9, v24
	v_pk_fma_f16 v26, v20, v31, v26
	v_pk_fma_f16 v25, v20, v10, v25
	v_pk_fma_f16 v22, v20, v32, v22
	v_pk_fma_f16 v27, v20, v11, v27
	v_pk_fma_f16 v23, v20, v33, v23
	v_pk_fma_f16 v20, v20, v12, v29
	ds_read_b128 v[9:12], v64 offset:304
	s_waitcnt lgkmcnt(0)
	v_mul_u32_u24_sdwa v29, v9, s19 dst_sel:DWORD dst_unused:UNUSED_PAD src0_sel:WORD_0 src1_sel:DWORD
	v_mul_u32_u24_sdwa v9, v9, s19 dst_sel:DWORD dst_unused:UNUSED_PAD src0_sel:WORD_1 src1_sel:DWORD
	v_mul_u32_u24_sdwa v30, v10, s19 dst_sel:DWORD dst_unused:UNUSED_PAD src0_sel:WORD_0 src1_sel:DWORD
	v_mul_u32_u24_sdwa v10, v10, s19 dst_sel:DWORD dst_unused:UNUSED_PAD src0_sel:WORD_1 src1_sel:DWORD
	v_mul_u32_u24_sdwa v31, v11, s19 dst_sel:DWORD dst_unused:UNUSED_PAD src0_sel:WORD_0 src1_sel:DWORD
	v_mul_u32_u24_sdwa v11, v11, s19 dst_sel:DWORD dst_unused:UNUSED_PAD src0_sel:WORD_1 src1_sel:DWORD
	v_mul_u32_u24_sdwa v32, v12, s19 dst_sel:DWORD dst_unused:UNUSED_PAD src0_sel:WORD_0 src1_sel:DWORD
	v_mul_u32_u24_sdwa v12, v12, s19 dst_sel:DWORD dst_unused:UNUSED_PAD src0_sel:WORD_1 src1_sel:DWORD
	v_pk_fma_f16 v28, v21, v29, v28
	v_pk_fma_f16 v24, v21, v9, v24
	v_pk_fma_f16 v26, v21, v30, v26
	v_pk_fma_f16 v25, v21, v10, v25
	v_pk_fma_f16 v22, v21, v31, v22
	v_pk_fma_f16 v27, v21, v11, v27
	v_pk_fma_f16 v23, v21, v32, v23
	v_pk_fma_f16 v29, v21, v12, v20
	ds_read2_b32 v[20:21], v34 offset0:128 offset1:160
	;; [unrolled: 37-line block ×3, first 2 shown]
	ds_read_b128 v[9:12], v64 offset:352
	s_waitcnt lgkmcnt(0)
	v_mul_u32_u24_sdwa v30, v9, s19 dst_sel:DWORD dst_unused:UNUSED_PAD src0_sel:WORD_0 src1_sel:DWORD
	v_mul_u32_u24_sdwa v9, v9, s19 dst_sel:DWORD dst_unused:UNUSED_PAD src0_sel:WORD_1 src1_sel:DWORD
	v_mul_u32_u24_sdwa v31, v10, s19 dst_sel:DWORD dst_unused:UNUSED_PAD src0_sel:WORD_0 src1_sel:DWORD
	v_mul_u32_u24_sdwa v10, v10, s19 dst_sel:DWORD dst_unused:UNUSED_PAD src0_sel:WORD_1 src1_sel:DWORD
	;; [unrolled: 2-line block ×4, first 2 shown]
	v_pk_fma_f16 v28, v20, v30, v28
	v_pk_fma_f16 v24, v20, v9, v24
	;; [unrolled: 1-line block ×8, first 2 shown]
	ds_read_b128 v[9:12], v64 offset:368
	s_waitcnt lgkmcnt(0)
	v_mul_u32_u24_sdwa v29, v9, s19 dst_sel:DWORD dst_unused:UNUSED_PAD src0_sel:WORD_0 src1_sel:DWORD
	v_mul_u32_u24_sdwa v9, v9, s19 dst_sel:DWORD dst_unused:UNUSED_PAD src0_sel:WORD_1 src1_sel:DWORD
	v_mul_u32_u24_sdwa v30, v10, s19 dst_sel:DWORD dst_unused:UNUSED_PAD src0_sel:WORD_0 src1_sel:DWORD
	v_mul_u32_u24_sdwa v10, v10, s19 dst_sel:DWORD dst_unused:UNUSED_PAD src0_sel:WORD_1 src1_sel:DWORD
	;; [unrolled: 2-line block ×4, first 2 shown]
	v_pk_fma_f16 v28, v21, v29, v28
	v_pk_fma_f16 v24, v21, v9, v24
	;; [unrolled: 1-line block ×8, first 2 shown]
	ds_read2_b32 v[20:21], v50 offset1:32
	ds_read_b128 v[9:12], v64 offset:384
	s_waitcnt lgkmcnt(0)
	v_mul_u32_u24_sdwa v30, v9, s19 dst_sel:DWORD dst_unused:UNUSED_PAD src0_sel:WORD_0 src1_sel:DWORD
	v_mul_u32_u24_sdwa v9, v9, s19 dst_sel:DWORD dst_unused:UNUSED_PAD src0_sel:WORD_1 src1_sel:DWORD
	v_mul_u32_u24_sdwa v31, v10, s19 dst_sel:DWORD dst_unused:UNUSED_PAD src0_sel:WORD_0 src1_sel:DWORD
	v_mul_u32_u24_sdwa v10, v10, s19 dst_sel:DWORD dst_unused:UNUSED_PAD src0_sel:WORD_1 src1_sel:DWORD
	v_mul_u32_u24_sdwa v32, v11, s19 dst_sel:DWORD dst_unused:UNUSED_PAD src0_sel:WORD_0 src1_sel:DWORD
	v_mul_u32_u24_sdwa v11, v11, s19 dst_sel:DWORD dst_unused:UNUSED_PAD src0_sel:WORD_1 src1_sel:DWORD
	v_mul_u32_u24_sdwa v33, v12, s19 dst_sel:DWORD dst_unused:UNUSED_PAD src0_sel:WORD_0 src1_sel:DWORD
	v_mul_u32_u24_sdwa v12, v12, s19 dst_sel:DWORD dst_unused:UNUSED_PAD src0_sel:WORD_1 src1_sel:DWORD
	v_pk_fma_f16 v28, v20, v30, v28
	v_pk_fma_f16 v24, v20, v9, v24
	v_pk_fma_f16 v26, v20, v31, v26
	v_pk_fma_f16 v25, v20, v10, v25
	v_pk_fma_f16 v22, v20, v32, v22
	v_pk_fma_f16 v27, v20, v11, v27
	v_pk_fma_f16 v23, v20, v33, v23
	v_pk_fma_f16 v20, v20, v12, v29
	ds_read_b128 v[9:12], v64 offset:400
	s_waitcnt lgkmcnt(0)
	v_mul_u32_u24_sdwa v29, v9, s19 dst_sel:DWORD dst_unused:UNUSED_PAD src0_sel:WORD_0 src1_sel:DWORD
	v_mul_u32_u24_sdwa v9, v9, s19 dst_sel:DWORD dst_unused:UNUSED_PAD src0_sel:WORD_1 src1_sel:DWORD
	v_mul_u32_u24_sdwa v30, v10, s19 dst_sel:DWORD dst_unused:UNUSED_PAD src0_sel:WORD_0 src1_sel:DWORD
	v_mul_u32_u24_sdwa v10, v10, s19 dst_sel:DWORD dst_unused:UNUSED_PAD src0_sel:WORD_1 src1_sel:DWORD
	v_mul_u32_u24_sdwa v31, v11, s19 dst_sel:DWORD dst_unused:UNUSED_PAD src0_sel:WORD_0 src1_sel:DWORD
	v_mul_u32_u24_sdwa v11, v11, s19 dst_sel:DWORD dst_unused:UNUSED_PAD src0_sel:WORD_1 src1_sel:DWORD
	v_mul_u32_u24_sdwa v32, v12, s19 dst_sel:DWORD dst_unused:UNUSED_PAD src0_sel:WORD_0 src1_sel:DWORD
	v_mul_u32_u24_sdwa v12, v12, s19 dst_sel:DWORD dst_unused:UNUSED_PAD src0_sel:WORD_1 src1_sel:DWORD
	v_pk_fma_f16 v28, v21, v29, v28
	v_pk_fma_f16 v24, v21, v9, v24
	v_pk_fma_f16 v26, v21, v30, v26
	v_pk_fma_f16 v25, v21, v10, v25
	v_pk_fma_f16 v22, v21, v31, v22
	v_pk_fma_f16 v27, v21, v11, v27
	v_pk_fma_f16 v23, v21, v32, v23
	v_pk_fma_f16 v29, v21, v12, v20
	ds_read2_b32 v[20:21], v50 offset0:64 offset1:96
	ds_read_b128 v[9:12], v64 offset:416
	s_waitcnt lgkmcnt(0)
	v_mul_u32_u24_sdwa v30, v9, s19 dst_sel:DWORD dst_unused:UNUSED_PAD src0_sel:WORD_0 src1_sel:DWORD
	v_mul_u32_u24_sdwa v9, v9, s19 dst_sel:DWORD dst_unused:UNUSED_PAD src0_sel:WORD_1 src1_sel:DWORD
	v_mul_u32_u24_sdwa v31, v10, s19 dst_sel:DWORD dst_unused:UNUSED_PAD src0_sel:WORD_0 src1_sel:DWORD
	v_mul_u32_u24_sdwa v10, v10, s19 dst_sel:DWORD dst_unused:UNUSED_PAD src0_sel:WORD_1 src1_sel:DWORD
	v_mul_u32_u24_sdwa v32, v11, s19 dst_sel:DWORD dst_unused:UNUSED_PAD src0_sel:WORD_0 src1_sel:DWORD
	v_mul_u32_u24_sdwa v11, v11, s19 dst_sel:DWORD dst_unused:UNUSED_PAD src0_sel:WORD_1 src1_sel:DWORD
	v_mul_u32_u24_sdwa v33, v12, s19 dst_sel:DWORD dst_unused:UNUSED_PAD src0_sel:WORD_0 src1_sel:DWORD
	v_mul_u32_u24_sdwa v12, v12, s19 dst_sel:DWORD dst_unused:UNUSED_PAD src0_sel:WORD_1 src1_sel:DWORD
	v_pk_fma_f16 v28, v20, v30, v28
	v_pk_fma_f16 v24, v20, v9, v24
	v_pk_fma_f16 v26, v20, v31, v26
	v_pk_fma_f16 v25, v20, v10, v25
	v_pk_fma_f16 v22, v20, v32, v22
	v_pk_fma_f16 v27, v20, v11, v27
	v_pk_fma_f16 v23, v20, v33, v23
	v_pk_fma_f16 v20, v20, v12, v29
	ds_read_b128 v[9:12], v64 offset:432
	s_waitcnt lgkmcnt(0)
	v_mul_u32_u24_sdwa v29, v9, s19 dst_sel:DWORD dst_unused:UNUSED_PAD src0_sel:WORD_0 src1_sel:DWORD
	v_mul_u32_u24_sdwa v9, v9, s19 dst_sel:DWORD dst_unused:UNUSED_PAD src0_sel:WORD_1 src1_sel:DWORD
	v_mul_u32_u24_sdwa v30, v10, s19 dst_sel:DWORD dst_unused:UNUSED_PAD src0_sel:WORD_0 src1_sel:DWORD
	v_mul_u32_u24_sdwa v10, v10, s19 dst_sel:DWORD dst_unused:UNUSED_PAD src0_sel:WORD_1 src1_sel:DWORD
	v_mul_u32_u24_sdwa v31, v11, s19 dst_sel:DWORD dst_unused:UNUSED_PAD src0_sel:WORD_0 src1_sel:DWORD
	v_mul_u32_u24_sdwa v11, v11, s19 dst_sel:DWORD dst_unused:UNUSED_PAD src0_sel:WORD_1 src1_sel:DWORD
	v_mul_u32_u24_sdwa v32, v12, s19 dst_sel:DWORD dst_unused:UNUSED_PAD src0_sel:WORD_0 src1_sel:DWORD
	v_mul_u32_u24_sdwa v12, v12, s19 dst_sel:DWORD dst_unused:UNUSED_PAD src0_sel:WORD_1 src1_sel:DWORD
	v_pk_fma_f16 v28, v21, v29, v28
	v_pk_fma_f16 v24, v21, v9, v24
	v_pk_fma_f16 v26, v21, v30, v26
	v_pk_fma_f16 v25, v21, v10, v25
	v_pk_fma_f16 v22, v21, v31, v22
	v_pk_fma_f16 v27, v21, v11, v27
	v_pk_fma_f16 v23, v21, v32, v23
	v_pk_fma_f16 v29, v21, v12, v20
	ds_read2_b32 v[20:21], v50 offset0:128 offset1:160
	;; [unrolled: 37-line block ×3, first 2 shown]
	ds_read_b128 v[9:12], v64 offset:480
	s_waitcnt lgkmcnt(0)
	v_mul_u32_u24_sdwa v30, v9, s19 dst_sel:DWORD dst_unused:UNUSED_PAD src0_sel:WORD_0 src1_sel:DWORD
	v_mul_u32_u24_sdwa v9, v9, s19 dst_sel:DWORD dst_unused:UNUSED_PAD src0_sel:WORD_1 src1_sel:DWORD
	v_mul_u32_u24_sdwa v31, v10, s19 dst_sel:DWORD dst_unused:UNUSED_PAD src0_sel:WORD_0 src1_sel:DWORD
	v_mul_u32_u24_sdwa v10, v10, s19 dst_sel:DWORD dst_unused:UNUSED_PAD src0_sel:WORD_1 src1_sel:DWORD
	;; [unrolled: 2-line block ×4, first 2 shown]
	v_pk_fma_f16 v28, v20, v30, v28
	v_pk_fma_f16 v24, v20, v9, v24
	;; [unrolled: 1-line block ×8, first 2 shown]
	ds_read_b128 v[9:12], v64 offset:496
	s_waitcnt lgkmcnt(0)
	v_mul_u32_u24_sdwa v29, v9, s19 dst_sel:DWORD dst_unused:UNUSED_PAD src0_sel:WORD_0 src1_sel:DWORD
	v_mul_u32_u24_sdwa v9, v9, s19 dst_sel:DWORD dst_unused:UNUSED_PAD src0_sel:WORD_1 src1_sel:DWORD
	v_mul_u32_u24_sdwa v30, v10, s19 dst_sel:DWORD dst_unused:UNUSED_PAD src0_sel:WORD_0 src1_sel:DWORD
	v_mul_u32_u24_sdwa v10, v10, s19 dst_sel:DWORD dst_unused:UNUSED_PAD src0_sel:WORD_1 src1_sel:DWORD
	;; [unrolled: 2-line block ×4, first 2 shown]
	v_pk_fma_f16 v28, v21, v29, v28
	v_pk_fma_f16 v24, v21, v9, v24
	;; [unrolled: 1-line block ×8, first 2 shown]
	ds_read2_b32 v[20:21], v0 offset1:32
	ds_read_b128 v[9:12], v64 offset:512
	s_waitcnt lgkmcnt(0)
	v_mul_u32_u24_sdwa v30, v9, s19 dst_sel:DWORD dst_unused:UNUSED_PAD src0_sel:WORD_0 src1_sel:DWORD
	v_mul_u32_u24_sdwa v9, v9, s19 dst_sel:DWORD dst_unused:UNUSED_PAD src0_sel:WORD_1 src1_sel:DWORD
	v_mul_u32_u24_sdwa v31, v10, s19 dst_sel:DWORD dst_unused:UNUSED_PAD src0_sel:WORD_0 src1_sel:DWORD
	v_mul_u32_u24_sdwa v10, v10, s19 dst_sel:DWORD dst_unused:UNUSED_PAD src0_sel:WORD_1 src1_sel:DWORD
	v_mul_u32_u24_sdwa v32, v11, s19 dst_sel:DWORD dst_unused:UNUSED_PAD src0_sel:WORD_0 src1_sel:DWORD
	v_mul_u32_u24_sdwa v11, v11, s19 dst_sel:DWORD dst_unused:UNUSED_PAD src0_sel:WORD_1 src1_sel:DWORD
	v_mul_u32_u24_sdwa v33, v12, s19 dst_sel:DWORD dst_unused:UNUSED_PAD src0_sel:WORD_0 src1_sel:DWORD
	v_mul_u32_u24_sdwa v12, v12, s19 dst_sel:DWORD dst_unused:UNUSED_PAD src0_sel:WORD_1 src1_sel:DWORD
	v_pk_fma_f16 v28, v20, v30, v28
	v_pk_fma_f16 v24, v20, v9, v24
	v_pk_fma_f16 v26, v20, v31, v26
	v_pk_fma_f16 v25, v20, v10, v25
	v_pk_fma_f16 v22, v20, v32, v22
	v_pk_fma_f16 v27, v20, v11, v27
	v_pk_fma_f16 v23, v20, v33, v23
	v_pk_fma_f16 v20, v20, v12, v29
	ds_read_b128 v[9:12], v64 offset:528
	s_waitcnt lgkmcnt(0)
	v_mul_u32_u24_sdwa v29, v9, s19 dst_sel:DWORD dst_unused:UNUSED_PAD src0_sel:WORD_0 src1_sel:DWORD
	v_mul_u32_u24_sdwa v9, v9, s19 dst_sel:DWORD dst_unused:UNUSED_PAD src0_sel:WORD_1 src1_sel:DWORD
	v_mul_u32_u24_sdwa v30, v10, s19 dst_sel:DWORD dst_unused:UNUSED_PAD src0_sel:WORD_0 src1_sel:DWORD
	v_mul_u32_u24_sdwa v10, v10, s19 dst_sel:DWORD dst_unused:UNUSED_PAD src0_sel:WORD_1 src1_sel:DWORD
	v_mul_u32_u24_sdwa v31, v11, s19 dst_sel:DWORD dst_unused:UNUSED_PAD src0_sel:WORD_0 src1_sel:DWORD
	v_mul_u32_u24_sdwa v11, v11, s19 dst_sel:DWORD dst_unused:UNUSED_PAD src0_sel:WORD_1 src1_sel:DWORD
	v_mul_u32_u24_sdwa v32, v12, s19 dst_sel:DWORD dst_unused:UNUSED_PAD src0_sel:WORD_0 src1_sel:DWORD
	v_mul_u32_u24_sdwa v12, v12, s19 dst_sel:DWORD dst_unused:UNUSED_PAD src0_sel:WORD_1 src1_sel:DWORD
	v_pk_fma_f16 v28, v21, v29, v28
	v_pk_fma_f16 v24, v21, v9, v24
	v_pk_fma_f16 v26, v21, v30, v26
	v_pk_fma_f16 v25, v21, v10, v25
	v_pk_fma_f16 v22, v21, v31, v22
	v_pk_fma_f16 v27, v21, v11, v27
	v_pk_fma_f16 v23, v21, v32, v23
	v_pk_fma_f16 v29, v21, v12, v20
	ds_read2_b32 v[20:21], v0 offset0:64 offset1:96
	ds_read_b128 v[9:12], v64 offset:544
	s_waitcnt lgkmcnt(0)
	v_mul_u32_u24_sdwa v30, v9, s19 dst_sel:DWORD dst_unused:UNUSED_PAD src0_sel:WORD_0 src1_sel:DWORD
	v_mul_u32_u24_sdwa v9, v9, s19 dst_sel:DWORD dst_unused:UNUSED_PAD src0_sel:WORD_1 src1_sel:DWORD
	v_mul_u32_u24_sdwa v31, v10, s19 dst_sel:DWORD dst_unused:UNUSED_PAD src0_sel:WORD_0 src1_sel:DWORD
	v_mul_u32_u24_sdwa v10, v10, s19 dst_sel:DWORD dst_unused:UNUSED_PAD src0_sel:WORD_1 src1_sel:DWORD
	v_mul_u32_u24_sdwa v32, v11, s19 dst_sel:DWORD dst_unused:UNUSED_PAD src0_sel:WORD_0 src1_sel:DWORD
	v_mul_u32_u24_sdwa v11, v11, s19 dst_sel:DWORD dst_unused:UNUSED_PAD src0_sel:WORD_1 src1_sel:DWORD
	v_mul_u32_u24_sdwa v33, v12, s19 dst_sel:DWORD dst_unused:UNUSED_PAD src0_sel:WORD_0 src1_sel:DWORD
	v_mul_u32_u24_sdwa v12, v12, s19 dst_sel:DWORD dst_unused:UNUSED_PAD src0_sel:WORD_1 src1_sel:DWORD
	v_pk_fma_f16 v28, v20, v30, v28
	v_pk_fma_f16 v24, v20, v9, v24
	v_pk_fma_f16 v26, v20, v31, v26
	v_pk_fma_f16 v25, v20, v10, v25
	v_pk_fma_f16 v22, v20, v32, v22
	v_pk_fma_f16 v27, v20, v11, v27
	v_pk_fma_f16 v23, v20, v33, v23
	v_pk_fma_f16 v20, v20, v12, v29
	ds_read_b128 v[9:12], v64 offset:560
	s_waitcnt lgkmcnt(0)
	v_mul_u32_u24_sdwa v29, v9, s19 dst_sel:DWORD dst_unused:UNUSED_PAD src0_sel:WORD_0 src1_sel:DWORD
	v_mul_u32_u24_sdwa v9, v9, s19 dst_sel:DWORD dst_unused:UNUSED_PAD src0_sel:WORD_1 src1_sel:DWORD
	v_mul_u32_u24_sdwa v30, v10, s19 dst_sel:DWORD dst_unused:UNUSED_PAD src0_sel:WORD_0 src1_sel:DWORD
	v_mul_u32_u24_sdwa v10, v10, s19 dst_sel:DWORD dst_unused:UNUSED_PAD src0_sel:WORD_1 src1_sel:DWORD
	v_mul_u32_u24_sdwa v31, v11, s19 dst_sel:DWORD dst_unused:UNUSED_PAD src0_sel:WORD_0 src1_sel:DWORD
	v_mul_u32_u24_sdwa v11, v11, s19 dst_sel:DWORD dst_unused:UNUSED_PAD src0_sel:WORD_1 src1_sel:DWORD
	v_mul_u32_u24_sdwa v32, v12, s19 dst_sel:DWORD dst_unused:UNUSED_PAD src0_sel:WORD_0 src1_sel:DWORD
	v_mul_u32_u24_sdwa v12, v12, s19 dst_sel:DWORD dst_unused:UNUSED_PAD src0_sel:WORD_1 src1_sel:DWORD
	v_pk_fma_f16 v28, v21, v29, v28
	v_pk_fma_f16 v24, v21, v9, v24
	v_pk_fma_f16 v26, v21, v30, v26
	v_pk_fma_f16 v25, v21, v10, v25
	v_pk_fma_f16 v22, v21, v31, v22
	v_pk_fma_f16 v27, v21, v11, v27
	v_pk_fma_f16 v23, v21, v32, v23
	v_pk_fma_f16 v29, v21, v12, v20
	ds_read2_b32 v[20:21], v0 offset0:128 offset1:160
	;; [unrolled: 37-line block ×3, first 2 shown]
	ds_read_b128 v[9:12], v64 offset:608
	s_waitcnt lgkmcnt(0)
	v_mul_u32_u24_sdwa v30, v9, s19 dst_sel:DWORD dst_unused:UNUSED_PAD src0_sel:WORD_0 src1_sel:DWORD
	v_mul_u32_u24_sdwa v9, v9, s19 dst_sel:DWORD dst_unused:UNUSED_PAD src0_sel:WORD_1 src1_sel:DWORD
	v_mul_u32_u24_sdwa v31, v10, s19 dst_sel:DWORD dst_unused:UNUSED_PAD src0_sel:WORD_0 src1_sel:DWORD
	v_mul_u32_u24_sdwa v10, v10, s19 dst_sel:DWORD dst_unused:UNUSED_PAD src0_sel:WORD_1 src1_sel:DWORD
	v_mul_u32_u24_sdwa v32, v11, s19 dst_sel:DWORD dst_unused:UNUSED_PAD src0_sel:WORD_0 src1_sel:DWORD
	v_mul_u32_u24_sdwa v11, v11, s19 dst_sel:DWORD dst_unused:UNUSED_PAD src0_sel:WORD_1 src1_sel:DWORD
	v_mul_u32_u24_sdwa v33, v12, s19 dst_sel:DWORD dst_unused:UNUSED_PAD src0_sel:WORD_0 src1_sel:DWORD
	v_mul_u32_u24_sdwa v12, v12, s19 dst_sel:DWORD dst_unused:UNUSED_PAD src0_sel:WORD_1 src1_sel:DWORD
	v_pk_fma_f16 v28, v20, v30, v28
	v_pk_fma_f16 v24, v20, v9, v24
	;; [unrolled: 1-line block ×8, first 2 shown]
	ds_read_b128 v[9:12], v64 offset:624
	s_waitcnt lgkmcnt(0)
	v_mul_u32_u24_sdwa v29, v9, s19 dst_sel:DWORD dst_unused:UNUSED_PAD src0_sel:WORD_0 src1_sel:DWORD
	v_mul_u32_u24_sdwa v9, v9, s19 dst_sel:DWORD dst_unused:UNUSED_PAD src0_sel:WORD_1 src1_sel:DWORD
	v_mul_u32_u24_sdwa v30, v10, s19 dst_sel:DWORD dst_unused:UNUSED_PAD src0_sel:WORD_0 src1_sel:DWORD
	v_mul_u32_u24_sdwa v10, v10, s19 dst_sel:DWORD dst_unused:UNUSED_PAD src0_sel:WORD_1 src1_sel:DWORD
	;; [unrolled: 2-line block ×4, first 2 shown]
	v_pk_fma_f16 v28, v21, v29, v28
	v_pk_fma_f16 v24, v21, v9, v24
	;; [unrolled: 1-line block ×8, first 2 shown]
	ds_read2_b32 v[20:21], v68 offset1:32
	ds_read_b128 v[9:12], v64 offset:640
	s_waitcnt lgkmcnt(0)
	v_mul_u32_u24_sdwa v30, v9, s19 dst_sel:DWORD dst_unused:UNUSED_PAD src0_sel:WORD_0 src1_sel:DWORD
	v_mul_u32_u24_sdwa v9, v9, s19 dst_sel:DWORD dst_unused:UNUSED_PAD src0_sel:WORD_1 src1_sel:DWORD
	v_mul_u32_u24_sdwa v31, v10, s19 dst_sel:DWORD dst_unused:UNUSED_PAD src0_sel:WORD_0 src1_sel:DWORD
	v_mul_u32_u24_sdwa v10, v10, s19 dst_sel:DWORD dst_unused:UNUSED_PAD src0_sel:WORD_1 src1_sel:DWORD
	v_mul_u32_u24_sdwa v32, v11, s19 dst_sel:DWORD dst_unused:UNUSED_PAD src0_sel:WORD_0 src1_sel:DWORD
	v_mul_u32_u24_sdwa v11, v11, s19 dst_sel:DWORD dst_unused:UNUSED_PAD src0_sel:WORD_1 src1_sel:DWORD
	v_mul_u32_u24_sdwa v33, v12, s19 dst_sel:DWORD dst_unused:UNUSED_PAD src0_sel:WORD_0 src1_sel:DWORD
	v_mul_u32_u24_sdwa v12, v12, s19 dst_sel:DWORD dst_unused:UNUSED_PAD src0_sel:WORD_1 src1_sel:DWORD
	v_pk_fma_f16 v28, v20, v30, v28
	v_pk_fma_f16 v24, v20, v9, v24
	v_pk_fma_f16 v26, v20, v31, v26
	v_pk_fma_f16 v25, v20, v10, v25
	v_pk_fma_f16 v22, v20, v32, v22
	v_pk_fma_f16 v27, v20, v11, v27
	v_pk_fma_f16 v23, v20, v33, v23
	v_pk_fma_f16 v20, v20, v12, v29
	ds_read_b128 v[9:12], v64 offset:656
	s_waitcnt lgkmcnt(0)
	v_mul_u32_u24_sdwa v29, v9, s19 dst_sel:DWORD dst_unused:UNUSED_PAD src0_sel:WORD_0 src1_sel:DWORD
	v_mul_u32_u24_sdwa v9, v9, s19 dst_sel:DWORD dst_unused:UNUSED_PAD src0_sel:WORD_1 src1_sel:DWORD
	v_mul_u32_u24_sdwa v30, v10, s19 dst_sel:DWORD dst_unused:UNUSED_PAD src0_sel:WORD_0 src1_sel:DWORD
	v_mul_u32_u24_sdwa v10, v10, s19 dst_sel:DWORD dst_unused:UNUSED_PAD src0_sel:WORD_1 src1_sel:DWORD
	v_mul_u32_u24_sdwa v31, v11, s19 dst_sel:DWORD dst_unused:UNUSED_PAD src0_sel:WORD_0 src1_sel:DWORD
	v_mul_u32_u24_sdwa v11, v11, s19 dst_sel:DWORD dst_unused:UNUSED_PAD src0_sel:WORD_1 src1_sel:DWORD
	v_mul_u32_u24_sdwa v32, v12, s19 dst_sel:DWORD dst_unused:UNUSED_PAD src0_sel:WORD_0 src1_sel:DWORD
	v_mul_u32_u24_sdwa v12, v12, s19 dst_sel:DWORD dst_unused:UNUSED_PAD src0_sel:WORD_1 src1_sel:DWORD
	v_pk_fma_f16 v28, v21, v29, v28
	v_pk_fma_f16 v24, v21, v9, v24
	v_pk_fma_f16 v26, v21, v30, v26
	v_pk_fma_f16 v25, v21, v10, v25
	v_pk_fma_f16 v22, v21, v31, v22
	v_pk_fma_f16 v27, v21, v11, v27
	v_pk_fma_f16 v23, v21, v32, v23
	v_pk_fma_f16 v29, v21, v12, v20
	ds_read2_b32 v[20:21], v68 offset0:64 offset1:96
	ds_read_b128 v[9:12], v64 offset:672
	s_waitcnt lgkmcnt(0)
	v_mul_u32_u24_sdwa v30, v9, s19 dst_sel:DWORD dst_unused:UNUSED_PAD src0_sel:WORD_0 src1_sel:DWORD
	v_mul_u32_u24_sdwa v9, v9, s19 dst_sel:DWORD dst_unused:UNUSED_PAD src0_sel:WORD_1 src1_sel:DWORD
	v_mul_u32_u24_sdwa v31, v10, s19 dst_sel:DWORD dst_unused:UNUSED_PAD src0_sel:WORD_0 src1_sel:DWORD
	v_mul_u32_u24_sdwa v10, v10, s19 dst_sel:DWORD dst_unused:UNUSED_PAD src0_sel:WORD_1 src1_sel:DWORD
	v_mul_u32_u24_sdwa v32, v11, s19 dst_sel:DWORD dst_unused:UNUSED_PAD src0_sel:WORD_0 src1_sel:DWORD
	v_mul_u32_u24_sdwa v11, v11, s19 dst_sel:DWORD dst_unused:UNUSED_PAD src0_sel:WORD_1 src1_sel:DWORD
	v_mul_u32_u24_sdwa v33, v12, s19 dst_sel:DWORD dst_unused:UNUSED_PAD src0_sel:WORD_0 src1_sel:DWORD
	v_mul_u32_u24_sdwa v12, v12, s19 dst_sel:DWORD dst_unused:UNUSED_PAD src0_sel:WORD_1 src1_sel:DWORD
	v_pk_fma_f16 v28, v20, v30, v28
	v_pk_fma_f16 v24, v20, v9, v24
	v_pk_fma_f16 v26, v20, v31, v26
	v_pk_fma_f16 v25, v20, v10, v25
	v_pk_fma_f16 v22, v20, v32, v22
	v_pk_fma_f16 v27, v20, v11, v27
	v_pk_fma_f16 v23, v20, v33, v23
	v_pk_fma_f16 v20, v20, v12, v29
	ds_read_b128 v[9:12], v64 offset:688
	s_waitcnt lgkmcnt(0)
	v_mul_u32_u24_sdwa v29, v9, s19 dst_sel:DWORD dst_unused:UNUSED_PAD src0_sel:WORD_0 src1_sel:DWORD
	v_mul_u32_u24_sdwa v9, v9, s19 dst_sel:DWORD dst_unused:UNUSED_PAD src0_sel:WORD_1 src1_sel:DWORD
	v_mul_u32_u24_sdwa v30, v10, s19 dst_sel:DWORD dst_unused:UNUSED_PAD src0_sel:WORD_0 src1_sel:DWORD
	v_mul_u32_u24_sdwa v10, v10, s19 dst_sel:DWORD dst_unused:UNUSED_PAD src0_sel:WORD_1 src1_sel:DWORD
	v_mul_u32_u24_sdwa v31, v11, s19 dst_sel:DWORD dst_unused:UNUSED_PAD src0_sel:WORD_0 src1_sel:DWORD
	v_mul_u32_u24_sdwa v11, v11, s19 dst_sel:DWORD dst_unused:UNUSED_PAD src0_sel:WORD_1 src1_sel:DWORD
	v_mul_u32_u24_sdwa v32, v12, s19 dst_sel:DWORD dst_unused:UNUSED_PAD src0_sel:WORD_0 src1_sel:DWORD
	v_mul_u32_u24_sdwa v12, v12, s19 dst_sel:DWORD dst_unused:UNUSED_PAD src0_sel:WORD_1 src1_sel:DWORD
	v_pk_fma_f16 v28, v21, v29, v28
	v_pk_fma_f16 v24, v21, v9, v24
	v_pk_fma_f16 v26, v21, v30, v26
	v_pk_fma_f16 v25, v21, v10, v25
	v_pk_fma_f16 v22, v21, v31, v22
	v_pk_fma_f16 v27, v21, v11, v27
	v_pk_fma_f16 v23, v21, v32, v23
	v_pk_fma_f16 v29, v21, v12, v20
	ds_read2_b32 v[20:21], v68 offset0:128 offset1:160
	;; [unrolled: 37-line block ×3, first 2 shown]
	ds_read_b128 v[9:12], v64 offset:736
	s_waitcnt lgkmcnt(0)
	v_mul_u32_u24_sdwa v30, v9, s19 dst_sel:DWORD dst_unused:UNUSED_PAD src0_sel:WORD_0 src1_sel:DWORD
	v_mul_u32_u24_sdwa v9, v9, s19 dst_sel:DWORD dst_unused:UNUSED_PAD src0_sel:WORD_1 src1_sel:DWORD
	v_mul_u32_u24_sdwa v31, v10, s19 dst_sel:DWORD dst_unused:UNUSED_PAD src0_sel:WORD_0 src1_sel:DWORD
	v_mul_u32_u24_sdwa v10, v10, s19 dst_sel:DWORD dst_unused:UNUSED_PAD src0_sel:WORD_1 src1_sel:DWORD
	v_mul_u32_u24_sdwa v32, v11, s19 dst_sel:DWORD dst_unused:UNUSED_PAD src0_sel:WORD_0 src1_sel:DWORD
	v_mul_u32_u24_sdwa v11, v11, s19 dst_sel:DWORD dst_unused:UNUSED_PAD src0_sel:WORD_1 src1_sel:DWORD
	v_mul_u32_u24_sdwa v33, v12, s19 dst_sel:DWORD dst_unused:UNUSED_PAD src0_sel:WORD_0 src1_sel:DWORD
	v_mul_u32_u24_sdwa v12, v12, s19 dst_sel:DWORD dst_unused:UNUSED_PAD src0_sel:WORD_1 src1_sel:DWORD
	v_pk_fma_f16 v28, v20, v30, v28
	v_pk_fma_f16 v24, v20, v9, v24
	;; [unrolled: 1-line block ×8, first 2 shown]
	ds_read_b128 v[9:12], v64 offset:752
	s_waitcnt lgkmcnt(0)
	v_mul_u32_u24_sdwa v29, v9, s19 dst_sel:DWORD dst_unused:UNUSED_PAD src0_sel:WORD_0 src1_sel:DWORD
	v_mul_u32_u24_sdwa v9, v9, s19 dst_sel:DWORD dst_unused:UNUSED_PAD src0_sel:WORD_1 src1_sel:DWORD
	v_mul_u32_u24_sdwa v30, v10, s19 dst_sel:DWORD dst_unused:UNUSED_PAD src0_sel:WORD_0 src1_sel:DWORD
	v_mul_u32_u24_sdwa v10, v10, s19 dst_sel:DWORD dst_unused:UNUSED_PAD src0_sel:WORD_1 src1_sel:DWORD
	;; [unrolled: 2-line block ×4, first 2 shown]
	v_pk_fma_f16 v28, v21, v29, v28
	v_pk_fma_f16 v24, v21, v9, v24
	;; [unrolled: 1-line block ×8, first 2 shown]
	ds_read2_b32 v[20:21], v127 offset1:32
	ds_read_b128 v[9:12], v64 offset:768
	s_waitcnt lgkmcnt(0)
	v_mul_u32_u24_sdwa v30, v9, s19 dst_sel:DWORD dst_unused:UNUSED_PAD src0_sel:WORD_0 src1_sel:DWORD
	v_mul_u32_u24_sdwa v9, v9, s19 dst_sel:DWORD dst_unused:UNUSED_PAD src0_sel:WORD_1 src1_sel:DWORD
	v_mul_u32_u24_sdwa v31, v10, s19 dst_sel:DWORD dst_unused:UNUSED_PAD src0_sel:WORD_0 src1_sel:DWORD
	v_mul_u32_u24_sdwa v10, v10, s19 dst_sel:DWORD dst_unused:UNUSED_PAD src0_sel:WORD_1 src1_sel:DWORD
	v_mul_u32_u24_sdwa v32, v11, s19 dst_sel:DWORD dst_unused:UNUSED_PAD src0_sel:WORD_0 src1_sel:DWORD
	v_mul_u32_u24_sdwa v11, v11, s19 dst_sel:DWORD dst_unused:UNUSED_PAD src0_sel:WORD_1 src1_sel:DWORD
	v_mul_u32_u24_sdwa v33, v12, s19 dst_sel:DWORD dst_unused:UNUSED_PAD src0_sel:WORD_0 src1_sel:DWORD
	v_mul_u32_u24_sdwa v12, v12, s19 dst_sel:DWORD dst_unused:UNUSED_PAD src0_sel:WORD_1 src1_sel:DWORD
	v_pk_fma_f16 v28, v20, v30, v28
	v_pk_fma_f16 v24, v20, v9, v24
	v_pk_fma_f16 v26, v20, v31, v26
	v_pk_fma_f16 v25, v20, v10, v25
	v_pk_fma_f16 v22, v20, v32, v22
	v_pk_fma_f16 v27, v20, v11, v27
	v_pk_fma_f16 v23, v20, v33, v23
	v_pk_fma_f16 v20, v20, v12, v29
	ds_read_b128 v[9:12], v64 offset:784
	s_waitcnt lgkmcnt(0)
	v_mul_u32_u24_sdwa v29, v9, s19 dst_sel:DWORD dst_unused:UNUSED_PAD src0_sel:WORD_0 src1_sel:DWORD
	v_mul_u32_u24_sdwa v9, v9, s19 dst_sel:DWORD dst_unused:UNUSED_PAD src0_sel:WORD_1 src1_sel:DWORD
	v_mul_u32_u24_sdwa v30, v10, s19 dst_sel:DWORD dst_unused:UNUSED_PAD src0_sel:WORD_0 src1_sel:DWORD
	v_mul_u32_u24_sdwa v10, v10, s19 dst_sel:DWORD dst_unused:UNUSED_PAD src0_sel:WORD_1 src1_sel:DWORD
	v_mul_u32_u24_sdwa v31, v11, s19 dst_sel:DWORD dst_unused:UNUSED_PAD src0_sel:WORD_0 src1_sel:DWORD
	v_mul_u32_u24_sdwa v11, v11, s19 dst_sel:DWORD dst_unused:UNUSED_PAD src0_sel:WORD_1 src1_sel:DWORD
	v_mul_u32_u24_sdwa v32, v12, s19 dst_sel:DWORD dst_unused:UNUSED_PAD src0_sel:WORD_0 src1_sel:DWORD
	v_mul_u32_u24_sdwa v12, v12, s19 dst_sel:DWORD dst_unused:UNUSED_PAD src0_sel:WORD_1 src1_sel:DWORD
	v_pk_fma_f16 v28, v21, v29, v28
	v_pk_fma_f16 v24, v21, v9, v24
	v_pk_fma_f16 v26, v21, v30, v26
	v_pk_fma_f16 v25, v21, v10, v25
	v_pk_fma_f16 v22, v21, v31, v22
	v_pk_fma_f16 v27, v21, v11, v27
	v_pk_fma_f16 v23, v21, v32, v23
	v_pk_fma_f16 v29, v21, v12, v20
	ds_read2_b32 v[20:21], v127 offset0:64 offset1:96
	ds_read_b128 v[9:12], v64 offset:800
	s_waitcnt lgkmcnt(0)
	v_mul_u32_u24_sdwa v30, v9, s19 dst_sel:DWORD dst_unused:UNUSED_PAD src0_sel:WORD_0 src1_sel:DWORD
	v_mul_u32_u24_sdwa v9, v9, s19 dst_sel:DWORD dst_unused:UNUSED_PAD src0_sel:WORD_1 src1_sel:DWORD
	v_mul_u32_u24_sdwa v31, v10, s19 dst_sel:DWORD dst_unused:UNUSED_PAD src0_sel:WORD_0 src1_sel:DWORD
	v_mul_u32_u24_sdwa v10, v10, s19 dst_sel:DWORD dst_unused:UNUSED_PAD src0_sel:WORD_1 src1_sel:DWORD
	v_mul_u32_u24_sdwa v32, v11, s19 dst_sel:DWORD dst_unused:UNUSED_PAD src0_sel:WORD_0 src1_sel:DWORD
	v_mul_u32_u24_sdwa v11, v11, s19 dst_sel:DWORD dst_unused:UNUSED_PAD src0_sel:WORD_1 src1_sel:DWORD
	v_mul_u32_u24_sdwa v33, v12, s19 dst_sel:DWORD dst_unused:UNUSED_PAD src0_sel:WORD_0 src1_sel:DWORD
	v_mul_u32_u24_sdwa v12, v12, s19 dst_sel:DWORD dst_unused:UNUSED_PAD src0_sel:WORD_1 src1_sel:DWORD
	v_pk_fma_f16 v28, v20, v30, v28
	v_pk_fma_f16 v24, v20, v9, v24
	v_pk_fma_f16 v26, v20, v31, v26
	v_pk_fma_f16 v25, v20, v10, v25
	v_pk_fma_f16 v22, v20, v32, v22
	v_pk_fma_f16 v27, v20, v11, v27
	v_pk_fma_f16 v23, v20, v33, v23
	v_pk_fma_f16 v20, v20, v12, v29
	ds_read_b128 v[9:12], v64 offset:816
	s_waitcnt lgkmcnt(0)
	v_mul_u32_u24_sdwa v29, v9, s19 dst_sel:DWORD dst_unused:UNUSED_PAD src0_sel:WORD_0 src1_sel:DWORD
	v_mul_u32_u24_sdwa v9, v9, s19 dst_sel:DWORD dst_unused:UNUSED_PAD src0_sel:WORD_1 src1_sel:DWORD
	v_mul_u32_u24_sdwa v30, v10, s19 dst_sel:DWORD dst_unused:UNUSED_PAD src0_sel:WORD_0 src1_sel:DWORD
	v_mul_u32_u24_sdwa v10, v10, s19 dst_sel:DWORD dst_unused:UNUSED_PAD src0_sel:WORD_1 src1_sel:DWORD
	v_mul_u32_u24_sdwa v31, v11, s19 dst_sel:DWORD dst_unused:UNUSED_PAD src0_sel:WORD_0 src1_sel:DWORD
	v_mul_u32_u24_sdwa v11, v11, s19 dst_sel:DWORD dst_unused:UNUSED_PAD src0_sel:WORD_1 src1_sel:DWORD
	v_mul_u32_u24_sdwa v32, v12, s19 dst_sel:DWORD dst_unused:UNUSED_PAD src0_sel:WORD_0 src1_sel:DWORD
	v_mul_u32_u24_sdwa v12, v12, s19 dst_sel:DWORD dst_unused:UNUSED_PAD src0_sel:WORD_1 src1_sel:DWORD
	v_pk_fma_f16 v28, v21, v29, v28
	v_pk_fma_f16 v24, v21, v9, v24
	v_pk_fma_f16 v26, v21, v30, v26
	v_pk_fma_f16 v25, v21, v10, v25
	v_pk_fma_f16 v22, v21, v31, v22
	v_pk_fma_f16 v27, v21, v11, v27
	v_pk_fma_f16 v23, v21, v32, v23
	v_pk_fma_f16 v29, v21, v12, v20
	ds_read2_b32 v[20:21], v127 offset0:128 offset1:160
	;; [unrolled: 37-line block ×3, first 2 shown]
	ds_read_b128 v[9:12], v64 offset:864
	s_waitcnt lgkmcnt(0)
	v_mul_u32_u24_sdwa v30, v9, s19 dst_sel:DWORD dst_unused:UNUSED_PAD src0_sel:WORD_0 src1_sel:DWORD
	v_mul_u32_u24_sdwa v9, v9, s19 dst_sel:DWORD dst_unused:UNUSED_PAD src0_sel:WORD_1 src1_sel:DWORD
	v_mul_u32_u24_sdwa v31, v10, s19 dst_sel:DWORD dst_unused:UNUSED_PAD src0_sel:WORD_0 src1_sel:DWORD
	v_mul_u32_u24_sdwa v10, v10, s19 dst_sel:DWORD dst_unused:UNUSED_PAD src0_sel:WORD_1 src1_sel:DWORD
	;; [unrolled: 2-line block ×4, first 2 shown]
	v_pk_fma_f16 v28, v20, v30, v28
	v_pk_fma_f16 v24, v20, v9, v24
	;; [unrolled: 1-line block ×8, first 2 shown]
	ds_read_b128 v[9:12], v64 offset:880
	s_waitcnt lgkmcnt(0)
	v_mul_u32_u24_sdwa v29, v9, s19 dst_sel:DWORD dst_unused:UNUSED_PAD src0_sel:WORD_0 src1_sel:DWORD
	v_mul_u32_u24_sdwa v9, v9, s19 dst_sel:DWORD dst_unused:UNUSED_PAD src0_sel:WORD_1 src1_sel:DWORD
	v_mul_u32_u24_sdwa v30, v10, s19 dst_sel:DWORD dst_unused:UNUSED_PAD src0_sel:WORD_0 src1_sel:DWORD
	v_mul_u32_u24_sdwa v10, v10, s19 dst_sel:DWORD dst_unused:UNUSED_PAD src0_sel:WORD_1 src1_sel:DWORD
	;; [unrolled: 2-line block ×4, first 2 shown]
	v_pk_fma_f16 v28, v21, v29, v28
	v_pk_fma_f16 v24, v21, v9, v24
	v_pk_fma_f16 v26, v21, v30, v26
	v_pk_fma_f16 v25, v21, v10, v25
	v_pk_fma_f16 v22, v21, v31, v22
	v_pk_fma_f16 v27, v21, v11, v27
	v_pk_fma_f16 v23, v21, v32, v23
	v_pk_fma_f16 v29, v21, v12, v20
	ds_read2_b32 v[20:21], v77 offset1:32
	ds_read_b128 v[9:12], v64 offset:896
	s_waitcnt lgkmcnt(0)
	v_mul_u32_u24_sdwa v30, v9, s19 dst_sel:DWORD dst_unused:UNUSED_PAD src0_sel:WORD_0 src1_sel:DWORD
	v_mul_u32_u24_sdwa v9, v9, s19 dst_sel:DWORD dst_unused:UNUSED_PAD src0_sel:WORD_1 src1_sel:DWORD
	v_mul_u32_u24_sdwa v31, v10, s19 dst_sel:DWORD dst_unused:UNUSED_PAD src0_sel:WORD_0 src1_sel:DWORD
	v_mul_u32_u24_sdwa v10, v10, s19 dst_sel:DWORD dst_unused:UNUSED_PAD src0_sel:WORD_1 src1_sel:DWORD
	v_mul_u32_u24_sdwa v32, v11, s19 dst_sel:DWORD dst_unused:UNUSED_PAD src0_sel:WORD_0 src1_sel:DWORD
	v_mul_u32_u24_sdwa v11, v11, s19 dst_sel:DWORD dst_unused:UNUSED_PAD src0_sel:WORD_1 src1_sel:DWORD
	v_mul_u32_u24_sdwa v33, v12, s19 dst_sel:DWORD dst_unused:UNUSED_PAD src0_sel:WORD_0 src1_sel:DWORD
	v_mul_u32_u24_sdwa v12, v12, s19 dst_sel:DWORD dst_unused:UNUSED_PAD src0_sel:WORD_1 src1_sel:DWORD
	v_pk_fma_f16 v28, v20, v30, v28
	v_pk_fma_f16 v24, v20, v9, v24
	v_pk_fma_f16 v26, v20, v31, v26
	v_pk_fma_f16 v25, v20, v10, v25
	v_pk_fma_f16 v22, v20, v32, v22
	v_pk_fma_f16 v27, v20, v11, v27
	v_pk_fma_f16 v23, v20, v33, v23
	v_pk_fma_f16 v20, v20, v12, v29
	ds_read_b128 v[9:12], v64 offset:912
	s_waitcnt lgkmcnt(0)
	v_mul_u32_u24_sdwa v29, v9, s19 dst_sel:DWORD dst_unused:UNUSED_PAD src0_sel:WORD_0 src1_sel:DWORD
	v_mul_u32_u24_sdwa v9, v9, s19 dst_sel:DWORD dst_unused:UNUSED_PAD src0_sel:WORD_1 src1_sel:DWORD
	v_mul_u32_u24_sdwa v30, v10, s19 dst_sel:DWORD dst_unused:UNUSED_PAD src0_sel:WORD_0 src1_sel:DWORD
	v_mul_u32_u24_sdwa v10, v10, s19 dst_sel:DWORD dst_unused:UNUSED_PAD src0_sel:WORD_1 src1_sel:DWORD
	v_mul_u32_u24_sdwa v31, v11, s19 dst_sel:DWORD dst_unused:UNUSED_PAD src0_sel:WORD_0 src1_sel:DWORD
	v_mul_u32_u24_sdwa v11, v11, s19 dst_sel:DWORD dst_unused:UNUSED_PAD src0_sel:WORD_1 src1_sel:DWORD
	v_mul_u32_u24_sdwa v32, v12, s19 dst_sel:DWORD dst_unused:UNUSED_PAD src0_sel:WORD_0 src1_sel:DWORD
	v_mul_u32_u24_sdwa v12, v12, s19 dst_sel:DWORD dst_unused:UNUSED_PAD src0_sel:WORD_1 src1_sel:DWORD
	v_pk_fma_f16 v28, v21, v29, v28
	v_pk_fma_f16 v24, v21, v9, v24
	v_pk_fma_f16 v26, v21, v30, v26
	v_pk_fma_f16 v25, v21, v10, v25
	v_pk_fma_f16 v22, v21, v31, v22
	v_pk_fma_f16 v27, v21, v11, v27
	v_pk_fma_f16 v23, v21, v32, v23
	v_pk_fma_f16 v29, v21, v12, v20
	ds_read2_b32 v[20:21], v77 offset0:64 offset1:96
	ds_read_b128 v[9:12], v64 offset:928
	s_waitcnt lgkmcnt(0)
	v_mul_u32_u24_sdwa v30, v9, s19 dst_sel:DWORD dst_unused:UNUSED_PAD src0_sel:WORD_0 src1_sel:DWORD
	v_mul_u32_u24_sdwa v9, v9, s19 dst_sel:DWORD dst_unused:UNUSED_PAD src0_sel:WORD_1 src1_sel:DWORD
	v_mul_u32_u24_sdwa v31, v10, s19 dst_sel:DWORD dst_unused:UNUSED_PAD src0_sel:WORD_0 src1_sel:DWORD
	v_mul_u32_u24_sdwa v10, v10, s19 dst_sel:DWORD dst_unused:UNUSED_PAD src0_sel:WORD_1 src1_sel:DWORD
	v_mul_u32_u24_sdwa v32, v11, s19 dst_sel:DWORD dst_unused:UNUSED_PAD src0_sel:WORD_0 src1_sel:DWORD
	v_mul_u32_u24_sdwa v11, v11, s19 dst_sel:DWORD dst_unused:UNUSED_PAD src0_sel:WORD_1 src1_sel:DWORD
	v_mul_u32_u24_sdwa v33, v12, s19 dst_sel:DWORD dst_unused:UNUSED_PAD src0_sel:WORD_0 src1_sel:DWORD
	v_mul_u32_u24_sdwa v12, v12, s19 dst_sel:DWORD dst_unused:UNUSED_PAD src0_sel:WORD_1 src1_sel:DWORD
	v_pk_fma_f16 v28, v20, v30, v28
	v_pk_fma_f16 v24, v20, v9, v24
	v_pk_fma_f16 v26, v20, v31, v26
	v_pk_fma_f16 v25, v20, v10, v25
	v_pk_fma_f16 v22, v20, v32, v22
	v_pk_fma_f16 v27, v20, v11, v27
	v_pk_fma_f16 v23, v20, v33, v23
	v_pk_fma_f16 v20, v20, v12, v29
	ds_read_b128 v[9:12], v64 offset:944
	s_waitcnt lgkmcnt(0)
	v_mul_u32_u24_sdwa v29, v9, s19 dst_sel:DWORD dst_unused:UNUSED_PAD src0_sel:WORD_0 src1_sel:DWORD
	v_mul_u32_u24_sdwa v9, v9, s19 dst_sel:DWORD dst_unused:UNUSED_PAD src0_sel:WORD_1 src1_sel:DWORD
	v_mul_u32_u24_sdwa v30, v10, s19 dst_sel:DWORD dst_unused:UNUSED_PAD src0_sel:WORD_0 src1_sel:DWORD
	v_mul_u32_u24_sdwa v10, v10, s19 dst_sel:DWORD dst_unused:UNUSED_PAD src0_sel:WORD_1 src1_sel:DWORD
	v_mul_u32_u24_sdwa v31, v11, s19 dst_sel:DWORD dst_unused:UNUSED_PAD src0_sel:WORD_0 src1_sel:DWORD
	v_mul_u32_u24_sdwa v11, v11, s19 dst_sel:DWORD dst_unused:UNUSED_PAD src0_sel:WORD_1 src1_sel:DWORD
	v_mul_u32_u24_sdwa v32, v12, s19 dst_sel:DWORD dst_unused:UNUSED_PAD src0_sel:WORD_0 src1_sel:DWORD
	v_mul_u32_u24_sdwa v12, v12, s19 dst_sel:DWORD dst_unused:UNUSED_PAD src0_sel:WORD_1 src1_sel:DWORD
	v_pk_fma_f16 v28, v21, v29, v28
	v_pk_fma_f16 v24, v21, v9, v24
	v_pk_fma_f16 v26, v21, v30, v26
	v_pk_fma_f16 v25, v21, v10, v25
	v_pk_fma_f16 v22, v21, v31, v22
	v_pk_fma_f16 v27, v21, v11, v27
	v_pk_fma_f16 v23, v21, v32, v23
	v_pk_fma_f16 v29, v21, v12, v20
	ds_read2_b32 v[20:21], v77 offset0:128 offset1:160
	;; [unrolled: 37-line block ×3, first 2 shown]
	ds_read_b128 v[20:23], v64 offset:992
	s_waitcnt lgkmcnt(0)
	v_mul_u32_u24_sdwa v11, v20, s19 dst_sel:DWORD dst_unused:UNUSED_PAD src0_sel:WORD_0 src1_sel:DWORD
	v_mul_u32_u24_sdwa v12, v20, s19 dst_sel:DWORD dst_unused:UNUSED_PAD src0_sel:WORD_1 src1_sel:DWORD
	v_mul_u32_u24_sdwa v20, v21, s19 dst_sel:DWORD dst_unused:UNUSED_PAD src0_sel:WORD_0 src1_sel:DWORD
	v_mul_u32_u24_sdwa v21, v21, s19 dst_sel:DWORD dst_unused:UNUSED_PAD src0_sel:WORD_1 src1_sel:DWORD
	v_mul_u32_u24_sdwa v33, v22, s19 dst_sel:DWORD dst_unused:UNUSED_PAD src0_sel:WORD_1 src1_sel:DWORD
	v_mul_u32_u24_sdwa v34, v23, s19 dst_sel:DWORD dst_unused:UNUSED_PAD src0_sel:WORD_0 src1_sel:DWORD
	v_mul_u32_u24_sdwa v35, v23, s19 dst_sel:DWORD dst_unused:UNUSED_PAD src0_sel:WORD_1 src1_sel:DWORD
	v_pk_fma_f16 v11, v9, v11, v28
	v_pk_fma_f16 v20, v9, v20, v26
	;; [unrolled: 1-line block ×4, first 2 shown]
	ds_read_b128 v[25:28], v64 offset:1008
	s_waitcnt lgkmcnt(0)
	s_barrier
	s_load_dword s24, s[0:1], 0x4
	v_mul_u32_u24_sdwa v32, v22, s19 dst_sel:DWORD dst_unused:UNUSED_PAD src0_sel:WORD_0 src1_sel:DWORD
	v_pk_fma_f16 v12, v9, v12, v24
	v_pk_fma_f16 v22, v9, v32, v29
	;; [unrolled: 1-line block ×3, first 2 shown]
	s_waitcnt lgkmcnt(0)
	s_lshl_b32 s24, s24, 6
	v_pk_fma_f16 v9, v9, v35, v31
	v_mul_u32_u24_sdwa v29, v25, s19 dst_sel:DWORD dst_unused:UNUSED_PAD src0_sel:WORD_0 src1_sel:DWORD
	v_mul_u32_u24_sdwa v25, v25, s19 dst_sel:DWORD dst_unused:UNUSED_PAD src0_sel:WORD_1 src1_sel:DWORD
	v_mul_u32_u24_sdwa v30, v26, s19 dst_sel:DWORD dst_unused:UNUSED_PAD src0_sel:WORD_0 src1_sel:DWORD
	v_mul_u32_u24_sdwa v26, v26, s19 dst_sel:DWORD dst_unused:UNUSED_PAD src0_sel:WORD_1 src1_sel:DWORD
	;; [unrolled: 2-line block ×4, first 2 shown]
	s_add_i32 s6, s24, s6
	v_pk_fma_f16 v85, v10, v29, v11
	v_pk_fma_f16 v84, v10, v25, v12
	;; [unrolled: 1-line block ×8, first 2 shown]
	s_cmp_ge_i32 s6, s30
	s_cbranch_scc0 .LBB0_9
; %bb.10:
	buffer_load_dword v47, off, s[40:43], 0 offset:28 ; 4-byte Folded Reload
	buffer_load_dword v48, off, s[40:43], 0 offset:32 ; 4-byte Folded Reload
	;; [unrolled: 1-line block ×3, first 2 shown]
.LBB0_11:
	s_waitcnt vmcnt(2)
	v_lshlrev_b32_e32 v33, 1, v47
	v_cmp_lt_i32_e32 vcc, v58, v54
	v_cndmask_b32_e32 v0, v53, v58, vcc
	v_cmp_lt_i32_e32 vcc, v59, v54
	v_lshlrev_b32_e32 v0, 2, v0
	v_cndmask_b32_e32 v9, v53, v59, vcc
	v_lshlrev_b32_e32 v12, 2, v9
	ds_bpermute_b32 v9, v0, v13
	v_cmp_lt_i32_e32 vcc, v56, v54
	v_cndmask_b32_e32 v10, v53, v56, vcc
	v_cmp_lt_i32_e32 vcc, v57, v54
	v_lshlrev_b32_e32 v20, 2, v10
	v_cndmask_b32_e32 v10, v53, v57, vcc
	s_waitcnt lgkmcnt(0)
	v_add_f32_e32 v9, v13, v9
	v_lshlrev_b32_e32 v13, 2, v10
	ds_bpermute_b32 v10, v0, v14
	ds_bpermute_b32 v11, v12, v9
	;; [unrolled: 1-line block ×3, first 2 shown]
	v_cmp_lt_i32_e32 vcc, v55, v54
	v_cndmask_b32_e32 v21, v53, v55, vcc
	s_waitcnt lgkmcnt(2)
	v_add_f32_e32 v10, v14, v10
	s_waitcnt lgkmcnt(1)
	v_add_f32_e32 v9, v9, v11
	ds_bpermute_b32 v14, v12, v10
	ds_bpermute_b32 v11, v20, v9
	s_waitcnt lgkmcnt(2)
	v_add_f32_e32 v15, v15, v22
	ds_bpermute_b32 v22, v12, v15
	v_lshlrev_b32_e32 v21, 2, v21
	s_waitcnt lgkmcnt(2)
	v_add_f32_e32 v10, v10, v14
	s_waitcnt lgkmcnt(1)
	v_add_f32_e32 v9, v9, v11
	ds_bpermute_b32 v14, v20, v10
	ds_bpermute_b32 v11, v13, v9
	s_waitcnt lgkmcnt(2)
	v_add_f32_e32 v15, v15, v22
	ds_bpermute_b32 v22, v20, v15
	ds_bpermute_b32 v23, v0, v16
	s_waitcnt lgkmcnt(3)
	v_add_f32_e32 v10, v10, v14
	s_waitcnt lgkmcnt(2)
	v_add_f32_e32 v9, v9, v11
	ds_bpermute_b32 v14, v13, v10
	ds_bpermute_b32 v11, v21, v9
	s_cmp_lg_u64 s[16:17], 0
	s_cselect_b64 s[0:1], -1, 0
	s_cmp_eq_u32 s7, 0
	s_waitcnt lgkmcnt(1)
	v_add_f32_e32 v10, v10, v14
	v_add_f32_e32 v14, v15, v22
	;; [unrolled: 1-line block ×3, first 2 shown]
	s_waitcnt lgkmcnt(0)
	v_add_f32_e32 v9, v9, v11
	ds_bpermute_b32 v11, v0, v17
	ds_bpermute_b32 v16, v12, v15
	;; [unrolled: 1-line block ×4, first 2 shown]
	s_cselect_b64 s[8:9], -1, 0
	s_waitcnt lgkmcnt(3)
	v_add_f32_e32 v11, v17, v11
	s_waitcnt lgkmcnt(2)
	v_add_f32_e32 v15, v15, v16
	ds_bpermute_b32 v17, v12, v11
	ds_bpermute_b32 v16, v20, v15
	s_waitcnt lgkmcnt(3)
	v_add_f32_e32 v14, v14, v22
	ds_bpermute_b32 v22, v21, v14
	s_waitcnt lgkmcnt(3)
	v_add_f32_e32 v10, v10, v23
	s_waitcnt lgkmcnt(2)
	v_add_f32_e32 v11, v11, v17
	;; [unrolled: 2-line block ×3, first 2 shown]
	ds_bpermute_b32 v17, v20, v11
	ds_bpermute_b32 v16, v13, v15
	s_and_b64 s[0:1], s[8:9], s[0:1]
	s_and_b64 vcc, exec, s[0:1]
	s_waitcnt lgkmcnt(1)
	v_add_f32_e32 v17, v11, v17
	v_add_f32_e32 v11, v14, v22
	s_waitcnt lgkmcnt(0)
	v_add_f32_e32 v14, v15, v16
	ds_bpermute_b32 v16, v0, v18
	ds_bpermute_b32 v22, v0, v19
	;; [unrolled: 1-line block ×5, first 2 shown]
	s_waitcnt lgkmcnt(4)
	v_add_f32_e32 v16, v18, v16
	s_waitcnt lgkmcnt(3)
	v_add_f32_e32 v19, v19, v22
	;; [unrolled: 2-line block ×3, first 2 shown]
	ds_bpermute_b32 v18, v12, v16
	ds_bpermute_b32 v22, v12, v19
	;; [unrolled: 1-line block ×3, first 2 shown]
	s_waitcnt lgkmcnt(4)
	v_add_f32_e32 v17, v17, v23
	ds_bpermute_b32 v23, v21, v17
	s_waitcnt lgkmcnt(3)
	v_add_f32_e32 v16, v16, v18
	s_waitcnt lgkmcnt(2)
	v_add_f32_e32 v19, v19, v22
	;; [unrolled: 2-line block ×3, first 2 shown]
	ds_bpermute_b32 v18, v20, v16
	ds_bpermute_b32 v22, v20, v19
	;; [unrolled: 1-line block ×3, first 2 shown]
	s_waitcnt lgkmcnt(2)
	v_add_f32_e32 v16, v16, v18
	s_waitcnt lgkmcnt(1)
	v_add_f32_e32 v19, v19, v22
	s_waitcnt lgkmcnt(0)
	v_add_f32_e32 v0, v0, v12
	ds_bpermute_b32 v18, v13, v16
	ds_bpermute_b32 v20, v13, v19
	ds_bpermute_b32 v12, v13, v0
	v_add_f32_e32 v13, v17, v23
	s_waitcnt lgkmcnt(2)
	v_add_f32_e32 v16, v16, v18
	s_waitcnt lgkmcnt(1)
	;; [unrolled: 2-line block ×3, first 2 shown]
	v_add_f32_e32 v0, v0, v12
	ds_bpermute_b32 v18, v21, v16
	ds_bpermute_b32 v20, v21, v19
	;; [unrolled: 1-line block ×3, first 2 shown]
	v_add_f32_e32 v12, v14, v15
	s_waitcnt lgkmcnt(2)
	v_add_f32_e32 v14, v16, v18
	s_waitcnt lgkmcnt(1)
	;; [unrolled: 2-line block ×3, first 2 shown]
	v_add_f32_e32 v16, v0, v21
	s_cbranch_vccz .LBB0_13
; %bb.12:
	s_ashr_i32 s29, s28, 31
	s_lshl_b64 s[0:1], s[28:29], 2
	s_add_u32 s0, s16, s0
	s_addc_u32 s1, s17, s1
	v_mov_b32_e32 v0, 0
	global_load_dwordx4 v[17:20], v0, s[0:1]
	global_load_dwordx4 v[21:24], v0, s[0:1] offset:16
	v_max_f32_e32 v0, v1, v1
	v_max_f32_e32 v26, v2, v2
	s_mov_b32 s6, 0x3fb8aa3b
	v_max_f32_e32 v27, v3, v3
	s_mov_b32 s1, 0xc2ce8ed0
	s_mov_b32 s0, 0x42b17218
	v_mov_b32_e32 v34, 0x7f800000
	s_waitcnt vmcnt(1)
	v_max_f32_e32 v25, v17, v17
	v_max_f32_e32 v25, v0, v25
	v_max_f32_e32 v28, v18, v18
	v_sub_f32_e32 v0, v1, v25
	v_max_f32_e32 v26, v26, v28
	v_sub_f32_e32 v1, v17, v25
	v_mul_f32_e32 v17, 0x3fb8aa3b, v0
	v_max_f32_e32 v29, v19, v19
	v_sub_f32_e32 v2, v2, v26
	v_mul_f32_e32 v28, 0x3fb8aa3b, v1
	v_fma_f32 v35, v0, s6, -v17
	v_rndne_f32_e32 v36, v17
	v_max_f32_e32 v27, v27, v29
	v_sub_f32_e32 v18, v18, v26
	v_mul_f32_e32 v29, 0x3fb8aa3b, v2
	v_fma_f32 v37, v1, s6, -v28
	v_rndne_f32_e32 v38, v28
	v_fmac_f32_e32 v35, 0x32a5705f, v0
	v_sub_f32_e32 v17, v17, v36
	v_mul_f32_e32 v30, 0x3fb8aa3b, v18
	v_fma_f32 v39, v2, s6, -v29
	v_rndne_f32_e32 v40, v29
	v_fmac_f32_e32 v37, 0x32a5705f, v1
	v_sub_f32_e32 v28, v28, v38
	v_add_f32_e32 v17, v17, v35
	v_fma_f32 v41, v18, s6, -v30
	v_rndne_f32_e32 v42, v30
	v_cvt_i32_f32_e32 v36, v36
	v_fmac_f32_e32 v39, 0x32a5705f, v2
	v_sub_f32_e32 v29, v29, v40
	v_add_f32_e32 v28, v28, v37
	v_exp_f32_e32 v17, v17
	v_cvt_i32_f32_e32 v38, v38
	v_fmac_f32_e32 v41, 0x32a5705f, v18
	v_sub_f32_e32 v30, v30, v42
	v_add_f32_e32 v29, v29, v39
	v_exp_f32_e32 v28, v28
	v_cvt_i32_f32_e32 v40, v40
	v_add_f32_e32 v30, v30, v41
	v_exp_f32_e32 v29, v29
	v_cvt_i32_f32_e32 v42, v42
	v_exp_f32_e32 v30, v30
	v_ldexp_f32 v17, v17, v36
	v_cmp_ngt_f32_e32 vcc, s1, v0
	v_sub_f32_e32 v3, v3, v27
	v_ldexp_f32 v28, v28, v38
	v_cndmask_b32_e32 v17, 0, v17, vcc
	v_cmp_ngt_f32_e32 vcc, s1, v1
	v_mul_f32_e32 v31, 0x3fb8aa3b, v3
	v_ldexp_f32 v29, v29, v40
	v_cndmask_b32_e32 v28, 0, v28, vcc
	v_cmp_ngt_f32_e32 vcc, s1, v2
	v_fma_f32 v43, v3, s6, -v31
	v_rndne_f32_e32 v44, v31
	v_ldexp_f32 v30, v30, v42
	v_cndmask_b32_e32 v29, 0, v29, vcc
	v_cmp_ngt_f32_e32 vcc, s1, v18
	v_fmac_f32_e32 v43, 0x32a5705f, v3
	v_sub_f32_e32 v31, v31, v44
	v_cndmask_b32_e32 v30, 0, v30, vcc
	v_cmp_nlt_f32_e32 vcc, s0, v0
	v_add_f32_e32 v31, v31, v43
	v_cndmask_b32_e32 v0, v34, v17, vcc
	v_cmp_nlt_f32_e32 vcc, s0, v1
	v_sub_f32_e32 v19, v19, v27
	v_cvt_i32_f32_e32 v44, v44
	v_exp_f32_e32 v31, v31
	v_cndmask_b32_e32 v17, v34, v28, vcc
	v_cmp_nlt_f32_e32 vcc, s0, v2
	v_cvt_f16_f32_e32 v2, v0
	v_mul_f32_e32 v32, 0x3fb8aa3b, v19
	v_cndmask_b32_e32 v1, v34, v29, vcc
	v_fma_f32 v45, v19, s6, -v32
	v_rndne_f32_e32 v46, v32
	v_cvt_f16_f32_e32 v28, v1
	v_fmac_f32_e32 v45, 0x32a5705f, v19
	v_sub_f32_e32 v32, v32, v46
	v_cmp_nlt_f32_e32 vcc, s0, v18
	v_add_f32_e32 v32, v32, v45
	v_ldexp_f32 v31, v31, v44
	v_cndmask_b32_e32 v18, v34, v30, vcc
	v_fmac_f32_e32 v17, v9, v0
	v_mul_u32_u24_e32 v0, 0x10001, v2
	v_cmp_ngt_f32_e32 vcc, s1, v3
	v_cvt_i32_f32_e32 v46, v46
	v_exp_f32_e32 v32, v32
	v_pk_mul_f16 v85, v85, v0
	v_cndmask_b32_e32 v0, 0, v31, vcc
	v_cmp_nlt_f32_e32 vcc, s0, v3
	v_max_f32_e32 v2, v20, v20
	v_max_f32_e32 v3, v4, v4
	v_fmac_f32_e32 v18, v10, v1
	v_mul_u32_u24_e32 v1, 0x10001, v28
	v_max_f32_e32 v28, v3, v2
	v_sub_f32_e32 v2, v4, v28
	v_mul_f32_e32 v3, 0x3fb8aa3b, v2
	v_pk_mul_f16 v84, v84, v1
	v_cndmask_b32_e32 v0, v34, v0, vcc
	v_ldexp_f32 v1, v32, v46
	v_cmp_ngt_f32_e32 vcc, s1, v19
	v_fma_f32 v4, v2, s6, -v3
	v_rndne_f32_e32 v9, v3
	v_cndmask_b32_e32 v1, 0, v1, vcc
	v_cmp_nlt_f32_e32 vcc, s0, v19
	v_fmac_f32_e32 v4, 0x32a5705f, v2
	v_sub_f32_e32 v3, v3, v9
	v_cndmask_b32_e32 v19, v34, v1, vcc
	v_cvt_f16_f32_e32 v1, v0
	v_add_f32_e32 v3, v3, v4
	v_exp_f32_e32 v3, v3
	v_cvt_i32_f32_e32 v4, v9
	v_fmac_f32_e32 v19, v11, v0
	v_mul_u32_u24_e32 v0, 0x10001, v1
	v_sub_f32_e32 v1, v20, v28
	v_pk_mul_f16 v83, v83, v0
	v_ldexp_f32 v0, v3, v4
	v_mul_f32_e32 v3, 0x3fb8aa3b, v1
	v_fma_f32 v4, v1, s6, -v3
	v_rndne_f32_e32 v9, v3
	v_fmac_f32_e32 v4, 0x32a5705f, v1
	v_sub_f32_e32 v3, v3, v9
	v_add_f32_e32 v3, v3, v4
	v_exp_f32_e32 v3, v3
	v_cvt_i32_f32_e32 v4, v9
	v_cmp_ngt_f32_e32 vcc, s1, v2
	v_cndmask_b32_e32 v0, 0, v0, vcc
	v_cmp_nlt_f32_e32 vcc, s0, v2
	v_cndmask_b32_e32 v0, v34, v0, vcc
	v_ldexp_f32 v2, v3, v4
	v_cmp_ngt_f32_e32 vcc, s1, v1
	v_cndmask_b32_e32 v2, 0, v2, vcc
	v_cmp_nlt_f32_e32 vcc, s0, v1
	v_cndmask_b32_e32 v20, v34, v2, vcc
	s_waitcnt vmcnt(0)
	v_max_f32_e32 v2, v21, v21
	v_max_f32_e32 v3, v5, v5
	v_max_f32_e32 v29, v3, v2
	v_sub_f32_e32 v2, v5, v29
	v_mul_f32_e32 v3, 0x3fb8aa3b, v2
	v_fma_f32 v4, v2, s6, -v3
	v_rndne_f32_e32 v5, v3
	v_fmac_f32_e32 v4, 0x32a5705f, v2
	v_sub_f32_e32 v3, v3, v5
	v_cvt_f16_f32_e32 v1, v0
	v_add_f32_e32 v3, v3, v4
	v_exp_f32_e32 v3, v3
	v_cvt_i32_f32_e32 v4, v5
	v_fmac_f32_e32 v20, v12, v0
	v_mul_u32_u24_e32 v0, 0x10001, v1
	v_sub_f32_e32 v1, v21, v29
	v_pk_mul_f16 v82, v82, v0
	v_ldexp_f32 v0, v3, v4
	v_mul_f32_e32 v3, 0x3fb8aa3b, v1
	v_fma_f32 v4, v1, s6, -v3
	v_rndne_f32_e32 v5, v3
	v_fmac_f32_e32 v4, 0x32a5705f, v1
	v_sub_f32_e32 v3, v3, v5
	v_add_f32_e32 v3, v3, v4
	v_exp_f32_e32 v3, v3
	v_cvt_i32_f32_e32 v4, v5
	v_cmp_ngt_f32_e32 vcc, s1, v2
	v_cndmask_b32_e32 v0, 0, v0, vcc
	v_cmp_nlt_f32_e32 vcc, s0, v2
	v_cndmask_b32_e32 v0, v34, v0, vcc
	v_ldexp_f32 v2, v3, v4
	v_cmp_ngt_f32_e32 vcc, s1, v1
	v_cndmask_b32_e32 v2, 0, v2, vcc
	v_cmp_nlt_f32_e32 vcc, s0, v1
	v_cndmask_b32_e32 v21, v34, v2, vcc
	v_max_f32_e32 v2, v22, v22
	v_max_f32_e32 v3, v6, v6
	v_max_f32_e32 v30, v3, v2
	v_sub_f32_e32 v2, v6, v30
	v_mul_f32_e32 v3, 0x3fb8aa3b, v2
	v_fma_f32 v4, v2, s6, -v3
	v_rndne_f32_e32 v5, v3
	v_fmac_f32_e32 v4, 0x32a5705f, v2
	v_sub_f32_e32 v3, v3, v5
	v_cvt_f16_f32_e32 v1, v0
	v_add_f32_e32 v3, v3, v4
	v_exp_f32_e32 v3, v3
	v_cvt_i32_f32_e32 v4, v5
	v_fmac_f32_e32 v21, v13, v0
	v_mul_u32_u24_e32 v0, 0x10001, v1
	v_sub_f32_e32 v1, v22, v30
	v_pk_mul_f16 v81, v81, v0
	v_ldexp_f32 v0, v3, v4
	v_mul_f32_e32 v3, 0x3fb8aa3b, v1
	v_fma_f32 v4, v1, s6, -v3
	v_rndne_f32_e32 v5, v3
	v_fmac_f32_e32 v4, 0x32a5705f, v1
	v_sub_f32_e32 v3, v3, v5
	v_add_f32_e32 v3, v3, v4
	v_exp_f32_e32 v3, v3
	v_cvt_i32_f32_e32 v4, v5
	v_cmp_ngt_f32_e32 vcc, s1, v2
	v_cndmask_b32_e32 v0, 0, v0, vcc
	v_cmp_nlt_f32_e32 vcc, s0, v2
	v_cndmask_b32_e32 v0, v34, v0, vcc
	v_ldexp_f32 v2, v3, v4
	v_cmp_ngt_f32_e32 vcc, s1, v1
	v_cndmask_b32_e32 v2, 0, v2, vcc
	v_cmp_nlt_f32_e32 vcc, s0, v1
	v_cndmask_b32_e32 v22, v34, v2, vcc
	v_max_f32_e32 v2, v23, v23
	v_max_f32_e32 v3, v7, v7
	v_max_f32_e32 v31, v3, v2
	v_sub_f32_e32 v2, v7, v31
	v_mul_f32_e32 v3, 0x3fb8aa3b, v2
	v_fma_f32 v4, v2, s6, -v3
	v_rndne_f32_e32 v5, v3
	v_fmac_f32_e32 v4, 0x32a5705f, v2
	v_sub_f32_e32 v3, v3, v5
	v_cvt_f16_f32_e32 v1, v0
	v_add_f32_e32 v3, v3, v4
	v_exp_f32_e32 v3, v3
	v_cvt_i32_f32_e32 v4, v5
	v_fmac_f32_e32 v22, v14, v0
	v_mul_u32_u24_e32 v0, 0x10001, v1
	v_sub_f32_e32 v1, v23, v31
	v_pk_mul_f16 v80, v80, v0
	v_ldexp_f32 v0, v3, v4
	v_mul_f32_e32 v3, 0x3fb8aa3b, v1
	v_fma_f32 v4, v1, s6, -v3
	v_rndne_f32_e32 v5, v3
	v_fmac_f32_e32 v4, 0x32a5705f, v1
	v_sub_f32_e32 v3, v3, v5
	v_add_f32_e32 v3, v3, v4
	v_exp_f32_e32 v3, v3
	v_cvt_i32_f32_e32 v4, v5
	v_cmp_ngt_f32_e32 vcc, s1, v2
	v_cndmask_b32_e32 v0, 0, v0, vcc
	v_cmp_nlt_f32_e32 vcc, s0, v2
	v_cndmask_b32_e32 v0, v34, v0, vcc
	v_ldexp_f32 v2, v3, v4
	v_cmp_ngt_f32_e32 vcc, s1, v1
	v_cndmask_b32_e32 v2, 0, v2, vcc
	v_cmp_nlt_f32_e32 vcc, s0, v1
	v_cndmask_b32_e32 v23, v34, v2, vcc
	v_max_f32_e32 v2, v24, v24
	v_max_f32_e32 v3, v8, v8
	;; [unrolled: 1-line block ×3, first 2 shown]
	v_sub_f32_e32 v2, v8, v32
	v_mul_f32_e32 v3, 0x3fb8aa3b, v2
	v_fma_f32 v4, v2, s6, -v3
	v_rndne_f32_e32 v5, v3
	v_fmac_f32_e32 v4, 0x32a5705f, v2
	v_sub_f32_e32 v3, v3, v5
	v_cvt_f16_f32_e32 v1, v0
	v_add_f32_e32 v3, v3, v4
	v_exp_f32_e32 v3, v3
	v_cvt_i32_f32_e32 v4, v5
	v_fmac_f32_e32 v23, v15, v0
	v_mul_u32_u24_e32 v0, 0x10001, v1
	v_sub_f32_e32 v1, v24, v32
	v_pk_mul_f16 v79, v79, v0
	v_ldexp_f32 v0, v3, v4
	v_mul_f32_e32 v3, 0x3fb8aa3b, v1
	v_fma_f32 v4, v1, s6, -v3
	v_rndne_f32_e32 v5, v3
	v_fmac_f32_e32 v4, 0x32a5705f, v1
	v_sub_f32_e32 v3, v3, v5
	v_add_f32_e32 v3, v3, v4
	v_exp_f32_e32 v3, v3
	v_cvt_i32_f32_e32 v4, v5
	v_cmp_ngt_f32_e32 vcc, s1, v2
	v_cndmask_b32_e32 v0, 0, v0, vcc
	v_cmp_nlt_f32_e32 vcc, s0, v2
	v_cndmask_b32_e32 v0, v34, v0, vcc
	v_ldexp_f32 v2, v3, v4
	v_cvt_f16_f32_e32 v3, v0
	v_cmp_ngt_f32_e32 vcc, s1, v1
	v_cndmask_b32_e32 v2, 0, v2, vcc
	v_cmp_nlt_f32_e32 vcc, s0, v1
	v_cndmask_b32_e32 v24, v34, v2, vcc
	v_fmac_f32_e32 v24, v16, v0
	v_mul_u32_u24_e32 v0, 0x10001, v3
	v_mov_b32_e32 v1, v25
	v_pk_mul_f16 v78, v78, v0
	v_mov_b32_e32 v2, v26
	v_mov_b32_e32 v3, v27
	;; [unrolled: 1-line block ×15, first 2 shown]
	v_cmp_gt_i32_e32 vcc, s2, v48
	s_and_saveexec_b64 s[0:1], vcc
	s_cbranch_execnz .LBB0_14
	s_branch .LBB0_46
.LBB0_13:
	v_mov_b32_e32 v24, v16
	v_mov_b32_e32 v23, v15
	v_mov_b32_e32 v22, v14
	v_mov_b32_e32 v21, v13
	v_mov_b32_e32 v20, v12
	v_mov_b32_e32 v19, v11
	v_mov_b32_e32 v18, v10
	v_mov_b32_e32 v17, v9
	s_waitcnt vmcnt(0)
	v_cmp_gt_i32_e32 vcc, s2, v48
	s_and_saveexec_b64 s[0:1], vcc
	s_cbranch_execz .LBB0_46
.LBB0_14:
	s_load_dword s6, s[4:5], 0xd4
	v_mov_b32_e32 v25, 1.0
	s_waitcnt lgkmcnt(0)
	s_cmp_lg_u32 s6, 1
	s_cselect_b64 s[0:1], -1, 0
	s_cmp_eq_u32 s6, 1
	s_cselect_b64 s[4:5], -1, 0
	s_and_b64 vcc, exec, s[0:1]
	s_cbranch_vccnz .LBB0_16
; %bb.15:
	v_div_scale_f32 v0, s[8:9], v9, v9, 1.0
	v_div_scale_f32 v25, vcc, 1.0, v9, 1.0
	v_rcp_f32_e32 v26, v0
	v_fma_f32 v27, -v0, v26, 1.0
	v_fmac_f32_e32 v26, v27, v26
	v_mul_f32_e32 v27, v25, v26
	v_fma_f32 v28, -v0, v27, v25
	v_fmac_f32_e32 v27, v28, v26
	v_fma_f32 v0, -v0, v27, v25
	v_div_fmas_f32 v0, v0, v26, v27
	v_div_fixup_f32 v25, v0, v9, 1.0
.LBB0_16:
	s_mul_i32 s33, s33, s2
	v_add_u32_e32 v0, s33, v48
	v_mul_lo_u32 v0, v0, s3
	v_cvt_f32_f16_e32 v9, v85
	v_cvt_f32_f16_sdwa v27, v85 dst_sel:DWORD dst_unused:UNUSED_PAD src0_sel:WORD_1
	v_mov_b32_e32 v29, 0
	v_add_u32_e32 v0, s28, v0
	v_mul_lo_u32 v0, s6, v0
	v_mul_f32_e32 v26, v25, v9
	v_mul_f32_e32 v27, v25, v27
	v_cmp_eq_u32_e32 vcc, 0, v47
	v_add_u32_e32 v25, s7, v0
	v_lshl_add_u32 v28, v25, 6, v33
	v_lshlrev_b64 v[28:29], 2, v[28:29]
	s_and_b64 s[2:3], vcc, s[0:1]
	v_mov_b32_e32 v0, s21
	v_add_co_u32_e32 v28, vcc, s20, v28
	v_addc_co_u32_e32 v29, vcc, v0, v29, vcc
	global_store_dwordx2 v[28:29], v[26:27], off
	s_and_saveexec_b64 s[0:1], s[2:3]
	s_cbranch_execz .LBB0_18
; %bb.17:
	v_ashrrev_i32_e32 v26, 31, v25
	v_lshlrev_b64 v[26:27], 3, v[25:26]
	v_mov_b32_e32 v0, s23
	v_add_co_u32_e32 v26, vcc, s22, v26
	v_addc_co_u32_e32 v27, vcc, v0, v27, vcc
	v_mov_b32_e32 v0, v1
	v_mov_b32_e32 v1, v17
	global_store_dwordx2 v[26:27], v[0:1], off
.LBB0_18:
	s_or_b64 exec, exec, s[0:1]
	v_cndmask_b32_e64 v0, 0, 1, s[4:5]
	v_cmp_ne_u32_e64 s[0:1], 1, v0
	s_andn2_b64 vcc, exec, s[4:5]
	v_mov_b32_e32 v1, 1.0
	s_cbranch_vccnz .LBB0_20
; %bb.19:
	v_div_scale_f32 v0, s[4:5], v10, v10, 1.0
	v_div_scale_f32 v1, vcc, 1.0, v10, 1.0
	v_rcp_f32_e32 v9, v0
	v_fma_f32 v17, -v0, v9, 1.0
	v_fmac_f32_e32 v9, v17, v9
	v_mul_f32_e32 v17, v1, v9
	v_fma_f32 v26, -v0, v17, v1
	v_fmac_f32_e32 v17, v26, v9
	v_fma_f32 v0, -v0, v17, v1
	v_div_fmas_f32 v0, v0, v9, v17
	v_div_fixup_f32 v1, v0, v10, 1.0
.LBB0_20:
	v_cvt_f32_f16_e32 v9, v84
	v_cvt_f32_f16_sdwa v10, v84 dst_sel:DWORD dst_unused:UNUSED_PAD src0_sel:WORD_1
	v_add_u32_e32 v0, s6, v25
	v_lshl_add_u32 v25, v0, 6, v33
	v_mov_b32_e32 v26, 0
	v_lshlrev_b64 v[25:26], 2, v[25:26]
	v_mul_f32_e32 v9, v1, v9
	v_mul_f32_e32 v10, v1, v10
	v_mov_b32_e32 v1, s21
	v_add_co_u32_e32 v25, vcc, s20, v25
	v_addc_co_u32_e32 v26, vcc, v1, v26, vcc
	global_store_dwordx2 v[25:26], v[9:10], off
	s_and_saveexec_b64 s[4:5], s[2:3]
	s_cbranch_execz .LBB0_22
; %bb.21:
	v_ashrrev_i32_e32 v1, 31, v0
	v_lshlrev_b64 v[9:10], 3, v[0:1]
	v_mov_b32_e32 v1, s23
	v_add_co_u32_e32 v9, vcc, s22, v9
	v_addc_co_u32_e32 v10, vcc, v1, v10, vcc
	v_mov_b32_e32 v17, v2
	global_store_dwordx2 v[9:10], v[17:18], off
.LBB0_22:
	s_or_b64 exec, exec, s[4:5]
	s_and_b64 vcc, exec, s[0:1]
	v_mov_b32_e32 v1, 1.0
	s_cbranch_vccnz .LBB0_24
; %bb.23:
	v_div_scale_f32 v1, s[4:5], v11, v11, 1.0
	v_div_scale_f32 v2, vcc, 1.0, v11, 1.0
	v_rcp_f32_e32 v9, v1
	v_fma_f32 v10, -v1, v9, 1.0
	v_fmac_f32_e32 v9, v10, v9
	v_mul_f32_e32 v10, v2, v9
	v_fma_f32 v17, -v1, v10, v2
	v_fmac_f32_e32 v10, v17, v9
	v_fma_f32 v1, -v1, v10, v2
	v_div_fmas_f32 v1, v1, v9, v10
	v_div_fixup_f32 v1, v1, v11, 1.0
.LBB0_24:
	v_cvt_f32_f16_e32 v2, v83
	v_cvt_f32_f16_sdwa v10, v83 dst_sel:DWORD dst_unused:UNUSED_PAD src0_sel:WORD_1
	v_add_u32_e32 v0, s6, v0
	v_mov_b32_e32 v11, s21
	v_mul_f32_e32 v9, v1, v2
	v_mul_f32_e32 v10, v1, v10
	v_lshl_add_u32 v1, v0, 6, v33
	v_mov_b32_e32 v2, 0
	v_lshlrev_b64 v[1:2], 2, v[1:2]
	v_add_co_u32_e32 v1, vcc, s20, v1
	v_addc_co_u32_e32 v2, vcc, v11, v2, vcc
	global_store_dwordx2 v[1:2], v[9:10], off
	s_and_saveexec_b64 s[4:5], s[2:3]
	s_cbranch_execz .LBB0_26
; %bb.25:
	v_ashrrev_i32_e32 v1, 31, v0
	v_lshlrev_b64 v[1:2], 3, v[0:1]
	v_mov_b32_e32 v9, s23
	v_add_co_u32_e32 v1, vcc, s22, v1
	v_addc_co_u32_e32 v2, vcc, v9, v2, vcc
	v_mov_b32_e32 v18, v3
	global_store_dwordx2 v[1:2], v[18:19], off
.LBB0_26:
	s_or_b64 exec, exec, s[4:5]
	s_and_b64 vcc, exec, s[0:1]
	v_mov_b32_e32 v1, 1.0
	s_cbranch_vccnz .LBB0_28
; %bb.27:
	v_div_scale_f32 v1, s[4:5], v12, v12, 1.0
	v_div_scale_f32 v2, vcc, 1.0, v12, 1.0
	v_rcp_f32_e32 v3, v1
	v_fma_f32 v9, -v1, v3, 1.0
	v_fmac_f32_e32 v3, v9, v3
	v_mul_f32_e32 v9, v2, v3
	v_fma_f32 v10, -v1, v9, v2
	v_fmac_f32_e32 v9, v10, v3
	v_fma_f32 v1, -v1, v9, v2
	v_div_fmas_f32 v1, v1, v3, v9
	v_div_fixup_f32 v1, v1, v12, 1.0
.LBB0_28:
	v_cvt_f32_f16_e32 v2, v82
	v_cvt_f32_f16_sdwa v3, v82 dst_sel:DWORD dst_unused:UNUSED_PAD src0_sel:WORD_1
	v_add_u32_e32 v0, s6, v0
	v_lshl_add_u32 v9, v0, 6, v33
	v_mov_b32_e32 v10, 0
	v_lshlrev_b64 v[9:10], 2, v[9:10]
	v_mul_f32_e32 v2, v1, v2
	v_mul_f32_e32 v3, v1, v3
	v_mov_b32_e32 v1, s21
	v_add_co_u32_e32 v9, vcc, s20, v9
	v_addc_co_u32_e32 v10, vcc, v1, v10, vcc
	global_store_dwordx2 v[9:10], v[2:3], off
	s_and_saveexec_b64 s[4:5], s[2:3]
	s_cbranch_execz .LBB0_30
; %bb.29:
	v_ashrrev_i32_e32 v1, 31, v0
	v_lshlrev_b64 v[1:2], 3, v[0:1]
	v_mov_b32_e32 v3, s23
	v_add_co_u32_e32 v1, vcc, s22, v1
	v_addc_co_u32_e32 v2, vcc, v3, v2, vcc
	v_mov_b32_e32 v19, v4
	global_store_dwordx2 v[1:2], v[19:20], off
.LBB0_30:
	s_or_b64 exec, exec, s[4:5]
	s_and_b64 vcc, exec, s[0:1]
	v_mov_b32_e32 v1, 1.0
	s_cbranch_vccnz .LBB0_32
; %bb.31:
	v_div_scale_f32 v1, s[4:5], v13, v13, 1.0
	v_div_scale_f32 v2, vcc, 1.0, v13, 1.0
	v_rcp_f32_e32 v3, v1
	v_fma_f32 v4, -v1, v3, 1.0
	v_fmac_f32_e32 v3, v4, v3
	v_mul_f32_e32 v4, v2, v3
	v_fma_f32 v9, -v1, v4, v2
	v_fmac_f32_e32 v4, v9, v3
	v_fma_f32 v1, -v1, v4, v2
	v_div_fmas_f32 v1, v1, v3, v4
	v_div_fixup_f32 v1, v1, v13, 1.0
.LBB0_32:
	v_cvt_f32_f16_e32 v2, v81
	v_cvt_f32_f16_sdwa v3, v81 dst_sel:DWORD dst_unused:UNUSED_PAD src0_sel:WORD_1
	v_add_u32_e32 v0, s6, v0
	v_lshl_add_u32 v9, v0, 6, v33
	v_mov_b32_e32 v10, 0
	v_lshlrev_b64 v[9:10], 2, v[9:10]
	v_mul_f32_e32 v2, v1, v2
	v_mul_f32_e32 v3, v1, v3
	v_mov_b32_e32 v1, s21
	;; [unrolled: 40-line block ×5, first 2 shown]
	v_add_co_u32_e32 v4, vcc, s20, v4
	v_addc_co_u32_e32 v5, vcc, v1, v5, vcc
	global_store_dwordx2 v[4:5], v[2:3], off
	s_and_b64 exec, exec, s[2:3]
	s_cbranch_execz .LBB0_46
; %bb.45:
	v_ashrrev_i32_e32 v1, 31, v0
	v_lshlrev_b64 v[0:1], 3, v[0:1]
	v_mov_b32_e32 v2, s23
	v_add_co_u32_e32 v0, vcc, s22, v0
	v_addc_co_u32_e32 v1, vcc, v2, v1, vcc
	v_mov_b32_e32 v23, v8
	global_store_dwordx2 v[0:1], v[23:24], off
	s_endpgm
.LBB0_46:
	s_endpgm
	.section	.rodata,"a",@progbits
	.p2align	6, 0x0
	.amdhsa_kernel _ZL15flash_attn_tileILi64ELi64ELi8ELi8ELb0EEvPKcS1_S1_S1_S1_PKiPfP15HIP_vector_typeIfLj2EEffffjfiS5_IjLj3EEiiiiiiiiiiiliiliiiiil
		.amdhsa_group_segment_fixed_size 25600
		.amdhsa_private_segment_fixed_size 44
		.amdhsa_kernarg_size 464
		.amdhsa_user_sgpr_count 6
		.amdhsa_user_sgpr_private_segment_buffer 1
		.amdhsa_user_sgpr_dispatch_ptr 0
		.amdhsa_user_sgpr_queue_ptr 0
		.amdhsa_user_sgpr_kernarg_segment_ptr 1
		.amdhsa_user_sgpr_dispatch_id 0
		.amdhsa_user_sgpr_flat_scratch_init 0
		.amdhsa_user_sgpr_private_segment_size 0
		.amdhsa_uses_dynamic_stack 0
		.amdhsa_system_sgpr_private_segment_wavefront_offset 1
		.amdhsa_system_sgpr_workgroup_id_x 1
		.amdhsa_system_sgpr_workgroup_id_y 1
		.amdhsa_system_sgpr_workgroup_id_z 1
		.amdhsa_system_sgpr_workgroup_info 0
		.amdhsa_system_vgpr_workitem_id 1
		.amdhsa_next_free_vgpr 128
		.amdhsa_next_free_sgpr 98
		.amdhsa_reserve_vcc 1
		.amdhsa_reserve_flat_scratch 0
		.amdhsa_float_round_mode_32 0
		.amdhsa_float_round_mode_16_64 0
		.amdhsa_float_denorm_mode_32 3
		.amdhsa_float_denorm_mode_16_64 3
		.amdhsa_dx10_clamp 1
		.amdhsa_ieee_mode 1
		.amdhsa_fp16_overflow 0
		.amdhsa_exception_fp_ieee_invalid_op 0
		.amdhsa_exception_fp_denorm_src 0
		.amdhsa_exception_fp_ieee_div_zero 0
		.amdhsa_exception_fp_ieee_overflow 0
		.amdhsa_exception_fp_ieee_underflow 0
		.amdhsa_exception_fp_ieee_inexact 0
		.amdhsa_exception_int_div_zero 0
	.end_amdhsa_kernel
	.section	.text._ZL15flash_attn_tileILi64ELi64ELi8ELi8ELb0EEvPKcS1_S1_S1_S1_PKiPfP15HIP_vector_typeIfLj2EEffffjfiS5_IjLj3EEiiiiiiiiiiiliiliiiiil,"axG",@progbits,_ZL15flash_attn_tileILi64ELi64ELi8ELi8ELb0EEvPKcS1_S1_S1_S1_PKiPfP15HIP_vector_typeIfLj2EEffffjfiS5_IjLj3EEiiiiiiiiiiiliiliiiiil,comdat
.Lfunc_end0:
	.size	_ZL15flash_attn_tileILi64ELi64ELi8ELi8ELb0EEvPKcS1_S1_S1_S1_PKiPfP15HIP_vector_typeIfLj2EEffffjfiS5_IjLj3EEiiiiiiiiiiiliiliiiiil, .Lfunc_end0-_ZL15flash_attn_tileILi64ELi64ELi8ELi8ELb0EEvPKcS1_S1_S1_S1_PKiPfP15HIP_vector_typeIfLj2EEffffjfiS5_IjLj3EEiiiiiiiiiiiliiliiiiil
                                        ; -- End function
	.set _ZL15flash_attn_tileILi64ELi64ELi8ELi8ELb0EEvPKcS1_S1_S1_S1_PKiPfP15HIP_vector_typeIfLj2EEffffjfiS5_IjLj3EEiiiiiiiiiiiliiliiiiil.num_vgpr, 128
	.set _ZL15flash_attn_tileILi64ELi64ELi8ELi8ELb0EEvPKcS1_S1_S1_S1_PKiPfP15HIP_vector_typeIfLj2EEffffjfiS5_IjLj3EEiiiiiiiiiiiliiliiiiil.num_agpr, 0
	.set _ZL15flash_attn_tileILi64ELi64ELi8ELi8ELb0EEvPKcS1_S1_S1_S1_PKiPfP15HIP_vector_typeIfLj2EEffffjfiS5_IjLj3EEiiiiiiiiiiiliiliiiiil.numbered_sgpr, 44
	.set _ZL15flash_attn_tileILi64ELi64ELi8ELi8ELb0EEvPKcS1_S1_S1_S1_PKiPfP15HIP_vector_typeIfLj2EEffffjfiS5_IjLj3EEiiiiiiiiiiiliiliiiiil.num_named_barrier, 0
	.set _ZL15flash_attn_tileILi64ELi64ELi8ELi8ELb0EEvPKcS1_S1_S1_S1_PKiPfP15HIP_vector_typeIfLj2EEffffjfiS5_IjLj3EEiiiiiiiiiiiliiliiiiil.private_seg_size, 44
	.set _ZL15flash_attn_tileILi64ELi64ELi8ELi8ELb0EEvPKcS1_S1_S1_S1_PKiPfP15HIP_vector_typeIfLj2EEffffjfiS5_IjLj3EEiiiiiiiiiiiliiliiiiil.uses_vcc, 1
	.set _ZL15flash_attn_tileILi64ELi64ELi8ELi8ELb0EEvPKcS1_S1_S1_S1_PKiPfP15HIP_vector_typeIfLj2EEffffjfiS5_IjLj3EEiiiiiiiiiiiliiliiiiil.uses_flat_scratch, 0
	.set _ZL15flash_attn_tileILi64ELi64ELi8ELi8ELb0EEvPKcS1_S1_S1_S1_PKiPfP15HIP_vector_typeIfLj2EEffffjfiS5_IjLj3EEiiiiiiiiiiiliiliiiiil.has_dyn_sized_stack, 0
	.set _ZL15flash_attn_tileILi64ELi64ELi8ELi8ELb0EEvPKcS1_S1_S1_S1_PKiPfP15HIP_vector_typeIfLj2EEffffjfiS5_IjLj3EEiiiiiiiiiiiliiliiiiil.has_recursion, 0
	.set _ZL15flash_attn_tileILi64ELi64ELi8ELi8ELb0EEvPKcS1_S1_S1_S1_PKiPfP15HIP_vector_typeIfLj2EEffffjfiS5_IjLj3EEiiiiiiiiiiiliiliiiiil.has_indirect_call, 0
	.section	.AMDGPU.csdata,"",@progbits
; Kernel info:
; codeLenInByte = 24160
; TotalNumSgprs: 48
; NumVgprs: 128
; ScratchSize: 44
; MemoryBound: 0
; FloatMode: 240
; IeeeMode: 1
; LDSByteSize: 25600 bytes/workgroup (compile time only)
; SGPRBlocks: 12
; VGPRBlocks: 31
; NumSGPRsForWavesPerEU: 102
; NumVGPRsForWavesPerEU: 128
; Occupancy: 2
; WaveLimiterHint : 1
; COMPUTE_PGM_RSRC2:SCRATCH_EN: 1
; COMPUTE_PGM_RSRC2:USER_SGPR: 6
; COMPUTE_PGM_RSRC2:TRAP_HANDLER: 0
; COMPUTE_PGM_RSRC2:TGID_X_EN: 1
; COMPUTE_PGM_RSRC2:TGID_Y_EN: 1
; COMPUTE_PGM_RSRC2:TGID_Z_EN: 1
; COMPUTE_PGM_RSRC2:TIDIG_COMP_CNT: 1
	.section	.text._ZL25flash_attn_mask_to_KV_maxILi8EEvPK7__half2Piiii,"axG",@progbits,_ZL25flash_attn_mask_to_KV_maxILi8EEvPK7__half2Piiii,comdat
	.globl	_ZL25flash_attn_mask_to_KV_maxILi8EEvPK7__half2Piiii ; -- Begin function _ZL25flash_attn_mask_to_KV_maxILi8EEvPK7__half2Piiii
	.p2align	8
	.type	_ZL25flash_attn_mask_to_KV_maxILi8EEvPK7__half2Piiii,@function
_ZL25flash_attn_mask_to_KV_maxILi8EEvPK7__half2Piiii: ; @_ZL25flash_attn_mask_to_KV_maxILi8EEvPK7__half2Piiii
; %bb.0:
	s_load_dwordx4 s[8:11], s[4:5], 0x0
	v_cmp_gt_u32_e32 vcc, 32, v0
	s_and_saveexec_b64 s[0:1], vcc
; %bb.1:
	v_lshlrev_b32_e32 v1, 2, v0
	v_mov_b32_e32 v2, 1
	ds_write_b32 v1, v2
; %bb.2:
	s_or_b64 exec, exec, s[0:1]
	s_load_dwordx4 s[12:15], s[4:5], 0x10
	s_load_dword s33, s[4:5], 0x20
	v_and_b32_e32 v1, 31, v0
	v_lshlrev_b32_e32 v6, 2, v1
	v_lshrrev_b32_e32 v5, 3, v0
	s_waitcnt lgkmcnt(0)
	s_mul_i32 s1, s6, s13
	s_mul_i32 s0, s14, s7
	s_lshl_b32 s1, s1, 3
	s_add_i32 s0, s0, s1
	s_ashr_i32 s1, s0, 31
	s_lshl_b64 s[0:1], s[0:1], 2
	s_add_u32 s40, s8, s0
	s_addc_u32 s41, s9, s1
	v_cmp_eq_u32_e64 s[0:1], 0, v1
	v_mbcnt_lo_u32_b32 v1, -1, 0
	s_lshl_b32 s12, s12, 8
	s_mov_b64 s[4:5], 0
	v_mov_b32_e32 v2, 0
	s_movk_i32 s42, 0x204
	v_mbcnt_hi_u32_b32 v7, -1, v1
	s_barrier
                                        ; implicit-def: $sgpr2_sgpr3
	s_branch .LBB1_5
.LBB1_3:                                ;   in Loop: Header=BB1_5 Depth=1
	s_or_b64 exec, exec, s[8:9]
	s_waitcnt lgkmcnt(0)
	s_barrier
	ds_read_b32 v10, v6
	s_waitcnt lgkmcnt(0)
	s_barrier
	ds_bpermute_b32 v1, v1, v10
	v_cmp_ne_u32_e32 vcc, 0, v10
	s_waitcnt lgkmcnt(0)
	v_cmp_ne_u32_e64 s[2:3], 0, v1
	s_and_b64 s[2:3], vcc, s[2:3]
	v_cndmask_b32_e64 v1, 0, 1, s[2:3]
	ds_bpermute_b32 v1, v3, v1
	s_waitcnt lgkmcnt(0)
	v_cmp_ne_u32_e32 vcc, 0, v1
	s_and_b64 s[2:3], vcc, s[2:3]
	v_cndmask_b32_e64 v1, 0, 1, s[2:3]
	ds_bpermute_b32 v1, v4, v1
	s_waitcnt lgkmcnt(0)
	v_cmp_ne_u32_e32 vcc, 0, v1
	;; [unrolled: 5-line block ×3, first 2 shown]
	s_and_b64 s[2:3], vcc, s[2:3]
	v_cndmask_b32_e64 v1, 0, 1, s[2:3]
	ds_bpermute_b32 v1, v9, v1
	s_xor_b64 s[2:3], s[2:3], -1
	s_waitcnt lgkmcnt(0)
	v_cmp_eq_u32_e32 vcc, 0, v1
	s_or_b64 s[2:3], vcc, s[2:3]
.LBB1_4:                                ;   in Loop: Header=BB1_5 Depth=1
	s_and_b64 s[8:9], exec, s[2:3]
	s_or_b64 s[4:5], s[8:9], s[4:5]
	v_mov_b32_e32 v1, s12
	s_mov_b32 s12, s43
	s_andn2_b64 exec, exec, s[4:5]
	s_cbranch_execz .LBB1_36
.LBB1_5:                                ; =>This Inner Loop Header: Depth=1
	s_add_i32 s43, s12, 0xffffff00
	s_or_b64 s[2:3], s[2:3], exec
	s_cmp_lt_i32 s43, 0
	s_cbranch_scc1 .LBB1_4
; %bb.6:                                ;   in Loop: Header=BB1_5 Depth=1
	s_lshr_b32 s2, s43, 1
	v_add_u32_e32 v1, s2, v0
	v_lshlrev_b64 v[3:4], 2, v[1:2]
	v_mov_b32_e32 v8, s41
	v_add_co_u32_e32 v3, vcc, s40, v3
	v_addc_co_u32_e32 v4, vcc, v8, v4, vcc
	global_load_dword v3, v[3:4], off
	v_mov_b32_e32 v4, 0
	s_waitcnt vmcnt(0)
	v_cmp_class_f16_e64 s[2:3], v3, s42
	v_cmp_class_f16_sdwa s[8:9], v3, s42 src0_sel:WORD_1 src1_sel:DWORD
	s_and_b64 s[8:9], s[2:3], s[8:9]
	s_and_saveexec_b64 s[2:3], s[8:9]
	s_cbranch_execz .LBB1_34
; %bb.7:                                ;   in Loop: Header=BB1_5 Depth=1
	v_add_u32_e32 v3, s13, v1
	v_ashrrev_i32_e32 v4, 31, v3
	v_lshlrev_b64 v[8:9], 2, v[3:4]
	v_mov_b32_e32 v1, s41
	v_add_co_u32_e32 v8, vcc, s40, v8
	v_addc_co_u32_e32 v9, vcc, v1, v9, vcc
	global_load_dword v1, v[8:9], off
	v_mov_b32_e32 v4, 0
	s_waitcnt vmcnt(0)
	v_cmp_class_f16_e64 s[14:15], v1, s42
	s_and_saveexec_b64 s[8:9], s[14:15]
	s_cbranch_execz .LBB1_33
; %bb.8:                                ;   in Loop: Header=BB1_5 Depth=1
	v_cmp_class_f16_sdwa s[16:17], v1, s42 src0_sel:WORD_1 src1_sel:DWORD
	v_mov_b32_e32 v4, 0
	s_and_saveexec_b64 s[14:15], s[16:17]
	s_cbranch_execz .LBB1_32
; %bb.9:                                ;   in Loop: Header=BB1_5 Depth=1
	v_add_u32_e32 v3, s13, v3
	v_ashrrev_i32_e32 v4, 31, v3
	v_lshlrev_b64 v[8:9], 2, v[3:4]
	v_mov_b32_e32 v1, s41
	v_add_co_u32_e32 v8, vcc, s40, v8
	v_addc_co_u32_e32 v9, vcc, v1, v9, vcc
	global_load_dword v1, v[8:9], off
	v_mov_b32_e32 v4, 0
	s_waitcnt vmcnt(0)
	v_cmp_class_f16_e64 s[18:19], v1, s42
	s_and_saveexec_b64 s[16:17], s[18:19]
	s_cbranch_execz .LBB1_31
; %bb.10:                               ;   in Loop: Header=BB1_5 Depth=1
	v_cmp_class_f16_sdwa s[20:21], v1, s42 src0_sel:WORD_1 src1_sel:DWORD
	v_mov_b32_e32 v4, 0
	s_and_saveexec_b64 s[18:19], s[20:21]
	s_cbranch_execz .LBB1_30
; %bb.11:                               ;   in Loop: Header=BB1_5 Depth=1
	v_add_u32_e32 v3, s13, v3
	v_ashrrev_i32_e32 v4, 31, v3
	v_lshlrev_b64 v[8:9], 2, v[3:4]
	v_mov_b32_e32 v1, s41
	v_add_co_u32_e32 v8, vcc, s40, v8
	v_addc_co_u32_e32 v9, vcc, v1, v9, vcc
	global_load_dword v1, v[8:9], off
	v_mov_b32_e32 v4, 0
	s_waitcnt vmcnt(0)
	v_cmp_class_f16_e64 s[22:23], v1, s42
	s_and_saveexec_b64 s[20:21], s[22:23]
	s_cbranch_execz .LBB1_29
; %bb.12:                               ;   in Loop: Header=BB1_5 Depth=1
	v_cmp_class_f16_sdwa s[24:25], v1, s42 src0_sel:WORD_1 src1_sel:DWORD
	v_mov_b32_e32 v4, 0
	s_and_saveexec_b64 s[22:23], s[24:25]
	s_cbranch_execz .LBB1_28
; %bb.13:                               ;   in Loop: Header=BB1_5 Depth=1
	;; [unrolled: 18-line block ×5, first 2 shown]
	v_add_u32_e32 v3, s13, v3
	v_ashrrev_i32_e32 v4, 31, v3
	v_lshlrev_b64 v[3:4], 2, v[3:4]
	v_mov_b32_e32 v1, s41
	v_add_co_u32_e32 v3, vcc, s40, v3
	v_addc_co_u32_e32 v4, vcc, v1, v4, vcc
	global_load_dword v1, v[3:4], off
	v_mov_b32_e32 v4, 0
	s_waitcnt vmcnt(0)
	v_cmp_class_f16_e64 s[44:45], v1, s42
	s_and_saveexec_b64 s[38:39], s[44:45]
; %bb.20:                               ;   in Loop: Header=BB1_5 Depth=1
	v_cmp_class_f16_sdwa s[44:45], v1, s42 src0_sel:WORD_1 src1_sel:DWORD
	v_cndmask_b32_e64 v4, 0, 1, s[44:45]
; %bb.21:                               ;   in Loop: Header=BB1_5 Depth=1
	s_or_b64 exec, exec, s[38:39]
.LBB1_22:                               ;   in Loop: Header=BB1_5 Depth=1
	s_or_b64 exec, exec, s[36:37]
.LBB1_23:                               ;   in Loop: Header=BB1_5 Depth=1
	s_or_b64 exec, exec, s[34:35]
.LBB1_24:                               ;   in Loop: Header=BB1_5 Depth=1
	s_or_b64 exec, exec, s[30:31]
.LBB1_25:                               ;   in Loop: Header=BB1_5 Depth=1
	s_or_b64 exec, exec, s[28:29]
.LBB1_26:                               ;   in Loop: Header=BB1_5 Depth=1
	s_or_b64 exec, exec, s[26:27]
.LBB1_27:                               ;   in Loop: Header=BB1_5 Depth=1
	s_or_b64 exec, exec, s[24:25]
.LBB1_28:                               ;   in Loop: Header=BB1_5 Depth=1
	s_or_b64 exec, exec, s[22:23]
.LBB1_29:                               ;   in Loop: Header=BB1_5 Depth=1
	s_or_b64 exec, exec, s[20:21]
.LBB1_30:                               ;   in Loop: Header=BB1_5 Depth=1
	s_or_b64 exec, exec, s[18:19]
.LBB1_31:                               ;   in Loop: Header=BB1_5 Depth=1
	s_or_b64 exec, exec, s[16:17]
.LBB1_32:                               ;   in Loop: Header=BB1_5 Depth=1
	s_or_b64 exec, exec, s[14:15]
.LBB1_33:                               ;   in Loop: Header=BB1_5 Depth=1
	s_or_b64 exec, exec, s[8:9]
.LBB1_34:                               ;   in Loop: Header=BB1_5 Depth=1
	s_or_b64 exec, exec, s[2:3]
	v_and_b32_e32 v1, 0x60, v7
	v_add_u32_e32 v9, 32, v1
	v_xor_b32_e32 v1, 16, v7
	v_cmp_lt_i32_e32 vcc, v1, v9
	v_cndmask_b32_e32 v1, v7, v1, vcc
	v_lshlrev_b32_e32 v1, 2, v1
	ds_bpermute_b32 v3, v1, v4
	v_cmp_ne_u32_e32 vcc, 0, v4
	v_xor_b32_e32 v11, 1, v7
	s_waitcnt lgkmcnt(0)
	v_cmp_ne_u32_e64 s[2:3], 0, v3
	v_xor_b32_e32 v3, 8, v7
	s_and_b64 s[2:3], vcc, s[2:3]
	v_cmp_lt_i32_e32 vcc, v3, v9
	v_cndmask_b32_e32 v3, v7, v3, vcc
	v_cndmask_b32_e64 v4, 0, 1, s[2:3]
	v_lshlrev_b32_e32 v3, 2, v3
	ds_bpermute_b32 v4, v3, v4
	s_waitcnt lgkmcnt(0)
	v_cmp_ne_u32_e32 vcc, 0, v4
	v_xor_b32_e32 v4, 4, v7
	s_and_b64 s[2:3], vcc, s[2:3]
	v_cmp_lt_i32_e32 vcc, v4, v9
	v_cndmask_b32_e32 v4, v7, v4, vcc
	v_cndmask_b32_e64 v8, 0, 1, s[2:3]
	v_lshlrev_b32_e32 v4, 2, v4
	ds_bpermute_b32 v8, v4, v8
	s_waitcnt lgkmcnt(0)
	v_cmp_ne_u32_e32 vcc, 0, v8
	;; [unrolled: 9-line block ×3, first 2 shown]
	s_and_b64 s[2:3], vcc, s[2:3]
	v_cmp_lt_i32_e32 vcc, v11, v9
	v_cndmask_b32_e32 v9, v7, v11, vcc
	v_cndmask_b32_e64 v10, 0, 1, s[2:3]
	v_lshlrev_b32_e32 v9, 2, v9
	ds_bpermute_b32 v10, v9, v10
	s_and_saveexec_b64 s[8:9], s[0:1]
	s_cbranch_execz .LBB1_3
; %bb.35:                               ;   in Loop: Header=BB1_5 Depth=1
	s_waitcnt lgkmcnt(0)
	v_cmp_ne_u32_e32 vcc, 0, v10
	s_and_b64 s[2:3], vcc, s[2:3]
	v_cndmask_b32_e64 v10, 0, 1, s[2:3]
	ds_write_b32 v5, v10
	s_branch .LBB1_3
.LBB1_36:
	s_or_b64 exec, exec, s[4:5]
	v_cmp_eq_u32_e32 vcc, 0, v0
	s_and_saveexec_b64 s[0:1], vcc
	s_cbranch_execz .LBB1_38
; %bb.37:
	s_mul_i32 s0, s33, s7
	s_add_i32 s0, s0, s6
	s_ashr_i32 s1, s0, 31
	s_lshl_b64 s[0:1], s[0:1], 2
	s_add_u32 s0, s10, s0
	s_addc_u32 s1, s11, s1
	v_mov_b32_e32 v0, 0
	global_store_dword v0, v1, s[0:1]
.LBB1_38:
	s_endpgm
	.section	.rodata,"a",@progbits
	.p2align	6, 0x0
	.amdhsa_kernel _ZL25flash_attn_mask_to_KV_maxILi8EEvPK7__half2Piiii
		.amdhsa_group_segment_fixed_size 128
		.amdhsa_private_segment_fixed_size 0
		.amdhsa_kernarg_size 288
		.amdhsa_user_sgpr_count 6
		.amdhsa_user_sgpr_private_segment_buffer 1
		.amdhsa_user_sgpr_dispatch_ptr 0
		.amdhsa_user_sgpr_queue_ptr 0
		.amdhsa_user_sgpr_kernarg_segment_ptr 1
		.amdhsa_user_sgpr_dispatch_id 0
		.amdhsa_user_sgpr_flat_scratch_init 0
		.amdhsa_user_sgpr_private_segment_size 0
		.amdhsa_uses_dynamic_stack 0
		.amdhsa_system_sgpr_private_segment_wavefront_offset 0
		.amdhsa_system_sgpr_workgroup_id_x 1
		.amdhsa_system_sgpr_workgroup_id_y 1
		.amdhsa_system_sgpr_workgroup_id_z 0
		.amdhsa_system_sgpr_workgroup_info 0
		.amdhsa_system_vgpr_workitem_id 0
		.amdhsa_next_free_vgpr 12
		.amdhsa_next_free_sgpr 46
		.amdhsa_reserve_vcc 1
		.amdhsa_reserve_flat_scratch 0
		.amdhsa_float_round_mode_32 0
		.amdhsa_float_round_mode_16_64 0
		.amdhsa_float_denorm_mode_32 3
		.amdhsa_float_denorm_mode_16_64 3
		.amdhsa_dx10_clamp 1
		.amdhsa_ieee_mode 1
		.amdhsa_fp16_overflow 0
		.amdhsa_exception_fp_ieee_invalid_op 0
		.amdhsa_exception_fp_denorm_src 0
		.amdhsa_exception_fp_ieee_div_zero 0
		.amdhsa_exception_fp_ieee_overflow 0
		.amdhsa_exception_fp_ieee_underflow 0
		.amdhsa_exception_fp_ieee_inexact 0
		.amdhsa_exception_int_div_zero 0
	.end_amdhsa_kernel
	.section	.text._ZL25flash_attn_mask_to_KV_maxILi8EEvPK7__half2Piiii,"axG",@progbits,_ZL25flash_attn_mask_to_KV_maxILi8EEvPK7__half2Piiii,comdat
.Lfunc_end1:
	.size	_ZL25flash_attn_mask_to_KV_maxILi8EEvPK7__half2Piiii, .Lfunc_end1-_ZL25flash_attn_mask_to_KV_maxILi8EEvPK7__half2Piiii
                                        ; -- End function
	.set _ZL25flash_attn_mask_to_KV_maxILi8EEvPK7__half2Piiii.num_vgpr, 12
	.set _ZL25flash_attn_mask_to_KV_maxILi8EEvPK7__half2Piiii.num_agpr, 0
	.set _ZL25flash_attn_mask_to_KV_maxILi8EEvPK7__half2Piiii.numbered_sgpr, 46
	.set _ZL25flash_attn_mask_to_KV_maxILi8EEvPK7__half2Piiii.num_named_barrier, 0
	.set _ZL25flash_attn_mask_to_KV_maxILi8EEvPK7__half2Piiii.private_seg_size, 0
	.set _ZL25flash_attn_mask_to_KV_maxILi8EEvPK7__half2Piiii.uses_vcc, 1
	.set _ZL25flash_attn_mask_to_KV_maxILi8EEvPK7__half2Piiii.uses_flat_scratch, 0
	.set _ZL25flash_attn_mask_to_KV_maxILi8EEvPK7__half2Piiii.has_dyn_sized_stack, 0
	.set _ZL25flash_attn_mask_to_KV_maxILi8EEvPK7__half2Piiii.has_recursion, 0
	.set _ZL25flash_attn_mask_to_KV_maxILi8EEvPK7__half2Piiii.has_indirect_call, 0
	.section	.AMDGPU.csdata,"",@progbits
; Kernel info:
; codeLenInByte = 1360
; TotalNumSgprs: 50
; NumVgprs: 12
; ScratchSize: 0
; MemoryBound: 0
; FloatMode: 240
; IeeeMode: 1
; LDSByteSize: 128 bytes/workgroup (compile time only)
; SGPRBlocks: 6
; VGPRBlocks: 2
; NumSGPRsForWavesPerEU: 50
; NumVGPRsForWavesPerEU: 12
; Occupancy: 10
; WaveLimiterHint : 0
; COMPUTE_PGM_RSRC2:SCRATCH_EN: 0
; COMPUTE_PGM_RSRC2:USER_SGPR: 6
; COMPUTE_PGM_RSRC2:TRAP_HANDLER: 0
; COMPUTE_PGM_RSRC2:TGID_X_EN: 1
; COMPUTE_PGM_RSRC2:TGID_Y_EN: 1
; COMPUTE_PGM_RSRC2:TGID_Z_EN: 0
; COMPUTE_PGM_RSRC2:TIDIG_COMP_CNT: 0
	.section	.text._ZL33flash_attn_stream_k_fixup_uniformILi64ELi8ELi8EEvPfPK15HIP_vector_typeIfLj2EEiiiiiiS1_IjLj3EES5_S5_,"axG",@progbits,_ZL33flash_attn_stream_k_fixup_uniformILi64ELi8ELi8EEvPfPK15HIP_vector_typeIfLj2EEiiiiiiS1_IjLj3EES5_S5_,comdat
	.globl	_ZL33flash_attn_stream_k_fixup_uniformILi64ELi8ELi8EEvPfPK15HIP_vector_typeIfLj2EEiiiiiiS1_IjLj3EES5_S5_ ; -- Begin function _ZL33flash_attn_stream_k_fixup_uniformILi64ELi8ELi8EEvPfPK15HIP_vector_typeIfLj2EEiiiiiiS1_IjLj3EES5_S5_
	.p2align	8
	.type	_ZL33flash_attn_stream_k_fixup_uniformILi64ELi8ELi8EEvPfPK15HIP_vector_typeIfLj2EEiiiiiiS1_IjLj3EES5_S5_,@function
_ZL33flash_attn_stream_k_fixup_uniformILi64ELi8ELi8EEvPfPK15HIP_vector_typeIfLj2EEiiiiiiS1_IjLj3EES5_S5_: ; @_ZL33flash_attn_stream_k_fixup_uniformILi64ELi8ELi8EEvPfPK15HIP_vector_typeIfLj2EEiiiiiiS1_IjLj3EES5_S5_
; %bb.0:
	s_load_dwordx8 s[12:19], s[4:5], 0x1c
	s_load_dwordx2 s[10:11], s[4:5], 0x10
	s_load_dwordx4 s[0:3], s[4:5], 0x3c
	s_waitcnt lgkmcnt(0)
	s_mul_hi_u32 s9, s15, s6
	s_add_i32 s9, s6, s9
	s_lshr_b32 s9, s9, s16
	s_mul_i32 s15, s9, s17
	s_sub_i32 s15, s6, s15
	s_mul_hi_u32 s16, s15, s18
	s_add_i32 s16, s15, s16
	s_lshr_b32 s16, s16, s19
	s_mul_i32 s0, s16, s0
	s_sub_i32 s0, s15, s0
	;; [unrolled: 5-line block ×3, first 2 shown]
	s_lshl_b32 s0, s17, 3
	s_lshl_b32 s15, s1, 3
	s_add_i32 s0, s0, s7
	s_cmp_lt_i32 s0, s10
	s_cselect_b64 s[0:1], -1, 0
	s_add_i32 s2, s15, s8
	s_cmp_lt_i32 s2, s13
	s_cselect_b64 s[2:3], -1, 0
	s_and_b64 s[0:1], s[0:1], s[2:3]
	s_andn2_b64 vcc, exec, s[0:1]
	s_cbranch_vccnz .LBB2_6
; %bb.1:
	s_load_dwordx4 s[0:3], s[4:5], 0x0
	s_mul_i32 s4, s9, s10
	s_add_i32 s4, s4, s7
	s_mul_i32 s4, s4, s11
	s_mul_i32 s16, s16, s13
	s_add_i32 s4, s4, s8
	s_add_i32 s4, s4, s16
	s_mul_i32 s5, s11, s17
	s_add_i32 s4, s4, s15
	s_lshl_b32 s5, s5, 9
	s_lshl_b32 s4, s4, 6
	s_add_i32 s5, s5, s4
	v_or_b32_e32 v1, s5, v0
	v_ashrrev_i32_e32 v2, 31, v1
	v_lshlrev_b64 v[1:2], 2, v[1:2]
	s_waitcnt lgkmcnt(0)
	v_mov_b32_e32 v3, s1
	v_add_co_u32_e32 v1, vcc, s0, v1
	v_addc_co_u32_e32 v2, vcc, v3, v2, vcc
	global_load_dword v8, v[1:2], off
	s_mul_i32 s9, s14, s6
	s_lshl_b32 s4, s7, 3
	s_add_i32 s11, s9, s14
	s_add_i32 s0, s4, s8
	s_lshl_b32 s1, s11, 6
	s_add_i32 s0, s0, s1
	s_sub_i32 s0, s0, 64
	s_ashr_i32 s1, s0, 31
	s_lshl_b64 s[0:1], s[0:1], 3
	s_add_u32 s0, s2, s0
	s_addc_u32 s1, s3, s1
	s_load_dword s5, s[0:1], 0x4
	s_add_i32 s10, s11, -2
	s_cmp_lt_i32 s10, s9
	s_cbranch_scc1 .LBB2_4
; %bb.2:
	s_lshl_b32 s16, s12, 8
	s_ashr_i32 s17, s16, 31
	s_lshl_b64 s[16:17], s[16:17], 2
	s_add_u32 s10, s2, s16
	s_addc_u32 s13, s3, s17
	s_add_i32 s6, s6, 1
	s_load_dword s0, s[0:1], 0x0
	s_mul_i32 s1, s14, s6
	s_lshl_b32 s7, s7, 9
	s_lshl_b32 s14, s8, 6
	;; [unrolled: 1-line block ×3, first 2 shown]
	s_add_i32 s7, s14, s7
	s_lshl_b32 s1, s1, 6
	s_add_i32 s7, s7, s6
	s_add_i32 s1, s8, s1
	s_lshl_b32 s6, s12, 6
	s_add_i32 s1, s1, s6
	v_or_b32_e32 v0, s7, v0
	s_add_i32 s1, s1, s4
	s_add_i32 s11, s11, -1
	v_add_u32_e32 v3, 0xffffe000, v0
	s_add_i32 s4, s1, 0xffffff80
	s_waitcnt lgkmcnt(0)
	v_mov_b32_e32 v7, s5
	v_mov_b32_e32 v6, s0
	;; [unrolled: 1-line block ×3, first 2 shown]
	s_mov_b32 s6, 0x3fb8aa3b
	s_mov_b32 s7, 0xc2ce8ed0
	;; [unrolled: 1-line block ×3, first 2 shown]
	v_mov_b32_e32 v5, 0x7f800000
	s_mov_b32 s12, 0xc1a00000
.LBB2_3:                                ; =>This Inner Loop Header: Depth=1
	v_ashrrev_i32_e32 v4, 31, v3
	v_lshlrev_b64 v[9:10], 2, v[3:4]
	s_ashr_i32 s5, s4, 31
	v_add_co_u32_e32 v9, vcc, s10, v9
	v_addc_co_u32_e32 v10, vcc, v0, v10, vcc
	global_load_dword v4, v[9:10], off
	s_lshl_b64 s[0:1], s[4:5], 3
	s_add_u32 s0, s2, s0
	s_addc_u32 s1, s3, s1
	s_load_dwordx2 s[14:15], s[0:1], 0x0
	s_waitcnt vmcnt(1)
	v_mov_b32_e32 v9, v8
	v_max_f32_e32 v8, v6, v6
	v_mov_b32_e32 v10, v7
	s_add_i32 s11, s11, -1
	s_waitcnt lgkmcnt(0)
	v_max_f32_e64 v7, s14, s14
	v_max_f32_e32 v7, v8, v7
	v_sub_f32_e32 v11, s14, v7
	v_sub_f32_e32 v8, v6, v7
	v_mul_f32_e32 v12, 0x3fb8aa3b, v11
	v_mov_b32_e32 v6, v7
	v_mul_f32_e32 v7, 0x3fb8aa3b, v8
	v_fma_f32 v15, v11, s6, -v12
	v_rndne_f32_e32 v16, v12
	v_fma_f32 v13, v8, s6, -v7
	v_rndne_f32_e32 v14, v7
	v_fmac_f32_e32 v15, 0x32a5705f, v11
	v_sub_f32_e32 v12, v12, v16
	v_fmac_f32_e32 v13, 0x32a5705f, v8
	v_sub_f32_e32 v7, v7, v14
	v_add_f32_e32 v12, v12, v15
	v_cvt_i32_f32_e32 v16, v16
	v_add_f32_e32 v7, v7, v13
	v_exp_f32_e32 v12, v12
	v_cvt_i32_f32_e32 v14, v14
	v_exp_f32_e32 v7, v7
	v_cmp_ngt_f32_e32 vcc, s7, v11
	v_ldexp_f32 v12, v12, v16
	v_cmp_ngt_f32_e64 s[0:1], s7, v8
	v_ldexp_f32 v7, v7, v14
	v_cndmask_b32_e32 v12, 0, v12, vcc
	v_cmp_nlt_f32_e32 vcc, s8, v11
	v_cndmask_b32_e64 v7, 0, v7, s[0:1]
	v_cmp_nlt_f32_e64 s[0:1], s8, v8
	v_cndmask_b32_e32 v12, v5, v12, vcc
	v_cmp_le_f32_e32 vcc, s12, v11
	v_cndmask_b32_e64 v7, v5, v7, s[0:1]
	v_cmp_le_f32_e64 s[0:1], s12, v8
	v_cndmask_b32_e32 v8, 0, v12, vcc
	s_sub_i32 s4, s4, 64
	v_cndmask_b32_e64 v11, 0, v7, s[0:1]
	v_mul_f32_e32 v7, s15, v8
	v_add_u32_e32 v3, 0xfffff000, v3
	s_cmp_le_i32 s11, s9
	v_fmac_f32_e32 v7, v10, v11
	s_waitcnt vmcnt(0)
	v_mul_f32_e32 v8, v4, v8
	v_fmac_f32_e32 v8, v9, v11
	s_cbranch_scc0 .LBB2_3
	s_branch .LBB2_5
.LBB2_4:
	s_waitcnt lgkmcnt(0)
	v_mov_b32_e32 v7, s5
.LBB2_5:
	s_waitcnt vmcnt(0)
	v_div_scale_f32 v0, s[0:1], v7, v7, v8
	v_div_scale_f32 v3, vcc, v8, v7, v8
	v_rcp_f32_e32 v4, v0
	v_fma_f32 v5, -v0, v4, 1.0
	v_fmac_f32_e32 v4, v5, v4
	v_mul_f32_e32 v5, v3, v4
	v_fma_f32 v6, -v0, v5, v3
	v_fmac_f32_e32 v5, v6, v4
	v_fma_f32 v0, -v0, v5, v3
	v_div_fmas_f32 v0, v0, v4, v5
	v_div_fixup_f32 v0, v0, v7, v8
	global_store_dword v[1:2], v0, off
.LBB2_6:
	s_endpgm
	.section	.rodata,"a",@progbits
	.p2align	6, 0x0
	.amdhsa_kernel _ZL33flash_attn_stream_k_fixup_uniformILi64ELi8ELi8EEvPfPK15HIP_vector_typeIfLj2EEiiiiiiS1_IjLj3EES5_S5_
		.amdhsa_group_segment_fixed_size 0
		.amdhsa_private_segment_fixed_size 0
		.amdhsa_kernarg_size 76
		.amdhsa_user_sgpr_count 6
		.amdhsa_user_sgpr_private_segment_buffer 1
		.amdhsa_user_sgpr_dispatch_ptr 0
		.amdhsa_user_sgpr_queue_ptr 0
		.amdhsa_user_sgpr_kernarg_segment_ptr 1
		.amdhsa_user_sgpr_dispatch_id 0
		.amdhsa_user_sgpr_flat_scratch_init 0
		.amdhsa_user_sgpr_private_segment_size 0
		.amdhsa_uses_dynamic_stack 0
		.amdhsa_system_sgpr_private_segment_wavefront_offset 0
		.amdhsa_system_sgpr_workgroup_id_x 1
		.amdhsa_system_sgpr_workgroup_id_y 1
		.amdhsa_system_sgpr_workgroup_id_z 1
		.amdhsa_system_sgpr_workgroup_info 0
		.amdhsa_system_vgpr_workitem_id 0
		.amdhsa_next_free_vgpr 17
		.amdhsa_next_free_sgpr 20
		.amdhsa_reserve_vcc 1
		.amdhsa_reserve_flat_scratch 0
		.amdhsa_float_round_mode_32 0
		.amdhsa_float_round_mode_16_64 0
		.amdhsa_float_denorm_mode_32 3
		.amdhsa_float_denorm_mode_16_64 3
		.amdhsa_dx10_clamp 1
		.amdhsa_ieee_mode 1
		.amdhsa_fp16_overflow 0
		.amdhsa_exception_fp_ieee_invalid_op 0
		.amdhsa_exception_fp_denorm_src 0
		.amdhsa_exception_fp_ieee_div_zero 0
		.amdhsa_exception_fp_ieee_overflow 0
		.amdhsa_exception_fp_ieee_underflow 0
		.amdhsa_exception_fp_ieee_inexact 0
		.amdhsa_exception_int_div_zero 0
	.end_amdhsa_kernel
	.section	.text._ZL33flash_attn_stream_k_fixup_uniformILi64ELi8ELi8EEvPfPK15HIP_vector_typeIfLj2EEiiiiiiS1_IjLj3EES5_S5_,"axG",@progbits,_ZL33flash_attn_stream_k_fixup_uniformILi64ELi8ELi8EEvPfPK15HIP_vector_typeIfLj2EEiiiiiiS1_IjLj3EES5_S5_,comdat
.Lfunc_end2:
	.size	_ZL33flash_attn_stream_k_fixup_uniformILi64ELi8ELi8EEvPfPK15HIP_vector_typeIfLj2EEiiiiiiS1_IjLj3EES5_S5_, .Lfunc_end2-_ZL33flash_attn_stream_k_fixup_uniformILi64ELi8ELi8EEvPfPK15HIP_vector_typeIfLj2EEiiiiiiS1_IjLj3EES5_S5_
                                        ; -- End function
	.set _ZL33flash_attn_stream_k_fixup_uniformILi64ELi8ELi8EEvPfPK15HIP_vector_typeIfLj2EEiiiiiiS1_IjLj3EES5_S5_.num_vgpr, 17
	.set _ZL33flash_attn_stream_k_fixup_uniformILi64ELi8ELi8EEvPfPK15HIP_vector_typeIfLj2EEiiiiiiS1_IjLj3EES5_S5_.num_agpr, 0
	.set _ZL33flash_attn_stream_k_fixup_uniformILi64ELi8ELi8EEvPfPK15HIP_vector_typeIfLj2EEiiiiiiS1_IjLj3EES5_S5_.numbered_sgpr, 20
	.set _ZL33flash_attn_stream_k_fixup_uniformILi64ELi8ELi8EEvPfPK15HIP_vector_typeIfLj2EEiiiiiiS1_IjLj3EES5_S5_.num_named_barrier, 0
	.set _ZL33flash_attn_stream_k_fixup_uniformILi64ELi8ELi8EEvPfPK15HIP_vector_typeIfLj2EEiiiiiiS1_IjLj3EES5_S5_.private_seg_size, 0
	.set _ZL33flash_attn_stream_k_fixup_uniformILi64ELi8ELi8EEvPfPK15HIP_vector_typeIfLj2EEiiiiiiS1_IjLj3EES5_S5_.uses_vcc, 1
	.set _ZL33flash_attn_stream_k_fixup_uniformILi64ELi8ELi8EEvPfPK15HIP_vector_typeIfLj2EEiiiiiiS1_IjLj3EES5_S5_.uses_flat_scratch, 0
	.set _ZL33flash_attn_stream_k_fixup_uniformILi64ELi8ELi8EEvPfPK15HIP_vector_typeIfLj2EEiiiiiiS1_IjLj3EES5_S5_.has_dyn_sized_stack, 0
	.set _ZL33flash_attn_stream_k_fixup_uniformILi64ELi8ELi8EEvPfPK15HIP_vector_typeIfLj2EEiiiiiiS1_IjLj3EES5_S5_.has_recursion, 0
	.set _ZL33flash_attn_stream_k_fixup_uniformILi64ELi8ELi8EEvPfPK15HIP_vector_typeIfLj2EEiiiiiiS1_IjLj3EES5_S5_.has_indirect_call, 0
	.section	.AMDGPU.csdata,"",@progbits
; Kernel info:
; codeLenInByte = 860
; TotalNumSgprs: 24
; NumVgprs: 17
; ScratchSize: 0
; MemoryBound: 0
; FloatMode: 240
; IeeeMode: 1
; LDSByteSize: 0 bytes/workgroup (compile time only)
; SGPRBlocks: 2
; VGPRBlocks: 4
; NumSGPRsForWavesPerEU: 24
; NumVGPRsForWavesPerEU: 17
; Occupancy: 10
; WaveLimiterHint : 0
; COMPUTE_PGM_RSRC2:SCRATCH_EN: 0
; COMPUTE_PGM_RSRC2:USER_SGPR: 6
; COMPUTE_PGM_RSRC2:TRAP_HANDLER: 0
; COMPUTE_PGM_RSRC2:TGID_X_EN: 1
; COMPUTE_PGM_RSRC2:TGID_Y_EN: 1
; COMPUTE_PGM_RSRC2:TGID_Z_EN: 1
; COMPUTE_PGM_RSRC2:TIDIG_COMP_CNT: 0
	.section	.text._ZL33flash_attn_stream_k_fixup_generalILi64ELi8ELi8EEvPfPK15HIP_vector_typeIfLj2EEiiiiS1_IjLj3EES5_S5_S5_,"axG",@progbits,_ZL33flash_attn_stream_k_fixup_generalILi64ELi8ELi8EEvPfPK15HIP_vector_typeIfLj2EEiiiiS1_IjLj3EES5_S5_S5_,comdat
	.globl	_ZL33flash_attn_stream_k_fixup_generalILi64ELi8ELi8EEvPfPK15HIP_vector_typeIfLj2EEiiiiS1_IjLj3EES5_S5_S5_ ; -- Begin function _ZL33flash_attn_stream_k_fixup_generalILi64ELi8ELi8EEvPfPK15HIP_vector_typeIfLj2EEiiiiS1_IjLj3EES5_S5_S5_
	.p2align	8
	.type	_ZL33flash_attn_stream_k_fixup_generalILi64ELi8ELi8EEvPfPK15HIP_vector_typeIfLj2EEiiiiS1_IjLj3EES5_S5_S5_,@function
_ZL33flash_attn_stream_k_fixup_generalILi64ELi8ELi8EEvPfPK15HIP_vector_typeIfLj2EEiiiiS1_IjLj3EES5_S5_S5_: ; @_ZL33flash_attn_stream_k_fixup_generalILi64ELi8ELi8EEvPfPK15HIP_vector_typeIfLj2EEiiiiS1_IjLj3EES5_S5_S5_
; %bb.0:
	s_load_dwordx4 s[0:3], s[4:5], 0x10
	s_load_dword s22, s[4:5], 0x50
	s_mov_b32 s12, 0
	s_waitcnt lgkmcnt(0)
	s_mul_hi_i32 s13, s3, s6
	s_cmp_lg_u64 s[12:13], 0
	s_mul_i32 s9, s3, s6
	s_cbranch_scc0 .LBB3_20
; %bb.1:
	s_add_u32 s10, s22, 0
	s_addc_u32 s11, 0, 0
	s_xor_b64 s[10:11], s[10:11], 0
	v_cvt_f32_u32_e32 v1, s10
	v_cvt_f32_u32_e32 v2, s11
	s_sub_u32 s12, 0, s10
	s_subb_u32 s18, 0, s11
	v_madmk_f32 v1, v2, 0x4f800000, v1
	v_rcp_f32_e32 v1, v1
	v_mul_f32_e32 v1, 0x5f7ffffc, v1
	v_mul_f32_e32 v2, 0x2f800000, v1
	v_trunc_f32_e32 v2, v2
	v_madmk_f32 v1, v2, 0xcf800000, v1
	v_cvt_u32_f32_e32 v2, v2
	v_cvt_u32_f32_e32 v1, v1
	v_readfirstlane_b32 s19, v2
	v_readfirstlane_b32 s14, v1
	s_mul_i32 s15, s12, s19
	s_mul_hi_u32 s21, s12, s14
	s_mul_i32 s20, s18, s14
	s_add_i32 s15, s21, s15
	s_add_i32 s15, s15, s20
	s_mul_i32 s23, s12, s14
	s_mul_i32 s21, s14, s15
	s_mul_hi_u32 s24, s14, s23
	s_mul_hi_u32 s20, s14, s15
	s_add_u32 s21, s24, s21
	s_addc_u32 s20, 0, s20
	s_mul_hi_u32 s25, s19, s23
	s_mul_i32 s23, s19, s23
	s_add_u32 s21, s21, s23
	s_mul_hi_u32 s24, s19, s15
	s_addc_u32 s20, s20, s25
	s_addc_u32 s21, s24, 0
	s_mul_i32 s15, s19, s15
	s_add_u32 s15, s20, s15
	s_addc_u32 s20, 0, s21
	s_add_u32 s21, s14, s15
	s_cselect_b64 s[14:15], -1, 0
	s_cmp_lg_u64 s[14:15], 0
	s_addc_u32 s19, s19, s20
	s_mul_i32 s14, s12, s19
	s_mul_hi_u32 s15, s12, s21
	s_add_i32 s14, s15, s14
	s_mul_i32 s18, s18, s21
	s_add_i32 s14, s14, s18
	s_mul_i32 s12, s12, s21
	s_mul_hi_u32 s18, s19, s12
	s_mul_i32 s20, s19, s12
	s_mul_i32 s24, s21, s14
	s_mul_hi_u32 s12, s21, s12
	s_mul_hi_u32 s23, s21, s14
	s_add_u32 s12, s12, s24
	s_addc_u32 s23, 0, s23
	s_add_u32 s12, s12, s20
	s_mul_hi_u32 s15, s19, s14
	s_addc_u32 s12, s23, s18
	s_addc_u32 s15, s15, 0
	s_mul_i32 s14, s19, s14
	s_add_u32 s12, s12, s14
	s_addc_u32 s18, 0, s15
	s_add_u32 s20, s21, s12
	s_cselect_b64 s[14:15], -1, 0
	s_cmp_lg_u64 s[14:15], 0
	s_addc_u32 s18, s19, s18
	s_ashr_i32 s14, s13, 31
	s_add_u32 s12, s9, s14
	s_mov_b32 s15, s14
	s_addc_u32 s13, s13, s14
	s_xor_b64 s[12:13], s[12:13], s[14:15]
	s_mul_i32 s21, s12, s18
	s_mul_hi_u32 s23, s12, s20
	s_mul_hi_u32 s19, s12, s18
	s_add_u32 s21, s23, s21
	s_addc_u32 s19, 0, s19
	s_mul_hi_u32 s24, s13, s20
	s_mul_i32 s20, s13, s20
	s_add_u32 s20, s21, s20
	s_mul_hi_u32 s23, s13, s18
	s_addc_u32 s19, s19, s24
	s_addc_u32 s20, s23, 0
	s_mul_i32 s18, s13, s18
	s_add_u32 s23, s19, s18
	s_addc_u32 s24, 0, s20
	s_mul_i32 s18, s10, s24
	s_mul_hi_u32 s19, s10, s23
	s_add_i32 s18, s19, s18
	s_mul_i32 s19, s11, s23
	s_add_i32 s25, s18, s19
	s_sub_i32 s20, s13, s25
	s_mul_i32 s18, s10, s23
	s_sub_u32 s12, s12, s18
	s_cselect_b64 s[18:19], -1, 0
	s_cmp_lg_u64 s[18:19], 0
	s_subb_u32 s26, s20, s11
	s_sub_u32 s27, s12, s10
	s_cselect_b64 s[20:21], -1, 0
	s_cmp_lg_u64 s[20:21], 0
	s_subb_u32 s20, s26, 0
	s_cmp_ge_u32 s20, s11
	s_cselect_b32 s21, -1, 0
	s_cmp_ge_u32 s27, s10
	s_cselect_b32 s26, -1, 0
	s_cmp_eq_u32 s20, s11
	s_cselect_b32 s20, s26, s21
	s_add_u32 s21, s23, 1
	s_addc_u32 s26, s24, 0
	s_add_u32 s27, s23, 2
	s_addc_u32 s28, s24, 0
	s_cmp_lg_u32 s20, 0
	s_cselect_b32 s20, s27, s21
	s_cselect_b32 s21, s28, s26
	s_cmp_lg_u64 s[18:19], 0
	s_subb_u32 s13, s13, s25
	s_cmp_ge_u32 s13, s11
	s_cselect_b32 s18, -1, 0
	s_cmp_ge_u32 s12, s10
	s_cselect_b32 s10, -1, 0
	s_cmp_eq_u32 s13, s11
	s_cselect_b32 s10, s10, s18
	s_cmp_lg_u32 s10, 0
	s_cselect_b32 s11, s21, s24
	s_cselect_b32 s10, s20, s23
	s_xor_b64 s[12:13], s[14:15], 0
	s_xor_b64 s[10:11], s[10:11], s[12:13]
	s_sub_u32 s10, s10, s12
	s_load_dwordx4 s[12:15], s[4:5], 0x44
	s_cbranch_execnz .LBB3_3
.LBB3_2:
	v_cvt_f32_u32_e32 v1, s22
	s_sub_i32 s10, 0, s22
	v_rcp_iflag_f32_e32 v1, v1
	v_mul_f32_e32 v1, 0x4f7ffffe, v1
	v_cvt_u32_f32_e32 v1, v1
	v_readfirstlane_b32 s11, v1
	s_mul_i32 s10, s10, s11
	s_mul_hi_u32 s10, s11, s10
	s_add_i32 s11, s11, s10
	s_mul_hi_u32 s10, s9, s11
	s_waitcnt lgkmcnt(0)
	s_mul_i32 s15, s10, s22
	s_sub_i32 s9, s9, s15
	s_add_i32 s11, s10, 1
	s_sub_i32 s15, s9, s22
	s_cmp_ge_u32 s9, s22
	s_cselect_b32 s10, s11, s10
	s_cselect_b32 s9, s15, s9
	s_add_i32 s11, s10, 1
	s_cmp_ge_u32 s9, s22
	s_cselect_b32 s10, s11, s10
.LBB3_3:
	s_add_i32 s9, s6, 1
	s_mul_hi_i32 s21, s3, s9
	s_mov_b32 s20, 0
	s_cmp_lg_u64 s[20:21], 0
	s_mul_i32 s9, s3, s9
	s_cbranch_scc0 .LBB3_21
; %bb.4:
	s_add_u32 s16, s22, 0
	s_addc_u32 s17, 0, 0
	s_xor_b64 s[18:19], s[16:17], 0
	v_cvt_f32_u32_e32 v1, s18
	v_cvt_f32_u32_e32 v2, s19
	s_sub_u32 s11, 0, s18
	s_waitcnt lgkmcnt(0)
	s_subb_u32 s15, 0, s19
	v_madmk_f32 v1, v2, 0x4f800000, v1
	v_rcp_f32_e32 v1, v1
	v_mul_f32_e32 v1, 0x5f7ffffc, v1
	v_mul_f32_e32 v2, 0x2f800000, v1
	v_trunc_f32_e32 v2, v2
	v_madmk_f32 v1, v2, 0xcf800000, v1
	v_cvt_u32_f32_e32 v2, v2
	v_cvt_u32_f32_e32 v1, v1
	v_readfirstlane_b32 s20, v2
	v_readfirstlane_b32 s23, v1
	s_mul_i32 s24, s11, s20
	s_mul_hi_u32 s26, s11, s23
	s_mul_i32 s25, s15, s23
	s_add_i32 s24, s26, s24
	s_add_i32 s24, s24, s25
	s_mul_i32 s27, s11, s23
	s_mul_i32 s26, s23, s24
	s_mul_hi_u32 s28, s23, s27
	s_mul_hi_u32 s25, s23, s24
	s_add_u32 s26, s28, s26
	s_addc_u32 s25, 0, s25
	s_mul_hi_u32 s29, s20, s27
	s_mul_i32 s27, s20, s27
	s_add_u32 s26, s26, s27
	s_mul_hi_u32 s28, s20, s24
	s_addc_u32 s25, s25, s29
	s_addc_u32 s26, s28, 0
	s_mul_i32 s24, s20, s24
	s_add_u32 s24, s25, s24
	s_addc_u32 s26, 0, s26
	s_add_u32 s23, s23, s24
	s_cselect_b64 s[24:25], -1, 0
	s_cmp_lg_u64 s[24:25], 0
	s_addc_u32 s20, s20, s26
	s_mul_i32 s24, s11, s20
	s_mul_hi_u32 s25, s11, s23
	s_add_i32 s24, s25, s24
	s_mul_i32 s15, s15, s23
	s_add_i32 s24, s24, s15
	s_mul_i32 s11, s11, s23
	s_mul_hi_u32 s25, s20, s11
	s_mul_i32 s26, s20, s11
	s_mul_i32 s28, s23, s24
	s_mul_hi_u32 s11, s23, s11
	s_mul_hi_u32 s27, s23, s24
	s_add_u32 s11, s11, s28
	s_addc_u32 s27, 0, s27
	s_add_u32 s11, s11, s26
	s_mul_hi_u32 s15, s20, s24
	s_addc_u32 s11, s27, s25
	s_addc_u32 s15, s15, 0
	s_mul_i32 s24, s20, s24
	s_add_u32 s11, s11, s24
	s_addc_u32 s15, 0, s15
	s_add_u32 s11, s23, s11
	s_cselect_b64 s[24:25], -1, 0
	s_cmp_lg_u64 s[24:25], 0
	s_addc_u32 s15, s20, s15
	s_ashr_i32 s24, s21, 31
	s_add_u32 s20, s9, s24
	s_mov_b32 s25, s24
	s_addc_u32 s21, s21, s24
	s_xor_b64 s[20:21], s[20:21], s[24:25]
	s_mul_i32 s26, s20, s15
	s_mul_hi_u32 s27, s20, s11
	s_mul_hi_u32 s23, s20, s15
	s_add_u32 s26, s27, s26
	s_addc_u32 s23, 0, s23
	s_mul_hi_u32 s28, s21, s11
	s_mul_i32 s11, s21, s11
	s_add_u32 s11, s26, s11
	s_mul_hi_u32 s27, s21, s15
	s_addc_u32 s11, s23, s28
	s_addc_u32 s23, s27, 0
	s_mul_i32 s15, s21, s15
	s_add_u32 s11, s11, s15
	s_addc_u32 s15, 0, s23
	s_mul_i32 s23, s18, s15
	s_mul_hi_u32 s26, s18, s11
	s_add_i32 s23, s26, s23
	s_mul_i32 s26, s19, s11
	s_add_i32 s23, s23, s26
	s_sub_i32 s28, s21, s23
	s_mul_i32 s26, s18, s11
	s_sub_u32 s20, s20, s26
	s_cselect_b64 s[26:27], -1, 0
	s_cmp_lg_u64 s[26:27], 0
	s_subb_u32 s30, s28, s19
	s_sub_u32 s31, s20, s18
	s_cselect_b64 s[28:29], -1, 0
	s_cmp_lg_u64 s[28:29], 0
	s_subb_u32 s28, s30, 0
	s_cmp_ge_u32 s28, s19
	s_cselect_b32 s29, -1, 0
	s_cmp_ge_u32 s31, s18
	s_cselect_b32 s30, -1, 0
	s_cmp_eq_u32 s28, s19
	s_cselect_b32 s28, s30, s29
	s_add_u32 s29, s11, 1
	s_addc_u32 s30, s15, 0
	s_add_u32 s31, s11, 2
	s_addc_u32 s33, s15, 0
	s_cmp_lg_u32 s28, 0
	s_cselect_b32 s28, s31, s29
	s_cselect_b32 s29, s33, s30
	s_cmp_lg_u64 s[26:27], 0
	s_subb_u32 s21, s21, s23
	s_cmp_ge_u32 s21, s19
	s_cselect_b32 s23, -1, 0
	s_cmp_ge_u32 s20, s18
	s_cselect_b32 s18, -1, 0
	s_cmp_eq_u32 s21, s19
	s_cselect_b32 s18, s18, s23
	s_cmp_lg_u32 s18, 0
	s_cselect_b32 s19, s29, s15
	s_cselect_b32 s18, s28, s11
	s_xor_b64 s[20:21], s[24:25], 0
	s_xor_b64 s[18:19], s[18:19], s[20:21]
	s_sub_u32 s18, s18, s20
	s_cbranch_execnz .LBB3_6
.LBB3_5:
	v_cvt_f32_u32_e32 v1, s22
	s_sub_i32 s11, 0, s22
	v_rcp_iflag_f32_e32 v1, v1
	v_mul_f32_e32 v1, 0x4f7ffffe, v1
	v_cvt_u32_f32_e32 v1, v1
	s_waitcnt lgkmcnt(0)
	v_readfirstlane_b32 s15, v1
	s_mul_i32 s11, s11, s15
	s_mul_hi_u32 s11, s15, s11
	s_add_i32 s15, s15, s11
	s_mul_hi_u32 s11, s9, s15
	s_mul_i32 s16, s11, s22
	s_sub_i32 s9, s9, s16
	s_add_i32 s15, s11, 1
	s_sub_i32 s16, s9, s22
	s_cmp_ge_u32 s9, s22
	s_cselect_b32 s11, s15, s11
	s_cselect_b32 s9, s16, s9
	s_add_i32 s15, s11, 1
	s_cmp_ge_u32 s9, s22
	s_cselect_b32 s18, s15, s11
.LBB3_6:
	s_cmp_eq_u32 s10, s18
	s_waitcnt lgkmcnt(0)
	s_mul_hi_u32 s9, s10, s12
	s_cselect_b64 s[16:17], -1, 0
	s_add_i32 s9, s9, s10
	s_lshr_b32 s11, s9, s13
	s_mul_i32 s9, s11, s14
	s_cmp_eq_u32 s9, s10
	s_mul_hi_u32 s9, s18, s12
	s_cselect_b64 s[20:21], -1, 0
	s_add_i32 s9, s9, s18
	s_lshr_b32 s9, s9, s13
	s_cmp_eq_u32 s11, s9
	s_mul_i32 s9, s9, s14
	s_cselect_b64 s[24:25], -1, 0
	s_cmp_lg_u32 s9, s18
	s_cselect_b64 s[18:19], -1, 0
	s_and_b64 s[18:19], s[24:25], s[18:19]
	s_or_b64 s[16:17], s[16:17], s[20:21]
	s_or_b64 s[16:17], s[16:17], s[18:19]
	s_and_b64 vcc, exec, s[16:17]
	s_cbranch_vccnz .LBB3_23
; %bb.7:
	s_load_dwordx8 s[24:31], s[4:5], 0x20
	s_load_dword s15, s[4:5], 0x40
	s_waitcnt lgkmcnt(0)
	s_mul_hi_u32 s9, s10, s24
	s_add_i32 s9, s9, s10
	s_lshr_b32 s9, s9, s25
	s_mul_i32 s16, s9, s26
	s_sub_i32 s16, s10, s16
	s_mul_hi_u32 s17, s16, s27
	s_add_i32 s17, s16, s17
	s_lshr_b32 s23, s17, s28
	s_mul_i32 s17, s23, s29
	s_sub_i32 s16, s16, s17
	;; [unrolled: 5-line block ×3, first 2 shown]
	s_mul_hi_u32 s16, s15, s12
	s_add_i32 s15, s15, s16
	s_lshr_b32 s25, s15, s13
	s_lshl_b32 s15, s25, 3
	s_lshl_b32 s24, s17, 3
	s_add_i32 s15, s15, s7
	s_cmp_lt_i32 s15, s0
	s_cselect_b64 s[16:17], -1, 0
	s_add_i32 s15, s24, s8
	s_cmp_lt_i32 s15, s2
	s_cselect_b64 s[18:19], -1, 0
	s_and_b64 s[16:17], s[16:17], s[18:19]
	s_andn2_b64 vcc, exec, s[16:17]
	s_cbranch_vccnz .LBB3_23
; %bb.8:
	s_load_dwordx4 s[16:19], s[4:5], 0x0
	s_mov_b32 s4, 0
	s_lshl_b32 s15, s7, 3
	s_lshl_b32 s20, s22, 8
	s_mov_b32 s21, s4
	s_add_i32 s15, s15, s8
	s_lshl_b64 s[20:21], s[20:21], 2
	s_waitcnt lgkmcnt(0)
	s_add_u32 s20, s18, s20
	s_mul_i32 s0, s9, s0
	s_addc_u32 s21, s19, s21
	s_add_i32 s0, s0, s7
	s_mul_i32 s0, s0, s1
	s_mul_i32 s23, s23, s2
	s_add_i32 s0, s0, s8
	s_add_i32 s0, s0, s23
	s_mul_i32 s2, s1, s25
	s_add_i32 s0, s0, s24
	s_lshl_b32 s2, s2, 9
	s_lshl_b32 s0, s0, 6
	s_add_i32 s2, s2, s0
	v_or_b32_e32 v1, s2, v0
	v_ashrrev_i32_e32 v2, 31, v1
	v_lshlrev_b64 v[1:2], 2, v[1:2]
	v_mov_b32_e32 v3, s17
	v_add_co_u32_e32 v1, vcc, s16, v1
	v_addc_co_u32_e32 v2, vcc, v3, v2, vcc
	global_load_dword v3, v[1:2], off
	v_cvt_f32_u32_e32 v4, s22
	s_lshl_b32 s0, s6, 6
	s_add_i32 s0, s15, s0
	s_ashr_i32 s1, s0, 31
	s_lshl_b64 s[0:1], s[0:1], 3
	v_rcp_iflag_f32_e32 v4, v4
	s_add_u32 s0, s18, s0
	s_addc_u32 s1, s19, s1
	s_load_dwordx2 s[0:1], s[0:1], 0x0
	v_mul_f32_e32 v4, 0x4f7ffffe, v4
	v_cvt_u32_f32_e32 v4, v4
	s_add_i32 s24, s6, -1
	v_lshl_or_b32 v0, s15, 6, v0
	s_waitcnt lgkmcnt(0)
	v_mov_b32_e32 v6, s1
	v_mov_b32_e32 v7, s0
	s_mov_b32 s2, 0x3fb8aa3b
	s_mov_b32 s16, 0xc2ce8ed0
	;; [unrolled: 1-line block ×4, first 2 shown]
	v_mov_b32_e32 v5, 0x7f800000
	s_mul_hi_i32 s5, s24, s3
	s_cmp_lg_u64 s[4:5], 0
	s_mul_i32 s8, s24, s3
	s_cbranch_scc0 .LBB3_19
.LBB3_9:
	s_add_u32 s0, s22, 0
	s_addc_u32 s1, 0, 0
	s_xor_b64 s[0:1], s[0:1], 0
	v_cvt_f32_u32_e32 v8, s0
	v_cvt_f32_u32_e32 v9, s1
	s_sub_u32 s9, 0, s0
	s_subb_u32 s25, 0, s1
	v_mac_f32_e32 v8, 0x4f800000, v9
	v_rcp_f32_e32 v8, v8
	v_mul_f32_e32 v8, 0x5f7ffffc, v8
	v_mul_f32_e32 v9, 0x2f800000, v8
	v_trunc_f32_e32 v9, v9
	v_mac_f32_e32 v8, 0xcf800000, v9
	v_cvt_u32_f32_e32 v9, v9
	v_cvt_u32_f32_e32 v8, v8
	v_readfirstlane_b32 s26, v9
	v_readfirstlane_b32 s6, v8
	s_mul_i32 s7, s9, s26
	s_mul_hi_u32 s28, s9, s6
	s_mul_i32 s27, s25, s6
	s_add_i32 s7, s28, s7
	s_mul_i32 s29, s9, s6
	s_add_i32 s7, s7, s27
	s_mul_i32 s28, s6, s7
	s_mul_hi_u32 s30, s6, s29
	s_mul_hi_u32 s27, s6, s7
	s_add_u32 s28, s30, s28
	s_addc_u32 s27, 0, s27
	s_mul_hi_u32 s31, s26, s29
	s_mul_i32 s29, s26, s29
	s_add_u32 s28, s28, s29
	s_mul_hi_u32 s30, s26, s7
	s_addc_u32 s27, s27, s31
	s_addc_u32 s28, s30, 0
	s_mul_i32 s7, s26, s7
	s_add_u32 s7, s27, s7
	s_addc_u32 s27, 0, s28
	s_add_u32 s28, s6, s7
	s_cselect_b64 s[6:7], -1, 0
	s_cmp_lg_u64 s[6:7], 0
	s_addc_u32 s26, s26, s27
	s_mul_i32 s6, s9, s26
	s_mul_hi_u32 s7, s9, s28
	s_add_i32 s6, s7, s6
	s_mul_i32 s25, s25, s28
	s_add_i32 s6, s6, s25
	s_mul_i32 s9, s9, s28
	s_mul_hi_u32 s25, s26, s9
	s_mul_i32 s27, s26, s9
	s_mul_i32 s30, s28, s6
	s_mul_hi_u32 s9, s28, s9
	s_mul_hi_u32 s29, s28, s6
	s_add_u32 s9, s9, s30
	s_addc_u32 s29, 0, s29
	s_add_u32 s9, s9, s27
	s_mul_hi_u32 s7, s26, s6
	s_addc_u32 s9, s29, s25
	s_addc_u32 s7, s7, 0
	s_mul_i32 s6, s26, s6
	s_add_u32 s6, s9, s6
	s_addc_u32 s9, 0, s7
	s_add_u32 s25, s28, s6
	s_cselect_b64 s[6:7], -1, 0
	s_cmp_lg_u64 s[6:7], 0
	s_addc_u32 s9, s26, s9
	s_ashr_i32 s6, s5, 31
	s_add_u32 s26, s8, s6
	s_mov_b32 s7, s6
	s_addc_u32 s27, s5, s6
	s_xor_b64 s[26:27], s[26:27], s[6:7]
	s_mul_i32 s28, s26, s9
	s_mul_hi_u32 s29, s26, s25
	s_mul_hi_u32 s5, s26, s9
	s_add_u32 s28, s29, s28
	s_addc_u32 s5, 0, s5
	s_mul_hi_u32 s30, s27, s25
	s_mul_i32 s25, s27, s25
	s_add_u32 s25, s28, s25
	s_mul_hi_u32 s29, s27, s9
	s_addc_u32 s5, s5, s30
	s_addc_u32 s25, s29, 0
	s_mul_i32 s9, s27, s9
	s_add_u32 s5, s5, s9
	s_addc_u32 s9, 0, s25
	s_mul_i32 s25, s0, s9
	s_mul_hi_u32 s28, s0, s5
	s_add_i32 s25, s28, s25
	s_mul_i32 s28, s1, s5
	s_add_i32 s25, s25, s28
	s_sub_i32 s30, s27, s25
	s_mul_i32 s28, s0, s5
	s_sub_u32 s26, s26, s28
	s_cselect_b64 s[28:29], -1, 0
	s_cmp_lg_u64 s[28:29], 0
	s_subb_u32 s33, s30, s1
	s_sub_u32 s34, s26, s0
	s_cselect_b64 s[30:31], -1, 0
	s_cmp_lg_u64 s[30:31], 0
	s_subb_u32 s30, s33, 0
	s_cmp_ge_u32 s30, s1
	s_cselect_b32 s31, -1, 0
	s_cmp_ge_u32 s34, s0
	s_cselect_b32 s33, -1, 0
	s_cmp_eq_u32 s30, s1
	s_cselect_b32 s30, s33, s31
	s_add_u32 s31, s5, 1
	s_addc_u32 s33, s9, 0
	s_add_u32 s34, s5, 2
	s_addc_u32 s35, s9, 0
	s_cmp_lg_u32 s30, 0
	s_cselect_b32 s30, s34, s31
	s_cselect_b32 s31, s35, s33
	s_cmp_lg_u64 s[28:29], 0
	s_subb_u32 s25, s27, s25
	s_cmp_ge_u32 s25, s1
	s_cselect_b32 s27, -1, 0
	s_cmp_ge_u32 s26, s0
	s_cselect_b32 s0, -1, 0
	s_cmp_eq_u32 s25, s1
	s_cselect_b32 s0, s0, s27
	s_cmp_lg_u32 s0, 0
	s_cselect_b32 s1, s31, s9
	s_cselect_b32 s0, s30, s5
	s_xor_b64 s[6:7], s[6:7], 0
	s_xor_b64 s[0:1], s[0:1], s[6:7]
	s_sub_u32 s6, s0, s6
	s_cbranch_execnz .LBB3_11
.LBB3_10:
	s_sub_i32 s0, 0, s22
	v_readfirstlane_b32 s1, v4
	s_mul_i32 s0, s0, s1
	s_mul_hi_u32 s0, s1, s0
	s_add_i32 s1, s1, s0
	s_mul_hi_u32 s0, s8, s1
	s_mul_i32 s5, s0, s22
	s_sub_i32 s5, s8, s5
	s_add_i32 s1, s0, 1
	s_sub_i32 s6, s5, s22
	s_cmp_ge_u32 s5, s22
	s_cselect_b32 s0, s1, s0
	s_cselect_b32 s5, s6, s5
	s_add_i32 s1, s0, 1
	s_cmp_ge_u32 s5, s22
	s_cselect_b32 s6, s1, s0
.LBB3_11:
	s_cmp_lg_u32 s10, s6
	s_mov_b64 s[8:9], -1
                                        ; implicit-def: $sgpr0_sgpr1
                                        ; implicit-def: $vgpr10
                                        ; implicit-def: $vgpr8
                                        ; implicit-def: $vgpr9
                                        ; implicit-def: $sgpr5
                                        ; implicit-def: $sgpr7
	s_cbranch_scc1 .LBB3_14
; %bb.12:
	s_andn2_b64 vcc, exec, s[8:9]
	s_cbranch_vccz .LBB3_17
.LBB3_13:
	s_andn2_b64 vcc, exec, s[0:1]
	s_cbranch_vccnz .LBB3_18
	s_branch .LBB3_22
.LBB3_14:
	s_add_i32 s0, s24, s22
	s_lshl_b32 s0, s0, 6
	s_add_i32 s0, s0, s15
	s_mov_b32 s1, s4
	s_lshl_b64 s[0:1], s[0:1], 3
	s_add_u32 s8, s18, s0
	s_mul_hi_u32 s0, s6, s12
	s_addc_u32 s9, s19, s1
	s_add_i32 s0, s0, s6
	s_lshr_b32 s5, s0, s13
	s_mul_i32 s0, s5, s14
	s_cmp_eq_u32 s0, s6
	s_cselect_b64 s[0:1], -1, 0
	s_cmp_lt_u32 s5, s11
	s_cselect_b64 s[26:27], -1, 0
	s_or_b64 s[26:27], s[26:27], s[0:1]
	s_mov_b64 s[0:1], -1
	s_and_b64 vcc, exec, s[26:27]
	s_mov_b32 s5, s24
	s_mov_b32 s7, s10
	s_cbranch_vccnz .LBB3_16
; %bb.15:
	s_add_i32 s5, s24, -1
	s_mov_b64 s[0:1], 0
	s_mov_b32 s7, s6
.LBB3_16:
	v_lshl_add_u32 v8, s24, 12, v0
	v_ashrrev_i32_e32 v9, 31, v8
	v_lshlrev_b64 v[8:9], 2, v[8:9]
	v_mov_b32_e32 v10, s21
	v_add_co_u32_e32 v8, vcc, s20, v8
	v_addc_co_u32_e32 v9, vcc, v10, v9, vcc
	global_load_dword v10, v[8:9], off
	s_load_dwordx2 s[8:9], s[8:9], 0x0
	v_max_f32_e32 v8, v7, v7
	s_waitcnt lgkmcnt(0)
	v_max_f32_e64 v9, s8, s8
	v_max_f32_e32 v8, v8, v9
	v_sub_f32_e32 v9, v7, v8
	v_sub_f32_e32 v11, s8, v8
	v_mul_f32_e32 v12, 0x3fb8aa3b, v9
	v_mul_f32_e32 v13, 0x3fb8aa3b, v11
	v_fma_f32 v14, v9, s2, -v12
	v_rndne_f32_e32 v15, v12
	v_fma_f32 v16, v11, s2, -v13
	v_rndne_f32_e32 v17, v13
	v_fmac_f32_e32 v14, 0x32a5705f, v9
	v_sub_f32_e32 v12, v12, v15
	v_fmac_f32_e32 v16, 0x32a5705f, v11
	v_sub_f32_e32 v13, v13, v17
	v_add_f32_e32 v12, v12, v14
	v_cvt_i32_f32_e32 v15, v15
	v_add_f32_e32 v13, v13, v16
	v_exp_f32_e32 v12, v12
	v_cvt_i32_f32_e32 v17, v17
	v_exp_f32_e32 v13, v13
	v_cmp_ngt_f32_e32 vcc, s16, v9
	v_ldexp_f32 v12, v12, v15
	v_cndmask_b32_e32 v12, 0, v12, vcc
	v_ldexp_f32 v13, v13, v17
	v_cmp_ngt_f32_e32 vcc, s16, v11
	v_cndmask_b32_e32 v13, 0, v13, vcc
	v_cmp_nlt_f32_e32 vcc, s17, v9
	v_cndmask_b32_e32 v12, v5, v12, vcc
	v_cmp_nlt_f32_e32 vcc, s17, v11
	v_cndmask_b32_e32 v13, v5, v13, vcc
	v_cmp_le_f32_e32 vcc, s23, v9
	v_cndmask_b32_e32 v12, 0, v12, vcc
	v_cmp_le_f32_e32 vcc, s23, v11
	v_cndmask_b32_e32 v11, 0, v13, vcc
	v_mul_f32_e32 v9, s9, v11
	v_fmac_f32_e32 v9, v6, v12
	s_waitcnt vmcnt(0)
	v_mul_f32_e32 v10, v10, v11
	v_fmac_f32_e32 v10, v3, v12
	s_cbranch_execnz .LBB3_13
.LBB3_17:
	s_add_i32 s5, s24, -1
	s_mov_b32 s7, s10
	v_mov_b32_e32 v9, v6
	v_mov_b32_e32 v8, v7
	s_waitcnt vmcnt(0)
	v_mov_b32_e32 v10, v3
	s_cbranch_execz .LBB3_22
.LBB3_18:
	s_mov_b32 s10, s7
	s_mov_b32 s24, s5
	v_mov_b32_e32 v6, v9
	v_mov_b32_e32 v7, v8
	s_waitcnt vmcnt(0)
	v_mov_b32_e32 v3, v10
	s_mul_hi_i32 s5, s24, s3
	s_cmp_lg_u64 s[4:5], 0
	s_mul_i32 s8, s24, s3
	s_cbranch_scc1 .LBB3_9
.LBB3_19:
                                        ; implicit-def: $sgpr6_sgpr7
	s_branch .LBB3_10
.LBB3_20:
                                        ; implicit-def: $sgpr10_sgpr11
	s_load_dwordx4 s[12:15], s[4:5], 0x44
	s_branch .LBB3_2
.LBB3_21:
                                        ; implicit-def: $sgpr18_sgpr19
	s_branch .LBB3_5
.LBB3_22:
	v_div_scale_f32 v0, s[0:1], v9, v9, v10
	s_waitcnt vmcnt(0)
	v_div_scale_f32 v3, vcc, v10, v9, v10
	v_rcp_f32_e32 v4, v0
	v_fma_f32 v5, -v0, v4, 1.0
	v_fmac_f32_e32 v4, v5, v4
	v_mul_f32_e32 v5, v3, v4
	v_fma_f32 v6, -v0, v5, v3
	v_fmac_f32_e32 v5, v6, v4
	v_fma_f32 v0, -v0, v5, v3
	v_div_fmas_f32 v0, v0, v4, v5
	v_div_fixup_f32 v0, v0, v9, v10
	global_store_dword v[1:2], v0, off
.LBB3_23:
	s_endpgm
	.section	.rodata,"a",@progbits
	.p2align	6, 0x0
	.amdhsa_kernel _ZL33flash_attn_stream_k_fixup_generalILi64ELi8ELi8EEvPfPK15HIP_vector_typeIfLj2EEiiiiS1_IjLj3EES5_S5_S5_
		.amdhsa_group_segment_fixed_size 0
		.amdhsa_private_segment_fixed_size 0
		.amdhsa_kernarg_size 336
		.amdhsa_user_sgpr_count 6
		.amdhsa_user_sgpr_private_segment_buffer 1
		.amdhsa_user_sgpr_dispatch_ptr 0
		.amdhsa_user_sgpr_queue_ptr 0
		.amdhsa_user_sgpr_kernarg_segment_ptr 1
		.amdhsa_user_sgpr_dispatch_id 0
		.amdhsa_user_sgpr_flat_scratch_init 0
		.amdhsa_user_sgpr_private_segment_size 0
		.amdhsa_uses_dynamic_stack 0
		.amdhsa_system_sgpr_private_segment_wavefront_offset 0
		.amdhsa_system_sgpr_workgroup_id_x 1
		.amdhsa_system_sgpr_workgroup_id_y 1
		.amdhsa_system_sgpr_workgroup_id_z 1
		.amdhsa_system_sgpr_workgroup_info 0
		.amdhsa_system_vgpr_workitem_id 0
		.amdhsa_next_free_vgpr 18
		.amdhsa_next_free_sgpr 36
		.amdhsa_reserve_vcc 1
		.amdhsa_reserve_flat_scratch 0
		.amdhsa_float_round_mode_32 0
		.amdhsa_float_round_mode_16_64 0
		.amdhsa_float_denorm_mode_32 3
		.amdhsa_float_denorm_mode_16_64 3
		.amdhsa_dx10_clamp 1
		.amdhsa_ieee_mode 1
		.amdhsa_fp16_overflow 0
		.amdhsa_exception_fp_ieee_invalid_op 0
		.amdhsa_exception_fp_denorm_src 0
		.amdhsa_exception_fp_ieee_div_zero 0
		.amdhsa_exception_fp_ieee_overflow 0
		.amdhsa_exception_fp_ieee_underflow 0
		.amdhsa_exception_fp_ieee_inexact 0
		.amdhsa_exception_int_div_zero 0
	.end_amdhsa_kernel
	.section	.text._ZL33flash_attn_stream_k_fixup_generalILi64ELi8ELi8EEvPfPK15HIP_vector_typeIfLj2EEiiiiS1_IjLj3EES5_S5_S5_,"axG",@progbits,_ZL33flash_attn_stream_k_fixup_generalILi64ELi8ELi8EEvPfPK15HIP_vector_typeIfLj2EEiiiiS1_IjLj3EES5_S5_S5_,comdat
.Lfunc_end3:
	.size	_ZL33flash_attn_stream_k_fixup_generalILi64ELi8ELi8EEvPfPK15HIP_vector_typeIfLj2EEiiiiS1_IjLj3EES5_S5_S5_, .Lfunc_end3-_ZL33flash_attn_stream_k_fixup_generalILi64ELi8ELi8EEvPfPK15HIP_vector_typeIfLj2EEiiiiS1_IjLj3EES5_S5_S5_
                                        ; -- End function
	.set _ZL33flash_attn_stream_k_fixup_generalILi64ELi8ELi8EEvPfPK15HIP_vector_typeIfLj2EEiiiiS1_IjLj3EES5_S5_S5_.num_vgpr, 18
	.set _ZL33flash_attn_stream_k_fixup_generalILi64ELi8ELi8EEvPfPK15HIP_vector_typeIfLj2EEiiiiS1_IjLj3EES5_S5_S5_.num_agpr, 0
	.set _ZL33flash_attn_stream_k_fixup_generalILi64ELi8ELi8EEvPfPK15HIP_vector_typeIfLj2EEiiiiS1_IjLj3EES5_S5_S5_.numbered_sgpr, 36
	.set _ZL33flash_attn_stream_k_fixup_generalILi64ELi8ELi8EEvPfPK15HIP_vector_typeIfLj2EEiiiiS1_IjLj3EES5_S5_S5_.num_named_barrier, 0
	.set _ZL33flash_attn_stream_k_fixup_generalILi64ELi8ELi8EEvPfPK15HIP_vector_typeIfLj2EEiiiiS1_IjLj3EES5_S5_S5_.private_seg_size, 0
	.set _ZL33flash_attn_stream_k_fixup_generalILi64ELi8ELi8EEvPfPK15HIP_vector_typeIfLj2EEiiiiS1_IjLj3EES5_S5_S5_.uses_vcc, 1
	.set _ZL33flash_attn_stream_k_fixup_generalILi64ELi8ELi8EEvPfPK15HIP_vector_typeIfLj2EEiiiiS1_IjLj3EES5_S5_S5_.uses_flat_scratch, 0
	.set _ZL33flash_attn_stream_k_fixup_generalILi64ELi8ELi8EEvPfPK15HIP_vector_typeIfLj2EEiiiiS1_IjLj3EES5_S5_S5_.has_dyn_sized_stack, 0
	.set _ZL33flash_attn_stream_k_fixup_generalILi64ELi8ELi8EEvPfPK15HIP_vector_typeIfLj2EEiiiiS1_IjLj3EES5_S5_S5_.has_recursion, 0
	.set _ZL33flash_attn_stream_k_fixup_generalILi64ELi8ELi8EEvPfPK15HIP_vector_typeIfLj2EEiiiiS1_IjLj3EES5_S5_S5_.has_indirect_call, 0
	.section	.AMDGPU.csdata,"",@progbits
; Kernel info:
; codeLenInByte = 2940
; TotalNumSgprs: 40
; NumVgprs: 18
; ScratchSize: 0
; MemoryBound: 0
; FloatMode: 240
; IeeeMode: 1
; LDSByteSize: 0 bytes/workgroup (compile time only)
; SGPRBlocks: 4
; VGPRBlocks: 4
; NumSGPRsForWavesPerEU: 40
; NumVGPRsForWavesPerEU: 18
; Occupancy: 10
; WaveLimiterHint : 0
; COMPUTE_PGM_RSRC2:SCRATCH_EN: 0
; COMPUTE_PGM_RSRC2:USER_SGPR: 6
; COMPUTE_PGM_RSRC2:TRAP_HANDLER: 0
; COMPUTE_PGM_RSRC2:TGID_X_EN: 1
; COMPUTE_PGM_RSRC2:TGID_Y_EN: 1
; COMPUTE_PGM_RSRC2:TGID_Z_EN: 1
; COMPUTE_PGM_RSRC2:TIDIG_COMP_CNT: 0
	.section	.text._ZL26flash_attn_combine_resultsILi64EEvPKfPK15HIP_vector_typeIfLj2EEPfi,"axG",@progbits,_ZL26flash_attn_combine_resultsILi64EEvPKfPK15HIP_vector_typeIfLj2EEPfi,comdat
	.globl	_ZL26flash_attn_combine_resultsILi64EEvPKfPK15HIP_vector_typeIfLj2EEPfi ; -- Begin function _ZL26flash_attn_combine_resultsILi64EEvPKfPK15HIP_vector_typeIfLj2EEPfi
	.p2align	8
	.type	_ZL26flash_attn_combine_resultsILi64EEvPKfPK15HIP_vector_typeIfLj2EEPfi,@function
_ZL26flash_attn_combine_resultsILi64EEvPKfPK15HIP_vector_typeIfLj2EEPfi: ; @_ZL26flash_attn_combine_resultsILi64EEvPKfPK15HIP_vector_typeIfLj2EEPfi
; %bb.0:
	s_load_dwordx2 s[12:13], s[4:5], 0x20
	s_load_dword s9, s[4:5], 0x18
	s_load_dwordx4 s[0:3], s[4:5], 0x0
	s_load_dwordx2 s[10:11], s[4:5], 0x10
	v_lshlrev_b32_e32 v4, 2, v0
	s_waitcnt lgkmcnt(0)
	s_mul_i32 s4, s12, s8
	s_add_i32 s4, s4, s6
	s_mul_i32 s8, s4, s13
	s_add_i32 s8, s8, s7
	s_lshl_b32 s12, s9, 1
	s_mul_i32 s4, s8, s9
	v_cmp_gt_i32_e32 vcc, s12, v0
	s_and_saveexec_b64 s[6:7], vcc
	s_cbranch_execz .LBB4_3
; %bb.1:
	s_ashr_i32 s5, s4, 31
	s_lshl_b64 s[14:15], s[4:5], 3
	s_add_u32 s2, s2, s14
	s_addc_u32 s3, s3, s15
	v_mov_b32_e32 v2, s3
	v_add_co_u32_e32 v1, vcc, s2, v4
	v_addc_co_u32_e32 v2, vcc, 0, v2, vcc
	v_add_u32_e32 v3, 0, v4
	s_mov_b64 s[2:3], 0
	v_mov_b32_e32 v5, v0
.LBB4_2:                                ; =>This Inner Loop Header: Depth=1
	global_load_dword v6, v[1:2], off
	v_add_co_u32_e32 v1, vcc, 0x100, v1
	v_add_u32_e32 v5, 64, v5
	v_addc_co_u32_e32 v2, vcc, 0, v2, vcc
	v_cmp_le_i32_e32 vcc, s12, v5
	s_or_b64 s[2:3], vcc, s[2:3]
	s_waitcnt vmcnt(0)
	ds_write_b32 v3, v6
	v_add_u32_e32 v3, 0x100, v3
	s_andn2_b64 exec, exec, s[2:3]
	s_cbranch_execnz .LBB4_2
.LBB4_3:
	s_or_b64 exec, exec, s[6:7]
	v_mov_b32_e32 v1, 0
	s_waitcnt lgkmcnt(0)
	; wave barrier
	ds_read_b32 v5, v1
	s_cmp_lt_i32 s9, 2
	s_cbranch_scc1 .LBB4_11
; %bb.4:
	s_add_i32 s2, s9, -1
	s_add_i32 s3, s9, -2
	s_cmp_lt_u32 s3, 7
	s_cbranch_scc1 .LBB4_8
; %bb.5:
	s_mov_b32 s6, 0
	s_add_i32 s3, 0, 8
	s_and_b32 s5, s2, -8
.LBB4_6:                                ; =>This Inner Loop Header: Depth=1
	v_mov_b32_e32 v3, s3
	ds_read2_b32 v[1:2], v3 offset1:2
	ds_read2_b32 v[6:7], v3 offset0:4 offset1:6
	ds_read2_b32 v[8:9], v3 offset0:8 offset1:10
	;; [unrolled: 1-line block ×3, first 2 shown]
	s_mov_b32 s7, s6
	s_waitcnt lgkmcnt(3)
	v_max3_f32 v1, v5, v1, v2
	s_waitcnt lgkmcnt(2)
	v_max3_f32 v1, v1, v6, v7
	s_add_i32 s3, s3, 64
	s_add_i32 s6, s6, 8
	s_waitcnt lgkmcnt(1)
	v_max3_f32 v1, v1, v8, v9
	s_cmp_eq_u32 s5, s6
	s_waitcnt lgkmcnt(0)
	v_max3_f32 v5, v1, v10, v11
	s_cbranch_scc0 .LBB4_6
; %bb.7:
	s_add_i32 s3, s7, 9
	s_and_b32 s2, s2, 7
	s_cmp_eq_u32 s2, 0
	s_cbranch_scc0 .LBB4_9
	s_branch .LBB4_11
.LBB4_8:
	s_mov_b32 s3, 1
	s_and_b32 s2, s2, 7
	s_cmp_eq_u32 s2, 0
	s_cbranch_scc1 .LBB4_11
.LBB4_9:
	s_lshl_b32 s3, s3, 3
	s_add_i32 s3, s3, 0
.LBB4_10:                               ; =>This Inner Loop Header: Depth=1
	v_mov_b32_e32 v1, s3
	ds_read_b32 v1, v1
	s_waitcnt lgkmcnt(1)
	v_max_f32_e32 v2, v5, v5
	s_add_i32 s3, s3, 8
	s_add_i32 s2, s2, -1
	s_cmp_lg_u32 s2, 0
	s_waitcnt lgkmcnt(0)
	v_max_f32_e32 v1, v1, v1
	v_max_f32_e32 v5, v2, v1
	s_cbranch_scc1 .LBB4_10
.LBB4_11:
	s_cmp_lt_i32 s9, 1
	s_cbranch_scc1 .LBB4_16
; %bb.12:
	s_lshl_b32 s2, s4, 6
	s_ashr_i32 s3, s2, 31
	s_lshl_b64 s[2:3], s[2:3], 2
	s_add_u32 s0, s0, s2
	s_addc_u32 s1, s1, s3
	s_cmp_lt_u32 s9, 8
	s_cbranch_scc1 .LBB4_17
; %bb.13:
	s_and_b32 s2, s9, 0x7ffffff8
	v_or_b32_e32 v1, 0x1c0, v0
	s_mov_b32 s3, 0
	v_mov_b32_e32 v3, 0
	v_mov_b32_e32 v6, 0
	s_mov_b32 s4, 0x3fb8aa3b
	s_mov_b32 s5, 0xc2ce8ed0
	;; [unrolled: 1-line block ×3, first 2 shown]
	v_mov_b32_e32 v8, 0x7f800000
	v_mov_b32_e32 v9, s1
	s_mov_b32 s7, 0
	v_mov_b32_e32 v7, 0
.LBB4_14:                               ; =>This Inner Loop Header: Depth=1
	v_mov_b32_e32 v16, s3
	ds_read2_b64 v[10:13], v16 offset1:1
	s_add_i32 s7, s7, 8
	s_add_i32 s3, s3, 64
	s_cmp_eq_u32 s2, s7
	s_waitcnt lgkmcnt(0)
	v_sub_f32_e32 v2, v10, v5
	v_mul_f32_e32 v10, 0x3fb8aa3b, v2
	v_fma_f32 v14, v2, s4, -v10
	v_rndne_f32_e32 v15, v10
	v_fmac_f32_e32 v14, 0x32a5705f, v2
	v_sub_f32_e32 v10, v10, v15
	v_add_f32_e32 v10, v10, v14
	v_exp_f32_e32 v10, v10
	v_cvt_i32_f32_e32 v14, v15
	v_cmp_ngt_f32_e32 vcc, s5, v2
	v_ldexp_f32 v10, v10, v14
	v_cndmask_b32_e32 v10, 0, v10, vcc
	v_cmp_nlt_f32_e32 vcc, s6, v2
	v_add_u32_e32 v2, 0xfffffe40, v1
	v_lshlrev_b64 v[14:15], 2, v[2:3]
	v_cndmask_b32_e32 v10, v8, v10, vcc
	v_add_co_u32_e32 v14, vcc, s0, v14
	v_addc_co_u32_e32 v15, vcc, v9, v15, vcc
	global_load_dword v2, v[14:15], off
	v_fmac_f32_e32 v7, v10, v11
	s_waitcnt vmcnt(0)
	v_fmac_f32_e32 v6, v2, v10
	v_sub_f32_e32 v2, v12, v5
	v_mul_f32_e32 v10, 0x3fb8aa3b, v2
	v_fma_f32 v11, v2, s4, -v10
	v_rndne_f32_e32 v12, v10
	v_fmac_f32_e32 v11, 0x32a5705f, v2
	v_sub_f32_e32 v10, v10, v12
	v_add_f32_e32 v10, v10, v11
	v_exp_f32_e32 v10, v10
	v_cvt_i32_f32_e32 v11, v12
	v_cmp_ngt_f32_e32 vcc, s5, v2
	v_ldexp_f32 v10, v10, v11
	v_cndmask_b32_e32 v10, 0, v10, vcc
	v_cmp_nlt_f32_e32 vcc, s6, v2
	v_add_u32_e32 v2, 0xfffffe80, v1
	v_cndmask_b32_e32 v12, v8, v10, vcc
	v_lshlrev_b64 v[10:11], 2, v[2:3]
	v_fmac_f32_e32 v7, v12, v13
	v_add_co_u32_e32 v10, vcc, s0, v10
	v_addc_co_u32_e32 v11, vcc, v9, v11, vcc
	global_load_dword v2, v[10:11], off
	s_waitcnt vmcnt(0)
	v_fmac_f32_e32 v6, v2, v12
	ds_read2_b64 v[10:13], v16 offset0:2 offset1:3
	s_waitcnt lgkmcnt(0)
	v_sub_f32_e32 v2, v10, v5
	v_mul_f32_e32 v10, 0x3fb8aa3b, v2
	v_fma_f32 v14, v2, s4, -v10
	v_rndne_f32_e32 v15, v10
	v_fmac_f32_e32 v14, 0x32a5705f, v2
	v_sub_f32_e32 v10, v10, v15
	v_add_f32_e32 v10, v10, v14
	v_exp_f32_e32 v10, v10
	v_cvt_i32_f32_e32 v14, v15
	v_cmp_ngt_f32_e32 vcc, s5, v2
	v_ldexp_f32 v10, v10, v14
	v_cndmask_b32_e32 v10, 0, v10, vcc
	v_cmp_nlt_f32_e32 vcc, s6, v2
	v_add_u32_e32 v2, 0xfffffec0, v1
	v_lshlrev_b64 v[14:15], 2, v[2:3]
	v_cndmask_b32_e32 v10, v8, v10, vcc
	v_add_co_u32_e32 v14, vcc, s0, v14
	v_addc_co_u32_e32 v15, vcc, v9, v15, vcc
	global_load_dword v2, v[14:15], off
	v_fmac_f32_e32 v7, v10, v11
	s_waitcnt vmcnt(0)
	v_fmac_f32_e32 v6, v2, v10
	v_sub_f32_e32 v2, v12, v5
	v_mul_f32_e32 v10, 0x3fb8aa3b, v2
	v_fma_f32 v11, v2, s4, -v10
	v_rndne_f32_e32 v12, v10
	v_fmac_f32_e32 v11, 0x32a5705f, v2
	v_sub_f32_e32 v10, v10, v12
	v_add_f32_e32 v10, v10, v11
	v_exp_f32_e32 v10, v10
	v_cvt_i32_f32_e32 v11, v12
	v_cmp_ngt_f32_e32 vcc, s5, v2
	v_ldexp_f32 v10, v10, v11
	v_cndmask_b32_e32 v10, 0, v10, vcc
	v_cmp_nlt_f32_e32 vcc, s6, v2
	v_add_u32_e32 v2, 0xffffff00, v1
	v_cndmask_b32_e32 v12, v8, v10, vcc
	v_lshlrev_b64 v[10:11], 2, v[2:3]
	v_fmac_f32_e32 v7, v12, v13
	v_add_co_u32_e32 v10, vcc, s0, v10
	v_addc_co_u32_e32 v11, vcc, v9, v11, vcc
	global_load_dword v2, v[10:11], off
	s_waitcnt vmcnt(0)
	v_fmac_f32_e32 v6, v2, v12
	ds_read2_b64 v[10:13], v16 offset0:4 offset1:5
	;; [unrolled: 46-line block ×3, first 2 shown]
	s_waitcnt lgkmcnt(0)
	v_sub_f32_e32 v2, v10, v5
	v_mul_f32_e32 v10, 0x3fb8aa3b, v2
	v_fma_f32 v14, v2, s4, -v10
	v_rndne_f32_e32 v15, v10
	v_fmac_f32_e32 v14, 0x32a5705f, v2
	v_sub_f32_e32 v10, v10, v15
	v_add_f32_e32 v10, v10, v14
	v_exp_f32_e32 v10, v10
	v_cvt_i32_f32_e32 v14, v15
	v_cmp_ngt_f32_e32 vcc, s5, v2
	v_ldexp_f32 v10, v10, v14
	v_cndmask_b32_e32 v10, 0, v10, vcc
	v_cmp_nlt_f32_e32 vcc, s6, v2
	v_subrev_u32_e32 v2, 64, v1
	v_lshlrev_b64 v[14:15], 2, v[2:3]
	v_cndmask_b32_e32 v10, v8, v10, vcc
	v_add_co_u32_e32 v14, vcc, s0, v14
	v_addc_co_u32_e32 v15, vcc, v9, v15, vcc
	global_load_dword v2, v[14:15], off
	v_fmac_f32_e32 v7, v10, v11
	s_waitcnt vmcnt(0)
	v_fmac_f32_e32 v6, v2, v10
	v_sub_f32_e32 v2, v12, v5
	v_mul_f32_e32 v10, 0x3fb8aa3b, v2
	v_fma_f32 v11, v2, s4, -v10
	v_rndne_f32_e32 v12, v10
	v_fmac_f32_e32 v11, 0x32a5705f, v2
	v_sub_f32_e32 v10, v10, v12
	v_add_f32_e32 v10, v10, v11
	v_exp_f32_e32 v10, v10
	v_cvt_i32_f32_e32 v11, v12
	v_cmp_ngt_f32_e32 vcc, s5, v2
	v_ldexp_f32 v10, v10, v11
	v_cndmask_b32_e32 v10, 0, v10, vcc
	v_cmp_nlt_f32_e32 vcc, s6, v2
	v_mov_b32_e32 v2, v3
	v_cndmask_b32_e32 v12, v8, v10, vcc
	v_lshlrev_b64 v[10:11], 2, v[1:2]
	v_fmac_f32_e32 v7, v12, v13
	v_add_co_u32_e32 v10, vcc, s0, v10
	v_addc_co_u32_e32 v11, vcc, v9, v11, vcc
	global_load_dword v2, v[10:11], off
	v_add_u32_e32 v1, 0x200, v1
	s_waitcnt vmcnt(0)
	v_fmac_f32_e32 v6, v2, v12
	s_cbranch_scc0 .LBB4_14
; %bb.15:
	s_and_b32 s3, s9, 7
	s_cmp_eq_u32 s3, 0
	s_cbranch_scc0 .LBB4_18
	s_branch .LBB4_20
.LBB4_16:
	v_mov_b32_e32 v0, 0x7fc00000
	s_branch .LBB4_21
.LBB4_17:
	s_mov_b32 s2, 0
	v_mov_b32_e32 v6, 0
	v_mov_b32_e32 v7, 0
	s_and_b32 s3, s9, 7
	s_cmp_eq_u32 s3, 0
	s_cbranch_scc1 .LBB4_20
.LBB4_18:
	v_lshl_or_b32 v0, s2, 6, v0
	s_lshl_b32 s2, s2, 3
	s_add_i32 s2, s2, 0
	s_mov_b32 s4, 0x3fb8aa3b
	s_mov_b32 s5, 0xc2ce8ed0
	;; [unrolled: 1-line block ×3, first 2 shown]
	v_mov_b32_e32 v2, 0x7f800000
	v_mov_b32_e32 v1, 0
	;; [unrolled: 1-line block ×3, first 2 shown]
.LBB4_19:                               ; =>This Inner Loop Header: Depth=1
	v_lshlrev_b64 v[8:9], 2, v[0:1]
	s_add_i32 s3, s3, -1
	v_add_co_u32_e32 v8, vcc, s0, v8
	v_addc_co_u32_e32 v9, vcc, v3, v9, vcc
	global_load_dword v10, v[8:9], off
	v_mov_b32_e32 v8, s2
	ds_read_b64 v[8:9], v8
	s_add_i32 s2, s2, 8
	v_add_u32_e32 v0, 64, v0
	s_cmp_lg_u32 s3, 0
	s_waitcnt lgkmcnt(0)
	v_sub_f32_e32 v8, v8, v5
	v_mul_f32_e32 v11, 0x3fb8aa3b, v8
	v_fma_f32 v12, v8, s4, -v11
	v_rndne_f32_e32 v13, v11
	v_fmac_f32_e32 v12, 0x32a5705f, v8
	v_sub_f32_e32 v11, v11, v13
	v_add_f32_e32 v11, v11, v12
	v_cvt_i32_f32_e32 v13, v13
	v_exp_f32_e32 v11, v11
	v_cmp_ngt_f32_e32 vcc, s5, v8
	v_ldexp_f32 v11, v11, v13
	v_cndmask_b32_e32 v11, 0, v11, vcc
	v_cmp_nlt_f32_e32 vcc, s6, v8
	v_cndmask_b32_e32 v8, v2, v11, vcc
	v_fmac_f32_e32 v7, v8, v9
	s_waitcnt vmcnt(0)
	v_fmac_f32_e32 v6, v10, v8
	s_cbranch_scc1 .LBB4_19
.LBB4_20:
	v_div_scale_f32 v0, s[0:1], v7, v7, v6
	v_div_scale_f32 v1, vcc, v6, v7, v6
	v_rcp_f32_e32 v2, v0
	v_fma_f32 v3, -v0, v2, 1.0
	v_fmac_f32_e32 v2, v3, v2
	v_mul_f32_e32 v3, v1, v2
	s_waitcnt lgkmcnt(0)
	v_fma_f32 v5, -v0, v3, v1
	v_fmac_f32_e32 v3, v5, v2
	v_fma_f32 v0, -v0, v3, v1
	v_div_fmas_f32 v0, v0, v2, v3
	v_div_fixup_f32 v0, v0, v7, v6
.LBB4_21:
	s_lshl_b32 s0, s8, 6
	s_ashr_i32 s1, s0, 31
	s_lshl_b64 s[0:1], s[0:1], 2
	s_add_u32 s0, s10, s0
	s_addc_u32 s1, s11, s1
	global_store_dword v4, v0, s[0:1]
	s_endpgm
	.section	.rodata,"a",@progbits
	.p2align	6, 0x0
	.amdhsa_kernel _ZL26flash_attn_combine_resultsILi64EEvPKfPK15HIP_vector_typeIfLj2EEPfi
		.amdhsa_group_segment_fixed_size 0
		.amdhsa_private_segment_fixed_size 0
		.amdhsa_kernarg_size 288
		.amdhsa_user_sgpr_count 6
		.amdhsa_user_sgpr_private_segment_buffer 1
		.amdhsa_user_sgpr_dispatch_ptr 0
		.amdhsa_user_sgpr_queue_ptr 0
		.amdhsa_user_sgpr_kernarg_segment_ptr 1
		.amdhsa_user_sgpr_dispatch_id 0
		.amdhsa_user_sgpr_flat_scratch_init 0
		.amdhsa_user_sgpr_private_segment_size 0
		.amdhsa_uses_dynamic_stack 0
		.amdhsa_system_sgpr_private_segment_wavefront_offset 0
		.amdhsa_system_sgpr_workgroup_id_x 1
		.amdhsa_system_sgpr_workgroup_id_y 1
		.amdhsa_system_sgpr_workgroup_id_z 1
		.amdhsa_system_sgpr_workgroup_info 0
		.amdhsa_system_vgpr_workitem_id 0
		.amdhsa_next_free_vgpr 17
		.amdhsa_next_free_sgpr 16
		.amdhsa_reserve_vcc 1
		.amdhsa_reserve_flat_scratch 0
		.amdhsa_float_round_mode_32 0
		.amdhsa_float_round_mode_16_64 0
		.amdhsa_float_denorm_mode_32 3
		.amdhsa_float_denorm_mode_16_64 3
		.amdhsa_dx10_clamp 1
		.amdhsa_ieee_mode 1
		.amdhsa_fp16_overflow 0
		.amdhsa_exception_fp_ieee_invalid_op 0
		.amdhsa_exception_fp_denorm_src 0
		.amdhsa_exception_fp_ieee_div_zero 0
		.amdhsa_exception_fp_ieee_overflow 0
		.amdhsa_exception_fp_ieee_underflow 0
		.amdhsa_exception_fp_ieee_inexact 0
		.amdhsa_exception_int_div_zero 0
	.end_amdhsa_kernel
	.section	.text._ZL26flash_attn_combine_resultsILi64EEvPKfPK15HIP_vector_typeIfLj2EEPfi,"axG",@progbits,_ZL26flash_attn_combine_resultsILi64EEvPKfPK15HIP_vector_typeIfLj2EEPfi,comdat
.Lfunc_end4:
	.size	_ZL26flash_attn_combine_resultsILi64EEvPKfPK15HIP_vector_typeIfLj2EEPfi, .Lfunc_end4-_ZL26flash_attn_combine_resultsILi64EEvPKfPK15HIP_vector_typeIfLj2EEPfi
                                        ; -- End function
	.set _ZL26flash_attn_combine_resultsILi64EEvPKfPK15HIP_vector_typeIfLj2EEPfi.num_vgpr, 17
	.set _ZL26flash_attn_combine_resultsILi64EEvPKfPK15HIP_vector_typeIfLj2EEPfi.num_agpr, 0
	.set _ZL26flash_attn_combine_resultsILi64EEvPKfPK15HIP_vector_typeIfLj2EEPfi.numbered_sgpr, 16
	.set _ZL26flash_attn_combine_resultsILi64EEvPKfPK15HIP_vector_typeIfLj2EEPfi.num_named_barrier, 0
	.set _ZL26flash_attn_combine_resultsILi64EEvPKfPK15HIP_vector_typeIfLj2EEPfi.private_seg_size, 0
	.set _ZL26flash_attn_combine_resultsILi64EEvPKfPK15HIP_vector_typeIfLj2EEPfi.uses_vcc, 1
	.set _ZL26flash_attn_combine_resultsILi64EEvPKfPK15HIP_vector_typeIfLj2EEPfi.uses_flat_scratch, 0
	.set _ZL26flash_attn_combine_resultsILi64EEvPKfPK15HIP_vector_typeIfLj2EEPfi.has_dyn_sized_stack, 0
	.set _ZL26flash_attn_combine_resultsILi64EEvPKfPK15HIP_vector_typeIfLj2EEPfi.has_recursion, 0
	.set _ZL26flash_attn_combine_resultsILi64EEvPKfPK15HIP_vector_typeIfLj2EEPfi.has_indirect_call, 0
	.section	.AMDGPU.csdata,"",@progbits
; Kernel info:
; codeLenInByte = 1892
; TotalNumSgprs: 20
; NumVgprs: 17
; ScratchSize: 0
; MemoryBound: 0
; FloatMode: 240
; IeeeMode: 1
; LDSByteSize: 0 bytes/workgroup (compile time only)
; SGPRBlocks: 2
; VGPRBlocks: 4
; NumSGPRsForWavesPerEU: 20
; NumVGPRsForWavesPerEU: 17
; Occupancy: 10
; WaveLimiterHint : 0
; COMPUTE_PGM_RSRC2:SCRATCH_EN: 0
; COMPUTE_PGM_RSRC2:USER_SGPR: 6
; COMPUTE_PGM_RSRC2:TRAP_HANDLER: 0
; COMPUTE_PGM_RSRC2:TGID_X_EN: 1
; COMPUTE_PGM_RSRC2:TGID_Y_EN: 1
; COMPUTE_PGM_RSRC2:TGID_Z_EN: 1
; COMPUTE_PGM_RSRC2:TIDIG_COMP_CNT: 0
	.section	.text._ZL15flash_attn_tileILi64ELi64ELi4ELi8ELb0EEvPKcS1_S1_S1_S1_PKiPfP15HIP_vector_typeIfLj2EEffffjfiS5_IjLj3EEiiiiiiiiiiiliiliiiiil,"axG",@progbits,_ZL15flash_attn_tileILi64ELi64ELi4ELi8ELb0EEvPKcS1_S1_S1_S1_PKiPfP15HIP_vector_typeIfLj2EEffffjfiS5_IjLj3EEiiiiiiiiiiiliiliiiiil,comdat
	.globl	_ZL15flash_attn_tileILi64ELi64ELi4ELi8ELb0EEvPKcS1_S1_S1_S1_PKiPfP15HIP_vector_typeIfLj2EEffffjfiS5_IjLj3EEiiiiiiiiiiiliiliiiiil ; -- Begin function _ZL15flash_attn_tileILi64ELi64ELi4ELi8ELb0EEvPKcS1_S1_S1_S1_PKiPfP15HIP_vector_typeIfLj2EEffffjfiS5_IjLj3EEiiiiiiiiiiiliiliiiiil
	.p2align	8
	.type	_ZL15flash_attn_tileILi64ELi64ELi4ELi8ELb0EEvPKcS1_S1_S1_S1_PKiPfP15HIP_vector_typeIfLj2EEffffjfiS5_IjLj3EEiiiiiiiiiiiliiliiiiil,@function
_ZL15flash_attn_tileILi64ELi64ELi4ELi8ELb0EEvPKcS1_S1_S1_S1_PKiPfP15HIP_vector_typeIfLj2EEffffjfiS5_IjLj3EEiiiiiiiiiiiliiliiiiil: ; @_ZL15flash_attn_tileILi64ELi64ELi4ELi8ELb0EEvPKcS1_S1_S1_S1_PKiPfP15HIP_vector_typeIfLj2EEffffjfiS5_IjLj3EEiiiiiiiiiiiliiliiiiil
; %bb.0:
	s_load_dwordx4 s[0:3], s[4:5], 0x5c
	s_load_dwordx2 s[24:25], s[4:5], 0x80
	s_load_dwordx2 s[28:29], s[4:5], 0xb8
	s_mov_b64 s[26:27], 0
	s_waitcnt lgkmcnt(0)
	s_ashr_i32 s9, s3, 31
	s_lshr_b32 s9, s9, 29
	s_add_i32 s9, s3, s9
	s_ashr_i32 s9, s9, 3
	v_cvt_f32_u32_e32 v2, s9
	s_sub_i32 s10, 0, s9
	v_rcp_iflag_f32_e32 v2, v2
	v_mul_f32_e32 v2, 0x4f7ffffe, v2
	v_cvt_u32_f32_e32 v2, v2
	v_readfirstlane_b32 s11, v2
	s_mul_i32 s10, s10, s11
	s_mul_hi_u32 s10, s11, s10
	s_add_i32 s11, s11, s10
	s_mul_hi_u32 s10, s8, s11
	s_mul_i32 s11, s10, s9
	s_sub_i32 s11, s8, s11
	s_add_i32 s12, s10, 1
	s_sub_i32 s13, s11, s9
	s_cmp_ge_u32 s11, s9
	s_cselect_b32 s10, s12, s10
	s_cselect_b32 s11, s13, s11
	s_add_i32 s12, s10, 1
	s_cmp_ge_u32 s11, s9
	s_cselect_b32 s30, s12, s10
	s_abs_i32 s9, s25
	v_cvt_f32_u32_e32 v2, s9
	s_lshl_b32 s8, s8, 3
	s_mul_i32 s12, s30, s3
	s_xor_b32 s10, s3, s25
	v_rcp_iflag_f32_e32 v2, v2
	s_sub_i32 s13, 0, s9
	s_sub_i32 s25, s8, s12
	s_abs_i32 s11, s3
	v_mul_f32_e32 v2, 0x4f7ffffe, v2
	v_cvt_u32_f32_e32 v2, v2
	s_ashr_i32 s10, s10, 31
	v_readfirstlane_b32 s8, v2
	s_mul_i32 s13, s13, s8
	s_mul_hi_u32 s12, s8, s13
	s_add_i32 s8, s8, s12
	s_mul_hi_u32 s8, s11, s8
	s_mul_i32 s12, s8, s9
	s_sub_i32 s11, s11, s12
	s_add_i32 s13, s8, 1
	s_sub_i32 s12, s11, s9
	s_cmp_ge_u32 s11, s9
	s_cselect_b32 s8, s13, s8
	s_cselect_b32 s11, s12, s11
	s_add_i32 s12, s8, 1
	s_cmp_ge_u32 s11, s9
	s_cselect_b32 s8, s12, s8
	s_xor_b32 s8, s8, s10
	s_sub_i32 s33, s8, s10
	s_abs_i32 s31, s33
	v_cvt_f32_u32_e32 v2, s31
	s_load_dwordx16 s[8:23], s[4:5], 0x0
	v_rcp_iflag_f32_e32 v2, v2
	s_waitcnt lgkmcnt(0)
	s_cmp_eq_u64 s[14:15], 0
	v_mul_f32_e32 v2, 0x4f7ffffe, v2
	v_cvt_u32_f32_e32 v2, v2
	v_readfirstlane_b32 s34, v2
	s_cbranch_scc1 .LBB5_2
; %bb.1:
	s_abs_i32 s28, s28
	v_cvt_f32_u32_e32 v2, s28
	s_sub_i32 s37, 0, s28
	s_abs_i32 s36, s30
	s_ashr_i32 s35, s30, 31
	v_rcp_iflag_f32_e32 v2, v2
	s_load_dwordx2 s[26:27], s[4:5], 0xc8
	v_mul_f32_e32 v2, 0x4f7ffffe, v2
	v_cvt_u32_f32_e32 v2, v2
	v_readfirstlane_b32 s38, v2
	s_mul_i32 s37, s37, s38
	s_mul_hi_u32 s37, s38, s37
	s_add_i32 s38, s38, s37
	s_mul_hi_u32 s37, s36, s38
	s_mul_i32 s37, s37, s28
	s_sub_i32 s36, s36, s37
	s_sub_i32 s37, s36, s28
	s_cmp_ge_u32 s36, s28
	s_cselect_b32 s36, s37, s36
	s_sub_i32 s37, s36, s28
	s_cmp_ge_u32 s36, s28
	s_cselect_b32 s28, s37, s36
	s_xor_b32 s28, s28, s35
	s_sub_i32 s28, s28, s35
	s_ashr_i32 s35, s28, 31
	s_waitcnt lgkmcnt(0)
	s_mul_hi_u32 s36, s26, s28
	s_mul_i32 s35, s26, s35
	s_mul_i32 s27, s27, s28
	s_add_i32 s35, s36, s35
	s_add_i32 s35, s35, s27
	s_mul_i32 s26, s26, s28
	s_add_u32 s26, s14, s26
	s_addc_u32 s27, s15, s35
.LBB5_2:
	v_lshrrev_b32_e32 v2, 1, v1
	s_load_dwordx4 s[36:39], s[4:5], 0x70
	v_lshl_add_u32 v18, s6, 2, v2
	v_mul_hi_u32 v2, s0, v18
	v_lshlrev_b32_e32 v4, 2, v1
	v_and_b32_e32 v19, 4, v4
	s_waitcnt lgkmcnt(0)
	s_mul_i32 s0, s30, s38
	v_add_u32_e32 v2, v18, v2
	s_ashr_i32 s15, s0, 31
	v_lshrrev_b32_e32 v2, s1, v2
	s_mul_i32 s14, s25, s37
	s_add_u32 s0, s8, s0
	v_mul_lo_u32 v2, v2, s2
	s_addc_u32 s8, s9, s15
	s_ashr_i32 s9, s14, 31
	s_add_u32 s14, s0, s14
	s_addc_u32 s15, s8, s9
	s_ashr_i32 s1, s37, 31
	s_mov_b32 s0, s37
	s_ashr_i32 s37, s36, 31
	v_sub_u32_e32 v3, v18, v2
	s_lshr_b64 s[8:9], s[36:37], 2
	v_mad_u64_u32 v[5:6], s[8:9], s8, v3, 0
	s_lshr_b32 s8, s37, 2
	v_or_b32_e32 v21, 1, v4
	v_mov_b32_e32 v2, v6
	v_mad_u64_u32 v[6:7], s[8:9], s8, v3, v[2:3]
	s_lshr_b64 s[8:9], s[0:1], 2
	v_mov_b32_e32 v2, s15
	v_lshlrev_b64 v[5:6], 2, v[5:6]
	s_lshr_b32 s9, s1, 2
	v_add_co_u32_e32 v7, vcc, s14, v5
	v_addc_co_u32_e32 v8, vcc, v2, v6, vcc
	v_mul_lo_u32 v9, s9, v19
	v_mad_u64_u32 v[5:6], s[0:1], s8, v19, 0
	v_lshlrev_b32_e32 v2, 3, v0
	v_add_co_u32_e32 v17, vcc, v7, v2
	v_or_b32_e32 v6, v6, v9
	v_and_b32_e32 v9, 5, v21
	v_addc_co_u32_e32 v20, vcc, 0, v8, vcc
	v_mad_u64_u32 v[7:8], s[0:1], s8, v9, 0
	v_or_b32_e32 v22, 2, v4
	v_and_b32_e32 v11, 6, v22
	v_mad_u64_u32 v[8:9], s[0:1], s9, v9, v[8:9]
	v_mad_u64_u32 v[9:10], s[0:1], s8, v11, 0
	v_lshlrev_b64 v[5:6], 2, v[5:6]
	v_or_b32_e32 v23, 3, v4
	v_mad_u64_u32 v[10:11], s[0:1], s9, v11, v[10:11]
	v_add_co_u32_e32 v5, vcc, v17, v5
	v_lshlrev_b64 v[7:8], 2, v[7:8]
	v_and_b32_e32 v24, 7, v23
	v_addc_co_u32_e32 v6, vcc, v20, v6, vcc
	v_mad_u64_u32 v[11:12], s[0:1], s8, v24, 0
	v_add_co_u32_e32 v7, vcc, v17, v7
	v_lshlrev_b64 v[9:10], 2, v[9:10]
	v_addc_co_u32_e32 v8, vcc, v20, v8, vcc
	v_add_co_u32_e32 v9, vcc, v17, v9
	global_load_dwordx2 v[5:6], v[5:6], off
	v_addc_co_u32_e32 v10, vcc, v20, v10, vcc
	global_load_dwordx2 v[13:14], v[7:8], off
	global_load_dwordx2 v[15:16], v[9:10], off
	v_mov_b32_e32 v7, v12
	v_mad_u64_u32 v[7:8], s[0:1], s9, v24, v[7:8]
	s_load_dword s0, s[4:5], 0x40
	v_mov_b32_e32 v9, 0x3400
	v_mov_b32_e32 v12, v7
	v_lshlrev_b64 v[7:8], 2, v[11:12]
	v_lshlrev_b32_e32 v1, 9, v1
	v_add_co_u32_e32 v7, vcc, v17, v7
	v_addc_co_u32_e32 v8, vcc, v20, v8, vcc
	global_load_dwordx2 v[7:8], v[7:8], off
	v_lshl_or_b32 v9, v0, 2, v9
	v_add_u32_e32 v10, v9, v1
	v_lshl_add_u32 v11, v21, 7, v9
	v_lshl_add_u32 v12, v22, 7, v9
	s_cmp_eq_u64 s[18:19], 0
	s_waitcnt vmcnt(3) lgkmcnt(0)
	v_fma_mixlo_f16 v6, s0, v6, 0
	v_fma_mixlo_f16 v5, s0, v5, 0
	s_waitcnt vmcnt(2)
	v_fma_mixlo_f16 v14, s0, v14, 0
	v_lshlrev_b32_e32 v6, 16, v6
	v_fma_mixlo_f16 v13, s0, v13, 0
	v_lshlrev_b32_e32 v14, 16, v14
	v_or_b32_sdwa v5, v6, v5 dst_sel:DWORD dst_unused:UNUSED_PAD src0_sel:DWORD src1_sel:WORD_0
	v_or_b32_sdwa v6, v14, v13 dst_sel:DWORD dst_unused:UNUSED_PAD src0_sel:DWORD src1_sel:WORD_0
	ds_write_b32 v10, v5
	ds_write_b32 v11, v6
	s_waitcnt vmcnt(1)
	v_fma_mixlo_f16 v5, s0, v16, 0
	v_fma_mixlo_f16 v15, s0, v15, 0
	v_lshlrev_b32_e32 v5, 16, v5
	v_or_b32_sdwa v5, v5, v15 dst_sel:DWORD dst_unused:UNUSED_PAD src0_sel:DWORD src1_sel:WORD_0
	ds_write_b32 v12, v5
	v_lshl_add_u32 v5, v23, 7, v9
	s_waitcnt vmcnt(0)
	v_fma_mixlo_f16 v6, s0, v7, 0
	v_fma_mixlo_f16 v7, s0, v8, 0
	v_lshlrev_b32_e32 v7, 16, v7
	v_or_b32_sdwa v6, v7, v6 dst_sel:DWORD dst_unused:UNUSED_PAD src0_sel:DWORD src1_sel:WORD_0
	ds_write_b32 v5, v6
	s_waitcnt lgkmcnt(0)
	s_barrier
	s_cbranch_scc1 .LBB5_4
; %bb.3:
	s_load_dword s0, s[4:5], 0xd0
	s_mov_b32 s1, 0
	s_waitcnt lgkmcnt(0)
	s_mul_i32 s0, s0, s30
	s_add_i32 s0, s0, s6
	s_lshl_b64 s[0:1], s[0:1], 2
	s_add_u32 s0, s18, s0
	s_addc_u32 s1, s19, s1
	s_load_dword s24, s[0:1], 0x0
.LBB5_4:
	s_lshl_b32 s6, s7, 6
	s_waitcnt lgkmcnt(0)
	s_cmp_lt_i32 s6, s24
	v_mbcnt_lo_u32_b32 v5, -1, 0
	s_cbranch_scc1 .LBB5_7
; %bb.5:
	v_mbcnt_hi_u32_b32 v20, -1, v5
	v_and_b32_e32 v6, 0x60, v20
	v_add_u32_e32 v21, 32, v6
	v_xor_b32_e32 v26, 16, v20
	v_xor_b32_e32 v25, 8, v20
	;; [unrolled: 1-line block ×5, first 2 shown]
	s_cbranch_execz .LBB5_8
; %bb.6:
	v_mov_b32_e32 v49, 0
	v_mov_b32_e32 v27, 0
	;; [unrolled: 1-line block ×12, first 2 shown]
	s_branch .LBB5_10
.LBB5_7:
                                        ; implicit-def: $vgpr20
                                        ; implicit-def: $vgpr21
                                        ; implicit-def: $vgpr26
                                        ; implicit-def: $vgpr25
                                        ; implicit-def: $vgpr24
                                        ; implicit-def: $vgpr22
                                        ; implicit-def: $vgpr23
.LBB5_8:
	s_sub_i32 s0, 0, s31
	s_mul_i32 s0, s0, s34
	s_mul_hi_u32 s0, s34, s0
	s_add_i32 s34, s34, s0
	s_load_dwordx2 s[0:1], s[4:5], 0x8c
	s_load_dwordx4 s[36:39], s[4:5], 0x98
	s_abs_i32 s18, s25
	s_mul_hi_u32 s19, s18, s34
	s_ashr_i32 s28, s25, 31
	s_waitcnt lgkmcnt(0)
	s_ashr_i32 s9, s0, 2
	s_ashr_i32 s0, s30, 31
	s_mul_hi_u32 s34, s36, s30
	s_mul_i32 s35, s36, s0
	s_add_i32 s34, s34, s35
	s_mul_i32 s35, s37, s30
	s_ashr_i32 s33, s33, 31
	s_ashr_i32 s8, s38, 2
	;; [unrolled: 1-line block ×3, first 2 shown]
	s_add_i32 s34, s34, s35
	s_mul_i32 s35, s36, s30
	s_add_u32 s10, s10, s35
	s_addc_u32 s11, s11, s34
	s_xor_b32 s28, s28, s33
	s_mul_i32 s33, s19, s31
	s_sub_i32 s18, s18, s33
	s_add_i32 s33, s19, 1
	s_sub_i32 s34, s18, s31
	s_cmp_ge_u32 s18, s31
	s_cselect_b32 s19, s33, s19
	s_cselect_b32 s18, s34, s18
	s_add_i32 s33, s19, 1
	s_cmp_ge_u32 s18, s31
	s_load_dwordx2 s[14:15], s[4:5], 0xa8
	s_cselect_b32 s18, s33, s19
	s_xor_b32 s18, s18, s28
	s_sub_i32 s18, s18, s28
	s_mul_i32 s1, s18, s1
	s_ashr_i32 s19, s1, 31
	s_add_u32 s10, s10, s1
	s_waitcnt lgkmcnt(0)
	s_mul_hi_u32 s1, s14, s30
	s_mul_i32 s0, s14, s0
	s_addc_u32 s11, s11, s19
	s_add_i32 s0, s1, s0
	s_mul_i32 s1, s15, s30
	v_lshrrev_b32_e32 v6, 3, v0
	s_add_i32 s0, s0, s1
	s_mul_i32 s1, s14, s30
	v_add_u32_e32 v4, v6, v4
	s_add_u32 s1, s12, s1
	s_mul_i32 s18, s18, s39
	v_mul_lo_u32 v6, s9, v4
	v_mul_lo_u32 v14, s8, v4
	s_addc_u32 s0, s13, s0
	s_ashr_i32 s13, s18, 31
	v_lshlrev_b32_e32 v28, 2, v0
	s_add_u32 s12, s1, s18
	v_and_b32_e32 v8, 28, v28
	s_addc_u32 s13, s0, s13
	v_lshlrev_b32_e32 v11, 2, v8
	s_movk_i32 s0, 0x90
	v_mad_u32_u24 v29, v4, s0, v11
	v_lshl_add_u32 v12, s9, 5, v6
	v_mad_u64_u32 v[9:10], s[0:1], v3, s29, v[0:1]
	v_lshl_add_u32 v3, s8, 5, v14
	v_ashrrev_i32_e32 v7, 31, v6
	v_ashrrev_i32_e32 v13, 31, v12
	v_lshl_or_b32 v34, v4, 7, v11
	v_ashrrev_i32_e32 v15, 31, v14
	v_ashrrev_i32_e32 v4, 31, v3
	v_mbcnt_hi_u32_b32 v20, -1, v5
	v_add_u32_e32 v33, 0x2400, v1
	s_add_u32 s0, s4, 0xd0
	v_lshlrev_b64 v[10:11], 2, v[6:7]
	v_lshlrev_b64 v[12:13], 2, v[12:13]
	v_and_b32_e32 v5, 0x60, v20
	v_lshlrev_b64 v[14:15], 2, v[14:15]
	v_lshlrev_b64 v[16:17], 2, v[3:4]
	v_mov_b32_e32 v53, 0
	v_add_u32_e32 v30, 0x1200, v29
	v_add_u32_e32 v31, 0x3400, v1
	v_mul_u32_u24_e32 v32, 0x90, v0
	v_add_u32_e32 v35, 0x1000, v34
	s_addc_u32 s1, s5, 0
	v_mov_b32_e32 v1, 0xfeffffff
	v_lshlrev_b32_e32 v36, 2, v8
	v_add_u32_e32 v21, 32, v5
	v_xor_b32_e32 v26, 16, v20
	v_xor_b32_e32 v25, 8, v20
	;; [unrolled: 1-line block ×5, first 2 shown]
	v_mov_b32_e32 v37, s27
	s_mov_b32 s14, 0x3fb8aa3b
	s_mov_b32 s15, 0xc2ce8ed0
	;; [unrolled: 1-line block ×3, first 2 shown]
	v_mov_b32_e32 v38, 0x7f800000
	s_mov_b32 s19, 0x10001
	v_add_u32_e32 v39, v33, v2
	v_add_u32_e32 v40, 0x400, v28
	;; [unrolled: 1-line block ×8, first 2 shown]
	v_mov_b32_e32 v47, 0
	v_mov_b32_e32 v48, 0
	;; [unrolled: 1-line block ×10, first 2 shown]
.LBB5_9:                                ; =>This Inner Loop Header: Depth=1
	s_mul_hi_i32 s29, s6, s9
	s_mul_i32 s28, s6, s9
	s_lshl_b64 s[28:29], s[28:29], 2
	s_add_u32 s27, s10, s28
	s_addc_u32 s28, s11, s29
	v_mov_b32_e32 v56, v51
	v_mov_b32_e32 v57, v50
	;; [unrolled: 1-line block ×4, first 2 shown]
	v_add_co_u32_e32 v1, vcc, s27, v10
	v_mov_b32_e32 v2, s28
	v_addc_co_u32_e32 v2, vcc, v2, v11, vcc
	v_add_co_u32_e32 v1, vcc, v1, v36
	v_addc_co_u32_e32 v2, vcc, 0, v2, vcc
	v_mov_b32_e32 v55, v52
	v_mov_b32_e32 v54, v4
	;; [unrolled: 1-line block ×3, first 2 shown]
	global_load_dwordx4 v[1:4], v[1:2], off
	v_mov_b32_e32 v58, 0
	v_mov_b32_e32 v60, 0
	v_mov_b32_e32 v61, 0
	v_mov_b32_e32 v59, 0
	s_mul_hi_i32 s29, s6, s8
	s_waitcnt vmcnt(0)
	ds_write_b128 v29, v[1:4]
	v_add_co_u32_e32 v1, vcc, s27, v12
	v_mov_b32_e32 v2, s28
	v_addc_co_u32_e32 v2, vcc, v2, v13, vcc
	v_add_co_u32_e32 v1, vcc, v1, v36
	v_addc_co_u32_e32 v2, vcc, 0, v2, vcc
	global_load_dwordx4 v[1:4], v[1:2], off
	v_cmp_lt_i32_e32 vcc, v26, v21
	s_mul_i32 s28, s6, s8
	s_lshl_b64 s[28:29], s[28:29], 2
	s_add_u32 s27, s12, s28
	s_addc_u32 s28, s13, s29
	s_waitcnt vmcnt(0)
	ds_write_b128 v30, v[1:4]
	s_waitcnt lgkmcnt(0)
	s_barrier
	ds_read_b128 v[62:65], v32
	ds_read_b128 v[1:4], v32 offset:4608
	ds_read_b128 v[66:69], v31
	ds_read_b128 v[70:73], v31 offset:128
	ds_read_b128 v[74:77], v31 offset:256
	;; [unrolled: 1-line block ×3, first 2 shown]
	s_waitcnt lgkmcnt(3)
	;;#ASMSTART
	v_dot2_f32_f16 v58, v62, v66, v58
	;;#ASMEND
	;;#ASMSTART
	v_dot2_f32_f16 v58, v63, v67, v58
	;;#ASMEND
	;;#ASMSTART
	v_dot2_f32_f16 v58, v64, v68, v58
	;;#ASMEND
	;;#ASMSTART
	v_dot2_f32_f16 v58, v65, v69, v58
	;;#ASMEND
	s_waitcnt lgkmcnt(2)
	;;#ASMSTART
	v_dot2_f32_f16 v60, v62, v70, v60
	;;#ASMEND
	;;#ASMSTART
	v_dot2_f32_f16 v60, v63, v71, v60
	;;#ASMEND
	;;#ASMSTART
	v_dot2_f32_f16 v60, v64, v72, v60
	;;#ASMEND
	;;#ASMSTART
	v_dot2_f32_f16 v60, v65, v73, v60
	;;#ASMEND
	;; [unrolled: 13-line block ×4, first 2 shown]
	v_mov_b32_e32 v65, 0
	;;#ASMSTART
	v_dot2_f32_f16 v65, v1, v66, v65
	;;#ASMEND
	;;#ASMSTART
	v_dot2_f32_f16 v65, v2, v67, v65
	;;#ASMEND
	;;#ASMSTART
	v_dot2_f32_f16 v65, v3, v68, v65
	;;#ASMEND
	v_mov_b32_e32 v63, 0
	;;#ASMSTART
	v_dot2_f32_f16 v65, v4, v69, v65
	;;#ASMEND
	;;#ASMSTART
	v_dot2_f32_f16 v63, v1, v70, v63
	;;#ASMEND
	;;#ASMSTART
	v_dot2_f32_f16 v63, v2, v71, v63
	;;#ASMEND
	;;#ASMSTART
	v_dot2_f32_f16 v63, v3, v72, v63
	;;#ASMEND
	v_mov_b32_e32 v64, 0
	;;#ASMSTART
	v_dot2_f32_f16 v63, v4, v73, v63
	;;#ASMEND
	;; [unrolled: 13-line block ×3, first 2 shown]
	;;#ASMSTART
	v_dot2_f32_f16 v62, v1, v5, v62
	;;#ASMEND
	;;#ASMSTART
	v_dot2_f32_f16 v62, v2, v6, v62
	;;#ASMEND
	;; [unrolled: 3-line block ×4, first 2 shown]
	ds_read_b128 v[1:4], v32 offset:16
	ds_read_b128 v[5:8], v32 offset:4624
	;; [unrolled: 1-line block ×6, first 2 shown]
	s_waitcnt lgkmcnt(3)
	;;#ASMSTART
	v_dot2_f32_f16 v58, v1, v66, v58
	;;#ASMEND
	;;#ASMSTART
	v_dot2_f32_f16 v58, v2, v67, v58
	;;#ASMEND
	;;#ASMSTART
	v_dot2_f32_f16 v58, v3, v68, v58
	;;#ASMEND
	;;#ASMSTART
	v_dot2_f32_f16 v58, v4, v69, v58
	;;#ASMEND
	s_waitcnt lgkmcnt(2)
	;;#ASMSTART
	v_dot2_f32_f16 v60, v1, v70, v60
	;;#ASMEND
	;;#ASMSTART
	v_dot2_f32_f16 v60, v2, v71, v60
	;;#ASMEND
	;;#ASMSTART
	v_dot2_f32_f16 v60, v3, v72, v60
	;;#ASMEND
	;;#ASMSTART
	v_dot2_f32_f16 v60, v4, v73, v60
	;;#ASMEND
	;; [unrolled: 13-line block ×4, first 2 shown]
	;;#ASMSTART
	v_dot2_f32_f16 v65, v5, v66, v65
	;;#ASMEND
	;;#ASMSTART
	v_dot2_f32_f16 v65, v6, v67, v65
	;;#ASMEND
	;; [unrolled: 3-line block ×16, first 2 shown]
	ds_read_b128 v[1:4], v32 offset:32
	ds_read_b128 v[5:8], v32 offset:4640
	;; [unrolled: 1-line block ×6, first 2 shown]
	s_waitcnt lgkmcnt(3)
	;;#ASMSTART
	v_dot2_f32_f16 v58, v1, v66, v58
	;;#ASMEND
	;;#ASMSTART
	v_dot2_f32_f16 v58, v2, v67, v58
	;;#ASMEND
	;;#ASMSTART
	v_dot2_f32_f16 v58, v3, v68, v58
	;;#ASMEND
	;;#ASMSTART
	v_dot2_f32_f16 v58, v4, v69, v58
	;;#ASMEND
	s_waitcnt lgkmcnt(2)
	;;#ASMSTART
	v_dot2_f32_f16 v60, v1, v70, v60
	;;#ASMEND
	;;#ASMSTART
	v_dot2_f32_f16 v60, v2, v71, v60
	;;#ASMEND
	;;#ASMSTART
	v_dot2_f32_f16 v60, v3, v72, v60
	;;#ASMEND
	;;#ASMSTART
	v_dot2_f32_f16 v60, v4, v73, v60
	;;#ASMEND
	s_waitcnt lgkmcnt(1)
	;;#ASMSTART
	v_dot2_f32_f16 v61, v1, v74, v61
	;;#ASMEND
	;;#ASMSTART
	v_dot2_f32_f16 v61, v2, v75, v61
	;;#ASMEND
	;;#ASMSTART
	v_dot2_f32_f16 v61, v3, v76, v61
	;;#ASMEND
	;;#ASMSTART
	v_dot2_f32_f16 v61, v4, v77, v61
	;;#ASMEND
	s_waitcnt lgkmcnt(0)
	;;#ASMSTART
	v_dot2_f32_f16 v59, v1, v78, v59
	;;#ASMEND
	;;#ASMSTART
	v_dot2_f32_f16 v59, v2, v79, v59
	;;#ASMEND
	;;#ASMSTART
	v_dot2_f32_f16 v59, v3, v80, v59
	;;#ASMEND
	;;#ASMSTART
	v_dot2_f32_f16 v59, v4, v81, v59
	;;#ASMEND
	;;#ASMSTART
	v_dot2_f32_f16 v65, v5, v66, v65
	;;#ASMEND
	;;#ASMSTART
	v_dot2_f32_f16 v65, v6, v67, v65
	;;#ASMEND
	;;#ASMSTART
	v_dot2_f32_f16 v65, v7, v68, v65
	;;#ASMEND
	;;#ASMSTART
	v_dot2_f32_f16 v65, v8, v69, v65
	;;#ASMEND
	;;#ASMSTART
	v_dot2_f32_f16 v63, v5, v70, v63
	;;#ASMEND
	;;#ASMSTART
	v_dot2_f32_f16 v63, v6, v71, v63
	;;#ASMEND
	;;#ASMSTART
	v_dot2_f32_f16 v63, v7, v72, v63
	;;#ASMEND
	;;#ASMSTART
	v_dot2_f32_f16 v63, v8, v73, v63
	;;#ASMEND
	;;#ASMSTART
	v_dot2_f32_f16 v64, v5, v74, v64
	;;#ASMEND
	;;#ASMSTART
	v_dot2_f32_f16 v64, v6, v75, v64
	;;#ASMEND
	;;#ASMSTART
	v_dot2_f32_f16 v64, v7, v76, v64
	;;#ASMEND
	;;#ASMSTART
	v_dot2_f32_f16 v64, v8, v77, v64
	;;#ASMEND
	;;#ASMSTART
	v_dot2_f32_f16 v62, v5, v78, v62
	;;#ASMEND
	;;#ASMSTART
	v_dot2_f32_f16 v62, v6, v79, v62
	;;#ASMEND
	;;#ASMSTART
	v_dot2_f32_f16 v62, v7, v80, v62
	;;#ASMEND
	;;#ASMSTART
	v_dot2_f32_f16 v62, v8, v81, v62
	;;#ASMEND
	ds_read_b128 v[1:4], v32 offset:48
	ds_read_b128 v[5:8], v32 offset:4656
	;; [unrolled: 1-line block ×6, first 2 shown]
	s_waitcnt lgkmcnt(3)
	;;#ASMSTART
	v_dot2_f32_f16 v58, v1, v66, v58
	;;#ASMEND
	;;#ASMSTART
	v_dot2_f32_f16 v58, v2, v67, v58
	;;#ASMEND
	;;#ASMSTART
	v_dot2_f32_f16 v58, v3, v68, v58
	;;#ASMEND
	;;#ASMSTART
	v_dot2_f32_f16 v58, v4, v69, v58
	;;#ASMEND
	s_waitcnt lgkmcnt(2)
	;;#ASMSTART
	v_dot2_f32_f16 v60, v1, v70, v60
	;;#ASMEND
	;;#ASMSTART
	v_dot2_f32_f16 v60, v2, v71, v60
	;;#ASMEND
	;;#ASMSTART
	v_dot2_f32_f16 v60, v3, v72, v60
	;;#ASMEND
	;;#ASMSTART
	v_dot2_f32_f16 v60, v4, v73, v60
	;;#ASMEND
	;; [unrolled: 13-line block ×4, first 2 shown]
	;;#ASMSTART
	v_dot2_f32_f16 v65, v5, v66, v65
	;;#ASMEND
	;;#ASMSTART
	v_dot2_f32_f16 v65, v6, v67, v65
	;;#ASMEND
	;; [unrolled: 3-line block ×16, first 2 shown]
	ds_read_b128 v[1:4], v32 offset:64
	ds_read_b128 v[5:8], v32 offset:4672
	ds_read_b128 v[66:69], v31 offset:64
	ds_read_b128 v[70:73], v31 offset:192
	ds_read_b128 v[74:77], v31 offset:320
	ds_read_b128 v[78:81], v31 offset:448
	s_waitcnt lgkmcnt(3)
	;;#ASMSTART
	v_dot2_f32_f16 v58, v1, v66, v58
	;;#ASMEND
	;;#ASMSTART
	v_dot2_f32_f16 v58, v2, v67, v58
	;;#ASMEND
	;;#ASMSTART
	v_dot2_f32_f16 v58, v3, v68, v58
	;;#ASMEND
	;;#ASMSTART
	v_dot2_f32_f16 v58, v4, v69, v58
	;;#ASMEND
	s_waitcnt lgkmcnt(2)
	;;#ASMSTART
	v_dot2_f32_f16 v60, v1, v70, v60
	;;#ASMEND
	;;#ASMSTART
	v_dot2_f32_f16 v60, v2, v71, v60
	;;#ASMEND
	;;#ASMSTART
	v_dot2_f32_f16 v60, v3, v72, v60
	;;#ASMEND
	;;#ASMSTART
	v_dot2_f32_f16 v60, v4, v73, v60
	;;#ASMEND
	;; [unrolled: 13-line block ×4, first 2 shown]
	;;#ASMSTART
	v_dot2_f32_f16 v65, v5, v66, v65
	;;#ASMEND
	;;#ASMSTART
	v_dot2_f32_f16 v65, v6, v67, v65
	;;#ASMEND
	;; [unrolled: 3-line block ×16, first 2 shown]
	ds_read_b128 v[1:4], v32 offset:80
	ds_read_b128 v[5:8], v32 offset:4688
	;; [unrolled: 1-line block ×6, first 2 shown]
	s_waitcnt lgkmcnt(3)
	;;#ASMSTART
	v_dot2_f32_f16 v58, v1, v66, v58
	;;#ASMEND
	;;#ASMSTART
	v_dot2_f32_f16 v58, v2, v67, v58
	;;#ASMEND
	;;#ASMSTART
	v_dot2_f32_f16 v58, v3, v68, v58
	;;#ASMEND
	;;#ASMSTART
	v_dot2_f32_f16 v58, v4, v69, v58
	;;#ASMEND
	s_waitcnt lgkmcnt(2)
	;;#ASMSTART
	v_dot2_f32_f16 v60, v1, v70, v60
	;;#ASMEND
	;;#ASMSTART
	v_dot2_f32_f16 v60, v2, v71, v60
	;;#ASMEND
	;;#ASMSTART
	v_dot2_f32_f16 v60, v3, v72, v60
	;;#ASMEND
	;;#ASMSTART
	v_dot2_f32_f16 v60, v4, v73, v60
	;;#ASMEND
	;; [unrolled: 13-line block ×4, first 2 shown]
	;;#ASMSTART
	v_dot2_f32_f16 v65, v5, v66, v65
	;;#ASMEND
	;;#ASMSTART
	v_dot2_f32_f16 v65, v6, v67, v65
	;;#ASMEND
	;; [unrolled: 3-line block ×16, first 2 shown]
	ds_read_b128 v[1:4], v32 offset:96
	ds_read_b128 v[5:8], v32 offset:4704
	;; [unrolled: 1-line block ×6, first 2 shown]
	s_waitcnt lgkmcnt(3)
	;;#ASMSTART
	v_dot2_f32_f16 v58, v1, v66, v58
	;;#ASMEND
	;;#ASMSTART
	v_dot2_f32_f16 v58, v2, v67, v58
	;;#ASMEND
	;;#ASMSTART
	v_dot2_f32_f16 v58, v3, v68, v58
	;;#ASMEND
	;;#ASMSTART
	v_dot2_f32_f16 v58, v4, v69, v58
	;;#ASMEND
	s_waitcnt lgkmcnt(2)
	;;#ASMSTART
	v_dot2_f32_f16 v60, v1, v70, v60
	;;#ASMEND
	;;#ASMSTART
	v_dot2_f32_f16 v60, v2, v71, v60
	;;#ASMEND
	;;#ASMSTART
	v_dot2_f32_f16 v60, v3, v72, v60
	;;#ASMEND
	;;#ASMSTART
	v_dot2_f32_f16 v60, v4, v73, v60
	;;#ASMEND
	;; [unrolled: 13-line block ×4, first 2 shown]
	;;#ASMSTART
	v_dot2_f32_f16 v65, v5, v66, v65
	;;#ASMEND
	;;#ASMSTART
	v_dot2_f32_f16 v65, v6, v67, v65
	;;#ASMEND
	;; [unrolled: 3-line block ×16, first 2 shown]
	ds_read_b128 v[1:4], v32 offset:112
	ds_read_b128 v[5:8], v32 offset:4720
	;; [unrolled: 1-line block ×6, first 2 shown]
	s_waitcnt lgkmcnt(3)
	;;#ASMSTART
	v_dot2_f32_f16 v58, v1, v66, v58
	;;#ASMEND
	;;#ASMSTART
	v_dot2_f32_f16 v58, v2, v67, v58
	;;#ASMEND
	;;#ASMSTART
	v_dot2_f32_f16 v58, v3, v68, v58
	;;#ASMEND
	;;#ASMSTART
	v_dot2_f32_f16 v58, v4, v69, v58
	;;#ASMEND
	s_waitcnt lgkmcnt(2)
	;;#ASMSTART
	v_dot2_f32_f16 v60, v1, v70, v60
	;;#ASMEND
	;;#ASMSTART
	v_dot2_f32_f16 v60, v2, v71, v60
	;;#ASMEND
	;;#ASMSTART
	v_dot2_f32_f16 v60, v3, v72, v60
	;;#ASMEND
	;;#ASMSTART
	v_dot2_f32_f16 v60, v4, v73, v60
	;;#ASMEND
	;; [unrolled: 13-line block ×4, first 2 shown]
	;;#ASMSTART
	v_dot2_f32_f16 v65, v5, v66, v65
	;;#ASMEND
	;;#ASMSTART
	v_dot2_f32_f16 v65, v6, v67, v65
	;;#ASMEND
	;; [unrolled: 3-line block ×10, first 2 shown]
	v_cndmask_b32_e32 v2, v20, v26, vcc
	v_cmp_lt_i32_e32 vcc, v25, v21
	;;#ASMSTART
	v_dot2_f32_f16 v64, v7, v76, v64
	;;#ASMEND
	v_lshlrev_b32_e32 v4, 2, v2
	v_cndmask_b32_e32 v2, v20, v25, vcc
	v_cmp_lt_i32_e32 vcc, v24, v21
	;;#ASMSTART
	v_dot2_f32_f16 v64, v8, v77, v64
	;;#ASMEND
	;;#ASMSTART
	v_dot2_f32_f16 v62, v5, v78, v62
	;;#ASMEND
	v_lshlrev_b32_e32 v5, 2, v2
	v_cndmask_b32_e32 v2, v20, v24, vcc
	v_cmp_lt_i32_e32 vcc, v22, v21
	;;#ASMSTART
	v_dot2_f32_f16 v62, v6, v79, v62
	;;#ASMEND
	v_lshlrev_b32_e32 v6, 2, v2
	v_cndmask_b32_e32 v2, v20, v22, vcc
	v_cmp_lt_i32_e32 vcc, v23, v21
	;;#ASMSTART
	v_dot2_f32_f16 v62, v7, v80, v62
	;;#ASMEND
	v_add_u32_e32 v1, s6, v9
	v_lshlrev_b32_e32 v7, 2, v2
	v_cndmask_b32_e32 v2, v20, v23, vcc
	;;#ASMSTART
	v_dot2_f32_f16 v62, v8, v81, v62
	;;#ASMEND
	v_lshlrev_b32_e32 v8, 2, v2
	v_ashrrev_i32_e32 v2, 31, v1
	v_lshlrev_b64 v[1:2], 1, v[1:2]
	v_add_co_u32_e32 v1, vcc, s26, v1
	v_addc_co_u32_e32 v2, vcc, v37, v2, vcc
	global_load_ushort v3, v[1:2], off
	s_waitcnt vmcnt(0)
	v_cvt_f32_f16_e32 v66, v3
	global_load_ushort v1, v[1:2], off offset:64
	s_waitcnt vmcnt(0)
	s_barrier
	v_add_f32_e32 v58, v58, v66
	v_add_f32_e32 v3, 0x40051340, v58
	;; [unrolled: 1-line block ×6, first 2 shown]
	v_cvt_f32_f16_e32 v67, v1
	v_add_f32_e32 v65, v65, v67
	v_add_f32_e32 v1, 0x40051340, v65
	v_max3_f32 v1, v50, v3, v1
	ds_bpermute_b32 v2, v4, v1
	v_add_f32_e32 v63, v63, v67
	v_add_f32_e32 v3, 0x40051340, v63
	v_add_f32_e32 v64, v64, v67
	v_add_f32_e32 v62, v62, v67
	s_waitcnt lgkmcnt(0)
	v_max_f32_e32 v2, v2, v2
	v_max_f32_e32 v1, v1, v2
	ds_bpermute_b32 v2, v5, v1
	v_add_f32_e32 v68, 0x40051340, v64
	v_add_f32_e32 v67, 0x40051340, v62
	v_max3_f32 v66, v54, v66, v67
	s_waitcnt lgkmcnt(0)
	v_max_f32_e32 v2, v2, v2
	v_max_f32_e32 v1, v1, v2
	ds_bpermute_b32 v2, v6, v1
	s_waitcnt lgkmcnt(0)
	v_max_f32_e32 v2, v2, v2
	v_max_f32_e32 v1, v1, v2
	ds_bpermute_b32 v2, v7, v1
	;; [unrolled: 4-line block ×3, first 2 shown]
	s_waitcnt lgkmcnt(0)
	v_max_f32_e32 v2, v2, v2
	v_max_f32_e32 v1, v1, v2
	v_add_f32_e32 v2, 0x40051340, v60
	v_max3_f32 v2, v51, v2, v3
	ds_bpermute_b32 v3, v4, v2
	s_waitcnt lgkmcnt(0)
	v_max_f32_e32 v3, v3, v3
	v_max_f32_e32 v2, v2, v3
	ds_bpermute_b32 v3, v5, v2
	s_waitcnt lgkmcnt(0)
	v_max_f32_e32 v3, v3, v3
	v_max_f32_e32 v2, v2, v3
	;; [unrolled: 4-line block ×5, first 2 shown]
	v_add_f32_e32 v3, 0x40051340, v61
	v_max3_f32 v3, v52, v3, v68
	ds_bpermute_b32 v68, v4, v3
	ds_bpermute_b32 v4, v4, v66
	s_waitcnt lgkmcnt(1)
	v_max_f32_e32 v68, v68, v68
	s_waitcnt lgkmcnt(0)
	v_max_f32_e32 v4, v4, v4
	v_max_f32_e32 v3, v3, v68
	;; [unrolled: 1-line block ×3, first 2 shown]
	ds_bpermute_b32 v68, v5, v3
	ds_bpermute_b32 v5, v5, v4
	s_waitcnt lgkmcnt(1)
	v_max_f32_e32 v68, v68, v68
	s_waitcnt lgkmcnt(0)
	v_max_f32_e32 v5, v5, v5
	v_max_f32_e32 v4, v4, v5
	ds_bpermute_b32 v5, v6, v4
	v_max_f32_e32 v3, v3, v68
	ds_bpermute_b32 v68, v6, v3
	v_sub_f32_e32 v6, v58, v1
	v_cmp_ngt_f32_e32 vcc, s15, v6
	s_waitcnt lgkmcnt(1)
	v_max_f32_e32 v5, v5, v5
	v_max_f32_e32 v4, v4, v5
	ds_bpermute_b32 v5, v7, v4
	s_waitcnt lgkmcnt(1)
	v_max_f32_e32 v68, v68, v68
	v_max_f32_e32 v3, v3, v68
	ds_bpermute_b32 v68, v7, v3
	v_mul_f32_e32 v7, 0x3fb8aa3b, v6
	s_waitcnt lgkmcnt(1)
	v_max_f32_e32 v5, v5, v5
	v_max_f32_e32 v4, v4, v5
	ds_bpermute_b32 v5, v8, v4
	s_waitcnt lgkmcnt(1)
	v_max_f32_e32 v68, v68, v68
	v_max_f32_e32 v3, v3, v68
	ds_bpermute_b32 v68, v8, v3
	v_fma_f32 v8, v6, s14, -v7
	s_waitcnt lgkmcnt(1)
	v_max_f32_e32 v5, v5, v5
	v_max_f32_e32 v4, v4, v5
	v_sub_f32_e32 v5, v50, v1
	v_rndne_f32_e32 v50, v7
	v_fmac_f32_e32 v8, 0x32a5705f, v6
	v_sub_f32_e32 v7, v7, v50
	v_add_f32_e32 v7, v7, v8
	v_exp_f32_e32 v7, v7
	v_cvt_i32_f32_e32 v8, v50
	s_waitcnt lgkmcnt(0)
	v_max_f32_e32 v68, v68, v68
	v_max_f32_e32 v3, v3, v68
	v_ldexp_f32 v7, v7, v8
	v_sub_f32_e32 v8, v65, v1
	v_mul_f32_e32 v50, 0x3fb8aa3b, v8
	v_fma_f32 v58, v8, s14, -v50
	v_rndne_f32_e32 v65, v50
	v_fmac_f32_e32 v58, 0x32a5705f, v8
	v_sub_f32_e32 v50, v50, v65
	v_add_f32_e32 v50, v50, v58
	v_exp_f32_e32 v50, v50
	v_cvt_i32_f32_e32 v58, v65
	v_cndmask_b32_e32 v7, 0, v7, vcc
	v_cmp_nlt_f32_e32 vcc, s18, v6
	v_cndmask_b32_e32 v6, v38, v7, vcc
	v_ldexp_f32 v50, v50, v58
	v_cmp_ngt_f32_e32 vcc, s15, v8
	v_cndmask_b32_e32 v50, 0, v50, vcc
	v_cmp_nlt_f32_e32 vcc, s18, v8
	v_cndmask_b32_e32 v8, v38, v50, vcc
	v_cvt_f16_f32_e32 v7, v6
	v_add_f32_e32 v50, v6, v8
	v_mul_f32_e32 v6, 0x3fb8aa3b, v5
	v_cvt_f16_f32_e32 v58, v8
	v_fma_f32 v8, v5, s14, -v6
	v_rndne_f32_e32 v65, v6
	v_fmac_f32_e32 v8, 0x32a5705f, v5
	v_sub_f32_e32 v6, v6, v65
	v_add_f32_e32 v6, v6, v8
	v_exp_f32_e32 v6, v6
	v_cvt_i32_f32_e32 v8, v65
	v_cmp_ngt_f32_e32 vcc, s15, v5
	v_ldexp_f32 v6, v6, v8
	v_cndmask_b32_e32 v6, 0, v6, vcc
	v_cmp_nlt_f32_e32 vcc, s18, v5
	v_cndmask_b32_e32 v5, v38, v6, vcc
	v_fmac_f32_e32 v50, v57, v5
	v_cvt_f16_f32_e32 v5, v5
	v_sub_f32_e32 v6, v60, v2
	v_mul_f32_e32 v8, 0x3fb8aa3b, v6
	v_rndne_f32_e32 v60, v8
	v_mul_u32_u24_e32 v57, 0x10001, v5
	v_sub_f32_e32 v5, v51, v2
	v_fma_f32 v51, v6, s14, -v8
	v_fmac_f32_e32 v51, 0x32a5705f, v6
	v_sub_f32_e32 v8, v8, v60
	v_add_f32_e32 v8, v8, v51
	v_exp_f32_e32 v8, v8
	v_cvt_i32_f32_e32 v51, v60
	v_cmp_ngt_f32_e32 vcc, s15, v6
	v_ldexp_f32 v8, v8, v51
	v_sub_f32_e32 v51, v63, v2
	v_mul_f32_e32 v60, 0x3fb8aa3b, v51
	v_fma_f32 v63, v51, s14, -v60
	v_rndne_f32_e32 v65, v60
	v_fmac_f32_e32 v63, 0x32a5705f, v51
	v_sub_f32_e32 v60, v60, v65
	v_add_f32_e32 v60, v60, v63
	v_exp_f32_e32 v60, v60
	v_cvt_i32_f32_e32 v63, v65
	v_cndmask_b32_e32 v8, 0, v8, vcc
	v_cmp_nlt_f32_e32 vcc, s18, v6
	v_cndmask_b32_e32 v6, v38, v8, vcc
	v_ldexp_f32 v60, v60, v63
	v_cmp_ngt_f32_e32 vcc, s15, v51
	v_cndmask_b32_e32 v60, 0, v60, vcc
	v_cmp_nlt_f32_e32 vcc, s18, v51
	v_cndmask_b32_e32 v60, v38, v60, vcc
	v_cvt_f16_f32_e32 v8, v6
	v_add_f32_e32 v51, v6, v60
	v_mul_f32_e32 v6, 0x3fb8aa3b, v5
	v_fma_f32 v63, v5, s14, -v6
	v_rndne_f32_e32 v65, v6
	v_fmac_f32_e32 v63, 0x32a5705f, v5
	v_sub_f32_e32 v6, v6, v65
	v_add_f32_e32 v6, v6, v63
	v_exp_f32_e32 v6, v6
	v_cvt_i32_f32_e32 v63, v65
	v_cmp_ngt_f32_e32 vcc, s15, v5
	v_cvt_f16_f32_e32 v60, v60
	v_ldexp_f32 v6, v6, v63
	v_cndmask_b32_e32 v6, 0, v6, vcc
	v_cmp_nlt_f32_e32 vcc, s18, v5
	v_cndmask_b32_e32 v5, v38, v6, vcc
	v_fmac_f32_e32 v51, v56, v5
	v_cvt_f16_f32_e32 v5, v5
	v_sub_f32_e32 v6, v61, v3
	v_cmp_ngt_f32_e32 vcc, s15, v6
	v_mul_u32_u24_e32 v56, 0x10001, v5
	v_sub_f32_e32 v5, v52, v3
	v_mul_f32_e32 v52, 0x3fb8aa3b, v6
	v_fma_f32 v61, v6, s14, -v52
	v_rndne_f32_e32 v63, v52
	v_fmac_f32_e32 v61, 0x32a5705f, v6
	v_sub_f32_e32 v52, v52, v63
	v_add_f32_e32 v52, v52, v61
	v_exp_f32_e32 v52, v52
	v_cvt_i32_f32_e32 v61, v63
	v_ldexp_f32 v52, v52, v61
	v_cndmask_b32_e32 v52, 0, v52, vcc
	v_cmp_nlt_f32_e32 vcc, s18, v6
	v_cndmask_b32_e32 v6, v38, v52, vcc
	v_sub_f32_e32 v52, v64, v3
	v_mul_f32_e32 v63, 0x3fb8aa3b, v52
	v_fma_f32 v64, v52, s14, -v63
	v_rndne_f32_e32 v65, v63
	v_fmac_f32_e32 v64, 0x32a5705f, v52
	v_sub_f32_e32 v63, v63, v65
	v_add_f32_e32 v63, v63, v64
	v_exp_f32_e32 v63, v63
	v_cvt_i32_f32_e32 v64, v65
	v_cmp_ngt_f32_e32 vcc, s15, v52
	v_cvt_f16_f32_e32 v61, v6
	v_ldexp_f32 v63, v63, v64
	v_cndmask_b32_e32 v63, 0, v63, vcc
	v_cmp_nlt_f32_e32 vcc, s18, v52
	v_cndmask_b32_e32 v63, v38, v63, vcc
	v_add_f32_e32 v52, v6, v63
	v_mul_f32_e32 v6, 0x3fb8aa3b, v5
	v_fma_f32 v64, v5, s14, -v6
	v_rndne_f32_e32 v65, v6
	v_fmac_f32_e32 v64, 0x32a5705f, v5
	v_sub_f32_e32 v6, v6, v65
	v_add_f32_e32 v6, v6, v64
	v_exp_f32_e32 v6, v6
	v_cvt_i32_f32_e32 v64, v65
	v_cmp_ngt_f32_e32 vcc, s15, v5
	v_cvt_f16_f32_e32 v63, v63
	v_ldexp_f32 v6, v6, v64
	v_cndmask_b32_e32 v6, 0, v6, vcc
	v_cmp_nlt_f32_e32 vcc, s18, v5
	v_cndmask_b32_e32 v5, v38, v6, vcc
	v_fmac_f32_e32 v52, v55, v5
	v_cvt_f16_f32_e32 v5, v5
	v_sub_f32_e32 v6, v59, v4
	v_cmp_ngt_f32_e32 vcc, s15, v6
	v_mul_u32_u24_e32 v55, 0x10001, v5
	v_sub_f32_e32 v5, v54, v4
	v_mul_f32_e32 v54, 0x3fb8aa3b, v6
	v_fma_f32 v59, v6, s14, -v54
	v_rndne_f32_e32 v64, v54
	v_fmac_f32_e32 v59, 0x32a5705f, v6
	v_sub_f32_e32 v54, v54, v64
	v_add_f32_e32 v54, v54, v59
	v_exp_f32_e32 v54, v54
	v_cvt_i32_f32_e32 v59, v64
	v_ldexp_f32 v54, v54, v59
	v_sub_f32_e32 v59, v62, v4
	v_mul_f32_e32 v62, 0x3fb8aa3b, v59
	v_fma_f32 v64, v59, s14, -v62
	v_rndne_f32_e32 v65, v62
	v_fmac_f32_e32 v64, 0x32a5705f, v59
	v_sub_f32_e32 v62, v62, v65
	v_add_f32_e32 v62, v62, v64
	v_exp_f32_e32 v62, v62
	v_cvt_i32_f32_e32 v64, v65
	v_cndmask_b32_e32 v54, 0, v54, vcc
	v_cmp_nlt_f32_e32 vcc, s18, v6
	v_cndmask_b32_e32 v6, v38, v54, vcc
	v_ldexp_f32 v62, v62, v64
	v_cmp_ngt_f32_e32 vcc, s15, v59
	v_cndmask_b32_e32 v62, 0, v62, vcc
	v_cmp_nlt_f32_e32 vcc, s18, v59
	v_cndmask_b32_e32 v59, v38, v62, vcc
	v_mul_f32_e32 v62, 0x3fb8aa3b, v5
	v_fma_f32 v64, v5, s14, -v62
	v_rndne_f32_e32 v65, v62
	v_fmac_f32_e32 v64, 0x32a5705f, v5
	v_sub_f32_e32 v62, v62, v65
	v_add_f32_e32 v62, v62, v64
	v_exp_f32_e32 v62, v62
	v_cvt_i32_f32_e32 v64, v65
	v_cmp_ngt_f32_e32 vcc, s15, v5
	v_cvt_f16_f32_e32 v54, v6
	v_add_f32_e32 v6, v6, v59
	v_ldexp_f32 v62, v62, v64
	v_cndmask_b32_e32 v62, 0, v62, vcc
	v_cmp_nlt_f32_e32 vcc, s18, v5
	v_cndmask_b32_e32 v5, v38, v62, vcc
	v_mov_b32_e32 v62, v27
	v_mov_b32_e32 v27, v6
	v_fmac_f32_e32 v27, v62, v5
	v_cvt_f16_f32_e32 v5, v5
	v_cvt_f16_f32_e32 v59, v59
	v_pack_b32_f16 v6, v61, v54
	v_mul_u32_u24_e32 v5, 0x10001, v5
	v_pk_mul_f16 v53, v53, v5
	v_pack_b32_f16 v5, v7, v8
	v_pack_b32_f16 v8, v63, v59
	;; [unrolled: 1-line block ×3, first 2 shown]
	ds_write2_b64 v39, v[5:6], v[7:8] offset1:32
	v_add_co_u32_e32 v5, vcc, s27, v14
	v_mov_b32_e32 v6, s28
	v_addc_co_u32_e32 v6, vcc, v6, v15, vcc
	v_add_co_u32_e32 v7, vcc, v5, v36
	v_addc_co_u32_e32 v8, vcc, 0, v6, vcc
	v_add_co_u32_e32 v5, vcc, s27, v16
	v_mov_b32_e32 v6, s28
	v_addc_co_u32_e32 v6, vcc, v6, v17, vcc
	v_add_co_u32_e32 v5, vcc, v5, v36
	v_addc_co_u32_e32 v6, vcc, 0, v6, vcc
	global_load_dwordx4 v[58:61], v[7:8], off
	s_waitcnt vmcnt(0)
	ds_write_b128 v34, v[58:61]
	global_load_dwordx4 v[5:8], v[5:6], off
	s_waitcnt vmcnt(0)
	ds_write_b128 v35, v[5:8]
	s_waitcnt lgkmcnt(0)
	s_barrier
	ds_read2_b32 v[70:71], v28 offset1:32
	ds_read_b128 v[5:8], v33
	ds_read_b128 v[58:61], v33 offset:16
	ds_read_b128 v[62:65], v33 offset:32
	;; [unrolled: 1-line block ×3, first 2 shown]
	s_waitcnt lgkmcnt(3)
	v_mul_u32_u24_sdwa v54, v5, s19 dst_sel:DWORD dst_unused:UNUSED_PAD src0_sel:WORD_0 src1_sel:DWORD
	v_mul_u32_u24_sdwa v5, v5, s19 dst_sel:DWORD dst_unused:UNUSED_PAD src0_sel:WORD_1 src1_sel:DWORD
	v_mul_u32_u24_sdwa v72, v6, s19 dst_sel:DWORD dst_unused:UNUSED_PAD src0_sel:WORD_0 src1_sel:DWORD
	v_pk_mul_f16 v5, v70, v5
	v_mul_u32_u24_sdwa v6, v6, s19 dst_sel:DWORD dst_unused:UNUSED_PAD src0_sel:WORD_1 src1_sel:DWORD
	v_pk_fma_f16 v5, v48, v56, v5
	v_pk_mul_f16 v48, v70, v72
	v_pk_fma_f16 v47, v47, v55, v48
	v_pk_fma_f16 v6, v70, v6, v53
	v_mul_u32_u24_sdwa v48, v7, s19 dst_sel:DWORD dst_unused:UNUSED_PAD src0_sel:WORD_0 src1_sel:DWORD
	v_mul_u32_u24_sdwa v7, v7, s19 dst_sel:DWORD dst_unused:UNUSED_PAD src0_sel:WORD_1 src1_sel:DWORD
	v_mul_u32_u24_sdwa v53, v8, s19 dst_sel:DWORD dst_unused:UNUSED_PAD src0_sel:WORD_0 src1_sel:DWORD
	v_mul_u32_u24_sdwa v8, v8, s19 dst_sel:DWORD dst_unused:UNUSED_PAD src0_sel:WORD_1 src1_sel:DWORD
	v_pk_fma_f16 v7, v71, v7, v5
	v_pk_fma_f16 v8, v71, v8, v6
	ds_read2_b32 v[5:6], v28 offset0:64 offset1:96
	v_pk_mul_f16 v54, v70, v54
	v_pk_fma_f16 v49, v49, v57, v54
	v_pk_fma_f16 v48, v71, v48, v49
	;; [unrolled: 1-line block ×3, first 2 shown]
	s_waitcnt lgkmcnt(3)
	v_mul_u32_u24_sdwa v49, v58, s19 dst_sel:DWORD dst_unused:UNUSED_PAD src0_sel:WORD_0 src1_sel:DWORD
	v_mul_u32_u24_sdwa v53, v58, s19 dst_sel:DWORD dst_unused:UNUSED_PAD src0_sel:WORD_1 src1_sel:DWORD
	v_mul_u32_u24_sdwa v54, v59, s19 dst_sel:DWORD dst_unused:UNUSED_PAD src0_sel:WORD_0 src1_sel:DWORD
	v_mul_u32_u24_sdwa v55, v59, s19 dst_sel:DWORD dst_unused:UNUSED_PAD src0_sel:WORD_1 src1_sel:DWORD
	s_waitcnt lgkmcnt(0)
	v_pk_fma_f16 v48, v5, v49, v48
	v_pk_fma_f16 v7, v5, v53, v7
	;; [unrolled: 1-line block ×4, first 2 shown]
	v_mul_u32_u24_sdwa v8, v60, s19 dst_sel:DWORD dst_unused:UNUSED_PAD src0_sel:WORD_0 src1_sel:DWORD
	v_mul_u32_u24_sdwa v49, v60, s19 dst_sel:DWORD dst_unused:UNUSED_PAD src0_sel:WORD_1 src1_sel:DWORD
	v_mul_u32_u24_sdwa v53, v61, s19 dst_sel:DWORD dst_unused:UNUSED_PAD src0_sel:WORD_0 src1_sel:DWORD
	v_mul_u32_u24_sdwa v54, v61, s19 dst_sel:DWORD dst_unused:UNUSED_PAD src0_sel:WORD_1 src1_sel:DWORD
	v_pk_fma_f16 v8, v6, v8, v48
	v_pk_fma_f16 v7, v6, v49, v7
	;; [unrolled: 1-line block ×4, first 2 shown]
	ds_read2_b32 v[5:6], v28 offset0:128 offset1:160
	v_mul_u32_u24_sdwa v49, v62, s19 dst_sel:DWORD dst_unused:UNUSED_PAD src0_sel:WORD_0 src1_sel:DWORD
	v_mul_u32_u24_sdwa v53, v62, s19 dst_sel:DWORD dst_unused:UNUSED_PAD src0_sel:WORD_1 src1_sel:DWORD
	v_mul_u32_u24_sdwa v54, v63, s19 dst_sel:DWORD dst_unused:UNUSED_PAD src0_sel:WORD_0 src1_sel:DWORD
	v_mul_u32_u24_sdwa v55, v63, s19 dst_sel:DWORD dst_unused:UNUSED_PAD src0_sel:WORD_1 src1_sel:DWORD
	s_waitcnt lgkmcnt(0)
	v_pk_fma_f16 v8, v5, v49, v8
	v_pk_fma_f16 v7, v5, v53, v7
	;; [unrolled: 1-line block ×4, first 2 shown]
	v_mul_u32_u24_sdwa v48, v64, s19 dst_sel:DWORD dst_unused:UNUSED_PAD src0_sel:WORD_0 src1_sel:DWORD
	v_mul_u32_u24_sdwa v49, v64, s19 dst_sel:DWORD dst_unused:UNUSED_PAD src0_sel:WORD_1 src1_sel:DWORD
	v_mul_u32_u24_sdwa v53, v65, s19 dst_sel:DWORD dst_unused:UNUSED_PAD src0_sel:WORD_0 src1_sel:DWORD
	v_mul_u32_u24_sdwa v54, v65, s19 dst_sel:DWORD dst_unused:UNUSED_PAD src0_sel:WORD_1 src1_sel:DWORD
	v_pk_fma_f16 v8, v6, v48, v8
	v_pk_fma_f16 v7, v6, v49, v7
	;; [unrolled: 1-line block ×4, first 2 shown]
	ds_read2_b32 v[5:6], v28 offset0:192 offset1:224
	v_mul_u32_u24_sdwa v49, v66, s19 dst_sel:DWORD dst_unused:UNUSED_PAD src0_sel:WORD_0 src1_sel:DWORD
	v_mul_u32_u24_sdwa v53, v66, s19 dst_sel:DWORD dst_unused:UNUSED_PAD src0_sel:WORD_1 src1_sel:DWORD
	v_mul_u32_u24_sdwa v54, v67, s19 dst_sel:DWORD dst_unused:UNUSED_PAD src0_sel:WORD_0 src1_sel:DWORD
	v_mul_u32_u24_sdwa v55, v67, s19 dst_sel:DWORD dst_unused:UNUSED_PAD src0_sel:WORD_1 src1_sel:DWORD
	s_waitcnt lgkmcnt(0)
	v_pk_fma_f16 v8, v5, v49, v8
	v_pk_fma_f16 v7, v5, v53, v7
	;; [unrolled: 1-line block ×4, first 2 shown]
	v_mul_u32_u24_sdwa v48, v68, s19 dst_sel:DWORD dst_unused:UNUSED_PAD src0_sel:WORD_0 src1_sel:DWORD
	v_mul_u32_u24_sdwa v49, v68, s19 dst_sel:DWORD dst_unused:UNUSED_PAD src0_sel:WORD_1 src1_sel:DWORD
	v_mul_u32_u24_sdwa v53, v69, s19 dst_sel:DWORD dst_unused:UNUSED_PAD src0_sel:WORD_0 src1_sel:DWORD
	v_mul_u32_u24_sdwa v54, v69, s19 dst_sel:DWORD dst_unused:UNUSED_PAD src0_sel:WORD_1 src1_sel:DWORD
	v_pk_fma_f16 v55, v6, v48, v8
	v_pk_fma_f16 v49, v6, v49, v7
	;; [unrolled: 1-line block ×4, first 2 shown]
	ds_read2_b32 v[47:48], v40 offset1:32
	ds_read_b128 v[5:8], v33 offset:64
	s_waitcnt lgkmcnt(0)
	v_mul_u32_u24_sdwa v56, v5, s19 dst_sel:DWORD dst_unused:UNUSED_PAD src0_sel:WORD_0 src1_sel:DWORD
	v_mul_u32_u24_sdwa v5, v5, s19 dst_sel:DWORD dst_unused:UNUSED_PAD src0_sel:WORD_1 src1_sel:DWORD
	v_mul_u32_u24_sdwa v57, v6, s19 dst_sel:DWORD dst_unused:UNUSED_PAD src0_sel:WORD_0 src1_sel:DWORD
	v_mul_u32_u24_sdwa v6, v6, s19 dst_sel:DWORD dst_unused:UNUSED_PAD src0_sel:WORD_1 src1_sel:DWORD
	v_pk_fma_f16 v55, v47, v56, v55
	v_pk_fma_f16 v5, v47, v5, v49
	v_pk_fma_f16 v49, v47, v57, v53
	v_pk_fma_f16 v6, v47, v6, v54
	v_mul_u32_u24_sdwa v47, v7, s19 dst_sel:DWORD dst_unused:UNUSED_PAD src0_sel:WORD_0 src1_sel:DWORD
	v_mul_u32_u24_sdwa v7, v7, s19 dst_sel:DWORD dst_unused:UNUSED_PAD src0_sel:WORD_1 src1_sel:DWORD
	v_mul_u32_u24_sdwa v53, v8, s19 dst_sel:DWORD dst_unused:UNUSED_PAD src0_sel:WORD_0 src1_sel:DWORD
	v_mul_u32_u24_sdwa v8, v8, s19 dst_sel:DWORD dst_unused:UNUSED_PAD src0_sel:WORD_1 src1_sel:DWORD
	v_pk_fma_f16 v54, v48, v47, v55
	v_pk_fma_f16 v55, v48, v7, v5
	v_pk_fma_f16 v49, v48, v53, v49
	v_pk_fma_f16 v53, v48, v8, v6
	ds_read2_b32 v[47:48], v40 offset0:64 offset1:96
	ds_read_b128 v[5:8], v33 offset:80
	s_waitcnt lgkmcnt(0)
	v_mul_u32_u24_sdwa v56, v5, s19 dst_sel:DWORD dst_unused:UNUSED_PAD src0_sel:WORD_0 src1_sel:DWORD
	v_mul_u32_u24_sdwa v5, v5, s19 dst_sel:DWORD dst_unused:UNUSED_PAD src0_sel:WORD_1 src1_sel:DWORD
	v_mul_u32_u24_sdwa v57, v6, s19 dst_sel:DWORD dst_unused:UNUSED_PAD src0_sel:WORD_0 src1_sel:DWORD
	v_mul_u32_u24_sdwa v6, v6, s19 dst_sel:DWORD dst_unused:UNUSED_PAD src0_sel:WORD_1 src1_sel:DWORD
	v_pk_fma_f16 v54, v47, v56, v54
	v_pk_fma_f16 v5, v47, v5, v55
	v_pk_fma_f16 v49, v47, v57, v49
	v_pk_fma_f16 v6, v47, v6, v53
	v_mul_u32_u24_sdwa v47, v7, s19 dst_sel:DWORD dst_unused:UNUSED_PAD src0_sel:WORD_0 src1_sel:DWORD
	v_mul_u32_u24_sdwa v7, v7, s19 dst_sel:DWORD dst_unused:UNUSED_PAD src0_sel:WORD_1 src1_sel:DWORD
	v_mul_u32_u24_sdwa v53, v8, s19 dst_sel:DWORD dst_unused:UNUSED_PAD src0_sel:WORD_0 src1_sel:DWORD
	v_mul_u32_u24_sdwa v8, v8, s19 dst_sel:DWORD dst_unused:UNUSED_PAD src0_sel:WORD_1 src1_sel:DWORD
	v_pk_fma_f16 v54, v48, v47, v54
	v_pk_fma_f16 v55, v48, v7, v5
	v_pk_fma_f16 v49, v48, v53, v49
	v_pk_fma_f16 v53, v48, v8, v6
	ds_read2_b32 v[47:48], v40 offset0:128 offset1:160
	;; [unrolled: 19-line block ×3, first 2 shown]
	ds_read_b128 v[5:8], v33 offset:112
	s_waitcnt lgkmcnt(0)
	v_mul_u32_u24_sdwa v56, v5, s19 dst_sel:DWORD dst_unused:UNUSED_PAD src0_sel:WORD_0 src1_sel:DWORD
	v_mul_u32_u24_sdwa v5, v5, s19 dst_sel:DWORD dst_unused:UNUSED_PAD src0_sel:WORD_1 src1_sel:DWORD
	v_mul_u32_u24_sdwa v57, v6, s19 dst_sel:DWORD dst_unused:UNUSED_PAD src0_sel:WORD_0 src1_sel:DWORD
	v_mul_u32_u24_sdwa v6, v6, s19 dst_sel:DWORD dst_unused:UNUSED_PAD src0_sel:WORD_1 src1_sel:DWORD
	v_pk_fma_f16 v54, v47, v56, v54
	v_pk_fma_f16 v5, v47, v5, v55
	;; [unrolled: 1-line block ×4, first 2 shown]
	v_mul_u32_u24_sdwa v47, v7, s19 dst_sel:DWORD dst_unused:UNUSED_PAD src0_sel:WORD_0 src1_sel:DWORD
	v_mul_u32_u24_sdwa v7, v7, s19 dst_sel:DWORD dst_unused:UNUSED_PAD src0_sel:WORD_1 src1_sel:DWORD
	v_mul_u32_u24_sdwa v53, v8, s19 dst_sel:DWORD dst_unused:UNUSED_PAD src0_sel:WORD_0 src1_sel:DWORD
	v_mul_u32_u24_sdwa v8, v8, s19 dst_sel:DWORD dst_unused:UNUSED_PAD src0_sel:WORD_1 src1_sel:DWORD
	v_pk_fma_f16 v54, v48, v47, v54
	v_pk_fma_f16 v55, v48, v7, v5
	;; [unrolled: 1-line block ×4, first 2 shown]
	ds_read2_b32 v[47:48], v41 offset1:32
	ds_read_b128 v[5:8], v33 offset:128
	s_waitcnt lgkmcnt(0)
	v_mul_u32_u24_sdwa v56, v5, s19 dst_sel:DWORD dst_unused:UNUSED_PAD src0_sel:WORD_0 src1_sel:DWORD
	v_mul_u32_u24_sdwa v5, v5, s19 dst_sel:DWORD dst_unused:UNUSED_PAD src0_sel:WORD_1 src1_sel:DWORD
	v_mul_u32_u24_sdwa v57, v6, s19 dst_sel:DWORD dst_unused:UNUSED_PAD src0_sel:WORD_0 src1_sel:DWORD
	v_mul_u32_u24_sdwa v6, v6, s19 dst_sel:DWORD dst_unused:UNUSED_PAD src0_sel:WORD_1 src1_sel:DWORD
	v_pk_fma_f16 v54, v47, v56, v54
	v_pk_fma_f16 v5, v47, v5, v55
	v_pk_fma_f16 v49, v47, v57, v49
	v_pk_fma_f16 v6, v47, v6, v53
	v_mul_u32_u24_sdwa v47, v7, s19 dst_sel:DWORD dst_unused:UNUSED_PAD src0_sel:WORD_0 src1_sel:DWORD
	v_mul_u32_u24_sdwa v7, v7, s19 dst_sel:DWORD dst_unused:UNUSED_PAD src0_sel:WORD_1 src1_sel:DWORD
	v_mul_u32_u24_sdwa v53, v8, s19 dst_sel:DWORD dst_unused:UNUSED_PAD src0_sel:WORD_0 src1_sel:DWORD
	v_mul_u32_u24_sdwa v8, v8, s19 dst_sel:DWORD dst_unused:UNUSED_PAD src0_sel:WORD_1 src1_sel:DWORD
	v_pk_fma_f16 v54, v48, v47, v54
	v_pk_fma_f16 v55, v48, v7, v5
	v_pk_fma_f16 v49, v48, v53, v49
	v_pk_fma_f16 v53, v48, v8, v6
	ds_read2_b32 v[47:48], v41 offset0:64 offset1:96
	ds_read_b128 v[5:8], v33 offset:144
	s_waitcnt lgkmcnt(0)
	v_mul_u32_u24_sdwa v56, v5, s19 dst_sel:DWORD dst_unused:UNUSED_PAD src0_sel:WORD_0 src1_sel:DWORD
	v_mul_u32_u24_sdwa v5, v5, s19 dst_sel:DWORD dst_unused:UNUSED_PAD src0_sel:WORD_1 src1_sel:DWORD
	v_mul_u32_u24_sdwa v57, v6, s19 dst_sel:DWORD dst_unused:UNUSED_PAD src0_sel:WORD_0 src1_sel:DWORD
	v_mul_u32_u24_sdwa v6, v6, s19 dst_sel:DWORD dst_unused:UNUSED_PAD src0_sel:WORD_1 src1_sel:DWORD
	v_pk_fma_f16 v54, v47, v56, v54
	v_pk_fma_f16 v5, v47, v5, v55
	v_pk_fma_f16 v49, v47, v57, v49
	v_pk_fma_f16 v6, v47, v6, v53
	v_mul_u32_u24_sdwa v47, v7, s19 dst_sel:DWORD dst_unused:UNUSED_PAD src0_sel:WORD_0 src1_sel:DWORD
	v_mul_u32_u24_sdwa v7, v7, s19 dst_sel:DWORD dst_unused:UNUSED_PAD src0_sel:WORD_1 src1_sel:DWORD
	v_mul_u32_u24_sdwa v53, v8, s19 dst_sel:DWORD dst_unused:UNUSED_PAD src0_sel:WORD_0 src1_sel:DWORD
	v_mul_u32_u24_sdwa v8, v8, s19 dst_sel:DWORD dst_unused:UNUSED_PAD src0_sel:WORD_1 src1_sel:DWORD
	v_pk_fma_f16 v54, v48, v47, v54
	v_pk_fma_f16 v55, v48, v7, v5
	v_pk_fma_f16 v49, v48, v53, v49
	v_pk_fma_f16 v53, v48, v8, v6
	ds_read2_b32 v[47:48], v41 offset0:128 offset1:160
	;; [unrolled: 19-line block ×3, first 2 shown]
	ds_read_b128 v[5:8], v33 offset:176
	s_waitcnt lgkmcnt(0)
	v_mul_u32_u24_sdwa v56, v5, s19 dst_sel:DWORD dst_unused:UNUSED_PAD src0_sel:WORD_0 src1_sel:DWORD
	v_mul_u32_u24_sdwa v5, v5, s19 dst_sel:DWORD dst_unused:UNUSED_PAD src0_sel:WORD_1 src1_sel:DWORD
	v_mul_u32_u24_sdwa v57, v6, s19 dst_sel:DWORD dst_unused:UNUSED_PAD src0_sel:WORD_0 src1_sel:DWORD
	v_mul_u32_u24_sdwa v6, v6, s19 dst_sel:DWORD dst_unused:UNUSED_PAD src0_sel:WORD_1 src1_sel:DWORD
	v_pk_fma_f16 v54, v47, v56, v54
	v_pk_fma_f16 v5, v47, v5, v55
	;; [unrolled: 1-line block ×4, first 2 shown]
	v_mul_u32_u24_sdwa v47, v7, s19 dst_sel:DWORD dst_unused:UNUSED_PAD src0_sel:WORD_0 src1_sel:DWORD
	v_mul_u32_u24_sdwa v7, v7, s19 dst_sel:DWORD dst_unused:UNUSED_PAD src0_sel:WORD_1 src1_sel:DWORD
	v_mul_u32_u24_sdwa v53, v8, s19 dst_sel:DWORD dst_unused:UNUSED_PAD src0_sel:WORD_0 src1_sel:DWORD
	v_mul_u32_u24_sdwa v8, v8, s19 dst_sel:DWORD dst_unused:UNUSED_PAD src0_sel:WORD_1 src1_sel:DWORD
	v_pk_fma_f16 v54, v48, v47, v54
	v_pk_fma_f16 v55, v48, v7, v5
	;; [unrolled: 1-line block ×4, first 2 shown]
	ds_read2_b32 v[47:48], v42 offset1:32
	ds_read_b128 v[5:8], v33 offset:192
	s_waitcnt lgkmcnt(0)
	v_mul_u32_u24_sdwa v56, v5, s19 dst_sel:DWORD dst_unused:UNUSED_PAD src0_sel:WORD_0 src1_sel:DWORD
	v_mul_u32_u24_sdwa v5, v5, s19 dst_sel:DWORD dst_unused:UNUSED_PAD src0_sel:WORD_1 src1_sel:DWORD
	v_mul_u32_u24_sdwa v57, v6, s19 dst_sel:DWORD dst_unused:UNUSED_PAD src0_sel:WORD_0 src1_sel:DWORD
	v_mul_u32_u24_sdwa v6, v6, s19 dst_sel:DWORD dst_unused:UNUSED_PAD src0_sel:WORD_1 src1_sel:DWORD
	v_pk_fma_f16 v54, v47, v56, v54
	v_pk_fma_f16 v5, v47, v5, v55
	v_pk_fma_f16 v49, v47, v57, v49
	v_pk_fma_f16 v6, v47, v6, v53
	v_mul_u32_u24_sdwa v47, v7, s19 dst_sel:DWORD dst_unused:UNUSED_PAD src0_sel:WORD_0 src1_sel:DWORD
	v_mul_u32_u24_sdwa v7, v7, s19 dst_sel:DWORD dst_unused:UNUSED_PAD src0_sel:WORD_1 src1_sel:DWORD
	v_mul_u32_u24_sdwa v53, v8, s19 dst_sel:DWORD dst_unused:UNUSED_PAD src0_sel:WORD_0 src1_sel:DWORD
	v_mul_u32_u24_sdwa v8, v8, s19 dst_sel:DWORD dst_unused:UNUSED_PAD src0_sel:WORD_1 src1_sel:DWORD
	v_pk_fma_f16 v54, v48, v47, v54
	v_pk_fma_f16 v55, v48, v7, v5
	v_pk_fma_f16 v49, v48, v53, v49
	v_pk_fma_f16 v53, v48, v8, v6
	ds_read2_b32 v[47:48], v42 offset0:64 offset1:96
	ds_read_b128 v[5:8], v33 offset:208
	s_waitcnt lgkmcnt(0)
	v_mul_u32_u24_sdwa v56, v5, s19 dst_sel:DWORD dst_unused:UNUSED_PAD src0_sel:WORD_0 src1_sel:DWORD
	v_mul_u32_u24_sdwa v5, v5, s19 dst_sel:DWORD dst_unused:UNUSED_PAD src0_sel:WORD_1 src1_sel:DWORD
	v_mul_u32_u24_sdwa v57, v6, s19 dst_sel:DWORD dst_unused:UNUSED_PAD src0_sel:WORD_0 src1_sel:DWORD
	v_mul_u32_u24_sdwa v6, v6, s19 dst_sel:DWORD dst_unused:UNUSED_PAD src0_sel:WORD_1 src1_sel:DWORD
	v_pk_fma_f16 v54, v47, v56, v54
	v_pk_fma_f16 v5, v47, v5, v55
	v_pk_fma_f16 v49, v47, v57, v49
	v_pk_fma_f16 v6, v47, v6, v53
	v_mul_u32_u24_sdwa v47, v7, s19 dst_sel:DWORD dst_unused:UNUSED_PAD src0_sel:WORD_0 src1_sel:DWORD
	v_mul_u32_u24_sdwa v7, v7, s19 dst_sel:DWORD dst_unused:UNUSED_PAD src0_sel:WORD_1 src1_sel:DWORD
	v_mul_u32_u24_sdwa v53, v8, s19 dst_sel:DWORD dst_unused:UNUSED_PAD src0_sel:WORD_0 src1_sel:DWORD
	v_mul_u32_u24_sdwa v8, v8, s19 dst_sel:DWORD dst_unused:UNUSED_PAD src0_sel:WORD_1 src1_sel:DWORD
	v_pk_fma_f16 v54, v48, v47, v54
	v_pk_fma_f16 v55, v48, v7, v5
	v_pk_fma_f16 v49, v48, v53, v49
	v_pk_fma_f16 v53, v48, v8, v6
	ds_read2_b32 v[47:48], v42 offset0:128 offset1:160
	;; [unrolled: 19-line block ×3, first 2 shown]
	ds_read_b128 v[5:8], v33 offset:240
	s_waitcnt lgkmcnt(0)
	v_mul_u32_u24_sdwa v56, v5, s19 dst_sel:DWORD dst_unused:UNUSED_PAD src0_sel:WORD_0 src1_sel:DWORD
	v_mul_u32_u24_sdwa v5, v5, s19 dst_sel:DWORD dst_unused:UNUSED_PAD src0_sel:WORD_1 src1_sel:DWORD
	v_mul_u32_u24_sdwa v57, v6, s19 dst_sel:DWORD dst_unused:UNUSED_PAD src0_sel:WORD_0 src1_sel:DWORD
	v_mul_u32_u24_sdwa v6, v6, s19 dst_sel:DWORD dst_unused:UNUSED_PAD src0_sel:WORD_1 src1_sel:DWORD
	v_pk_fma_f16 v54, v47, v56, v54
	v_pk_fma_f16 v5, v47, v5, v55
	;; [unrolled: 1-line block ×4, first 2 shown]
	v_mul_u32_u24_sdwa v47, v7, s19 dst_sel:DWORD dst_unused:UNUSED_PAD src0_sel:WORD_0 src1_sel:DWORD
	v_mul_u32_u24_sdwa v7, v7, s19 dst_sel:DWORD dst_unused:UNUSED_PAD src0_sel:WORD_1 src1_sel:DWORD
	v_mul_u32_u24_sdwa v53, v8, s19 dst_sel:DWORD dst_unused:UNUSED_PAD src0_sel:WORD_0 src1_sel:DWORD
	v_mul_u32_u24_sdwa v8, v8, s19 dst_sel:DWORD dst_unused:UNUSED_PAD src0_sel:WORD_1 src1_sel:DWORD
	v_pk_fma_f16 v54, v48, v47, v54
	v_pk_fma_f16 v55, v48, v7, v5
	;; [unrolled: 1-line block ×4, first 2 shown]
	ds_read2_b32 v[47:48], v43 offset1:32
	ds_read_b128 v[5:8], v33 offset:256
	s_waitcnt lgkmcnt(0)
	v_mul_u32_u24_sdwa v56, v5, s19 dst_sel:DWORD dst_unused:UNUSED_PAD src0_sel:WORD_0 src1_sel:DWORD
	v_mul_u32_u24_sdwa v5, v5, s19 dst_sel:DWORD dst_unused:UNUSED_PAD src0_sel:WORD_1 src1_sel:DWORD
	v_mul_u32_u24_sdwa v57, v6, s19 dst_sel:DWORD dst_unused:UNUSED_PAD src0_sel:WORD_0 src1_sel:DWORD
	v_mul_u32_u24_sdwa v6, v6, s19 dst_sel:DWORD dst_unused:UNUSED_PAD src0_sel:WORD_1 src1_sel:DWORD
	v_pk_fma_f16 v54, v47, v56, v54
	v_pk_fma_f16 v5, v47, v5, v55
	v_pk_fma_f16 v49, v47, v57, v49
	v_pk_fma_f16 v6, v47, v6, v53
	v_mul_u32_u24_sdwa v47, v7, s19 dst_sel:DWORD dst_unused:UNUSED_PAD src0_sel:WORD_0 src1_sel:DWORD
	v_mul_u32_u24_sdwa v7, v7, s19 dst_sel:DWORD dst_unused:UNUSED_PAD src0_sel:WORD_1 src1_sel:DWORD
	v_mul_u32_u24_sdwa v53, v8, s19 dst_sel:DWORD dst_unused:UNUSED_PAD src0_sel:WORD_0 src1_sel:DWORD
	v_mul_u32_u24_sdwa v8, v8, s19 dst_sel:DWORD dst_unused:UNUSED_PAD src0_sel:WORD_1 src1_sel:DWORD
	v_pk_fma_f16 v54, v48, v47, v54
	v_pk_fma_f16 v55, v48, v7, v5
	v_pk_fma_f16 v49, v48, v53, v49
	v_pk_fma_f16 v53, v48, v8, v6
	ds_read2_b32 v[47:48], v43 offset0:64 offset1:96
	ds_read_b128 v[5:8], v33 offset:272
	s_waitcnt lgkmcnt(0)
	v_mul_u32_u24_sdwa v56, v5, s19 dst_sel:DWORD dst_unused:UNUSED_PAD src0_sel:WORD_0 src1_sel:DWORD
	v_mul_u32_u24_sdwa v5, v5, s19 dst_sel:DWORD dst_unused:UNUSED_PAD src0_sel:WORD_1 src1_sel:DWORD
	v_mul_u32_u24_sdwa v57, v6, s19 dst_sel:DWORD dst_unused:UNUSED_PAD src0_sel:WORD_0 src1_sel:DWORD
	v_mul_u32_u24_sdwa v6, v6, s19 dst_sel:DWORD dst_unused:UNUSED_PAD src0_sel:WORD_1 src1_sel:DWORD
	v_pk_fma_f16 v54, v47, v56, v54
	v_pk_fma_f16 v5, v47, v5, v55
	v_pk_fma_f16 v49, v47, v57, v49
	v_pk_fma_f16 v6, v47, v6, v53
	v_mul_u32_u24_sdwa v47, v7, s19 dst_sel:DWORD dst_unused:UNUSED_PAD src0_sel:WORD_0 src1_sel:DWORD
	v_mul_u32_u24_sdwa v7, v7, s19 dst_sel:DWORD dst_unused:UNUSED_PAD src0_sel:WORD_1 src1_sel:DWORD
	v_mul_u32_u24_sdwa v53, v8, s19 dst_sel:DWORD dst_unused:UNUSED_PAD src0_sel:WORD_0 src1_sel:DWORD
	v_mul_u32_u24_sdwa v8, v8, s19 dst_sel:DWORD dst_unused:UNUSED_PAD src0_sel:WORD_1 src1_sel:DWORD
	v_pk_fma_f16 v54, v48, v47, v54
	v_pk_fma_f16 v55, v48, v7, v5
	v_pk_fma_f16 v49, v48, v53, v49
	v_pk_fma_f16 v53, v48, v8, v6
	ds_read2_b32 v[47:48], v43 offset0:128 offset1:160
	;; [unrolled: 19-line block ×3, first 2 shown]
	ds_read_b128 v[5:8], v33 offset:304
	s_waitcnt lgkmcnt(0)
	v_mul_u32_u24_sdwa v56, v5, s19 dst_sel:DWORD dst_unused:UNUSED_PAD src0_sel:WORD_0 src1_sel:DWORD
	v_mul_u32_u24_sdwa v5, v5, s19 dst_sel:DWORD dst_unused:UNUSED_PAD src0_sel:WORD_1 src1_sel:DWORD
	v_mul_u32_u24_sdwa v57, v6, s19 dst_sel:DWORD dst_unused:UNUSED_PAD src0_sel:WORD_0 src1_sel:DWORD
	v_mul_u32_u24_sdwa v6, v6, s19 dst_sel:DWORD dst_unused:UNUSED_PAD src0_sel:WORD_1 src1_sel:DWORD
	v_pk_fma_f16 v54, v47, v56, v54
	v_pk_fma_f16 v5, v47, v5, v55
	;; [unrolled: 1-line block ×4, first 2 shown]
	v_mul_u32_u24_sdwa v47, v7, s19 dst_sel:DWORD dst_unused:UNUSED_PAD src0_sel:WORD_0 src1_sel:DWORD
	v_mul_u32_u24_sdwa v7, v7, s19 dst_sel:DWORD dst_unused:UNUSED_PAD src0_sel:WORD_1 src1_sel:DWORD
	v_mul_u32_u24_sdwa v53, v8, s19 dst_sel:DWORD dst_unused:UNUSED_PAD src0_sel:WORD_0 src1_sel:DWORD
	v_mul_u32_u24_sdwa v8, v8, s19 dst_sel:DWORD dst_unused:UNUSED_PAD src0_sel:WORD_1 src1_sel:DWORD
	v_pk_fma_f16 v54, v48, v47, v54
	v_pk_fma_f16 v55, v48, v7, v5
	;; [unrolled: 1-line block ×4, first 2 shown]
	ds_read2_b32 v[47:48], v44 offset1:32
	ds_read_b128 v[5:8], v33 offset:320
	s_waitcnt lgkmcnt(0)
	v_mul_u32_u24_sdwa v56, v5, s19 dst_sel:DWORD dst_unused:UNUSED_PAD src0_sel:WORD_0 src1_sel:DWORD
	v_mul_u32_u24_sdwa v5, v5, s19 dst_sel:DWORD dst_unused:UNUSED_PAD src0_sel:WORD_1 src1_sel:DWORD
	v_mul_u32_u24_sdwa v57, v6, s19 dst_sel:DWORD dst_unused:UNUSED_PAD src0_sel:WORD_0 src1_sel:DWORD
	v_mul_u32_u24_sdwa v6, v6, s19 dst_sel:DWORD dst_unused:UNUSED_PAD src0_sel:WORD_1 src1_sel:DWORD
	v_pk_fma_f16 v54, v47, v56, v54
	v_pk_fma_f16 v5, v47, v5, v55
	v_pk_fma_f16 v49, v47, v57, v49
	v_pk_fma_f16 v6, v47, v6, v53
	v_mul_u32_u24_sdwa v47, v7, s19 dst_sel:DWORD dst_unused:UNUSED_PAD src0_sel:WORD_0 src1_sel:DWORD
	v_mul_u32_u24_sdwa v7, v7, s19 dst_sel:DWORD dst_unused:UNUSED_PAD src0_sel:WORD_1 src1_sel:DWORD
	v_mul_u32_u24_sdwa v53, v8, s19 dst_sel:DWORD dst_unused:UNUSED_PAD src0_sel:WORD_0 src1_sel:DWORD
	v_mul_u32_u24_sdwa v8, v8, s19 dst_sel:DWORD dst_unused:UNUSED_PAD src0_sel:WORD_1 src1_sel:DWORD
	v_pk_fma_f16 v54, v48, v47, v54
	v_pk_fma_f16 v55, v48, v7, v5
	v_pk_fma_f16 v49, v48, v53, v49
	v_pk_fma_f16 v53, v48, v8, v6
	ds_read2_b32 v[47:48], v44 offset0:64 offset1:96
	ds_read_b128 v[5:8], v33 offset:336
	s_waitcnt lgkmcnt(0)
	v_mul_u32_u24_sdwa v56, v5, s19 dst_sel:DWORD dst_unused:UNUSED_PAD src0_sel:WORD_0 src1_sel:DWORD
	v_mul_u32_u24_sdwa v5, v5, s19 dst_sel:DWORD dst_unused:UNUSED_PAD src0_sel:WORD_1 src1_sel:DWORD
	v_mul_u32_u24_sdwa v57, v6, s19 dst_sel:DWORD dst_unused:UNUSED_PAD src0_sel:WORD_0 src1_sel:DWORD
	v_mul_u32_u24_sdwa v6, v6, s19 dst_sel:DWORD dst_unused:UNUSED_PAD src0_sel:WORD_1 src1_sel:DWORD
	v_pk_fma_f16 v54, v47, v56, v54
	v_pk_fma_f16 v5, v47, v5, v55
	v_pk_fma_f16 v49, v47, v57, v49
	v_pk_fma_f16 v6, v47, v6, v53
	v_mul_u32_u24_sdwa v47, v7, s19 dst_sel:DWORD dst_unused:UNUSED_PAD src0_sel:WORD_0 src1_sel:DWORD
	v_mul_u32_u24_sdwa v7, v7, s19 dst_sel:DWORD dst_unused:UNUSED_PAD src0_sel:WORD_1 src1_sel:DWORD
	v_mul_u32_u24_sdwa v53, v8, s19 dst_sel:DWORD dst_unused:UNUSED_PAD src0_sel:WORD_0 src1_sel:DWORD
	v_mul_u32_u24_sdwa v8, v8, s19 dst_sel:DWORD dst_unused:UNUSED_PAD src0_sel:WORD_1 src1_sel:DWORD
	v_pk_fma_f16 v54, v48, v47, v54
	v_pk_fma_f16 v55, v48, v7, v5
	v_pk_fma_f16 v49, v48, v53, v49
	v_pk_fma_f16 v53, v48, v8, v6
	ds_read2_b32 v[47:48], v44 offset0:128 offset1:160
	;; [unrolled: 19-line block ×3, first 2 shown]
	ds_read_b128 v[5:8], v33 offset:368
	s_waitcnt lgkmcnt(0)
	v_mul_u32_u24_sdwa v56, v5, s19 dst_sel:DWORD dst_unused:UNUSED_PAD src0_sel:WORD_0 src1_sel:DWORD
	v_mul_u32_u24_sdwa v5, v5, s19 dst_sel:DWORD dst_unused:UNUSED_PAD src0_sel:WORD_1 src1_sel:DWORD
	v_mul_u32_u24_sdwa v57, v6, s19 dst_sel:DWORD dst_unused:UNUSED_PAD src0_sel:WORD_0 src1_sel:DWORD
	v_mul_u32_u24_sdwa v6, v6, s19 dst_sel:DWORD dst_unused:UNUSED_PAD src0_sel:WORD_1 src1_sel:DWORD
	v_pk_fma_f16 v54, v47, v56, v54
	v_pk_fma_f16 v5, v47, v5, v55
	;; [unrolled: 1-line block ×4, first 2 shown]
	v_mul_u32_u24_sdwa v47, v7, s19 dst_sel:DWORD dst_unused:UNUSED_PAD src0_sel:WORD_0 src1_sel:DWORD
	v_mul_u32_u24_sdwa v7, v7, s19 dst_sel:DWORD dst_unused:UNUSED_PAD src0_sel:WORD_1 src1_sel:DWORD
	v_mul_u32_u24_sdwa v53, v8, s19 dst_sel:DWORD dst_unused:UNUSED_PAD src0_sel:WORD_0 src1_sel:DWORD
	v_mul_u32_u24_sdwa v8, v8, s19 dst_sel:DWORD dst_unused:UNUSED_PAD src0_sel:WORD_1 src1_sel:DWORD
	v_pk_fma_f16 v54, v48, v47, v54
	v_pk_fma_f16 v55, v48, v7, v5
	;; [unrolled: 1-line block ×4, first 2 shown]
	ds_read2_b32 v[47:48], v45 offset1:32
	ds_read_b128 v[5:8], v33 offset:384
	s_waitcnt lgkmcnt(0)
	v_mul_u32_u24_sdwa v56, v5, s19 dst_sel:DWORD dst_unused:UNUSED_PAD src0_sel:WORD_0 src1_sel:DWORD
	v_mul_u32_u24_sdwa v5, v5, s19 dst_sel:DWORD dst_unused:UNUSED_PAD src0_sel:WORD_1 src1_sel:DWORD
	v_mul_u32_u24_sdwa v57, v6, s19 dst_sel:DWORD dst_unused:UNUSED_PAD src0_sel:WORD_0 src1_sel:DWORD
	v_mul_u32_u24_sdwa v6, v6, s19 dst_sel:DWORD dst_unused:UNUSED_PAD src0_sel:WORD_1 src1_sel:DWORD
	v_pk_fma_f16 v54, v47, v56, v54
	v_pk_fma_f16 v5, v47, v5, v55
	v_pk_fma_f16 v49, v47, v57, v49
	v_pk_fma_f16 v6, v47, v6, v53
	v_mul_u32_u24_sdwa v47, v7, s19 dst_sel:DWORD dst_unused:UNUSED_PAD src0_sel:WORD_0 src1_sel:DWORD
	v_mul_u32_u24_sdwa v7, v7, s19 dst_sel:DWORD dst_unused:UNUSED_PAD src0_sel:WORD_1 src1_sel:DWORD
	v_mul_u32_u24_sdwa v53, v8, s19 dst_sel:DWORD dst_unused:UNUSED_PAD src0_sel:WORD_0 src1_sel:DWORD
	v_mul_u32_u24_sdwa v8, v8, s19 dst_sel:DWORD dst_unused:UNUSED_PAD src0_sel:WORD_1 src1_sel:DWORD
	v_pk_fma_f16 v54, v48, v47, v54
	v_pk_fma_f16 v55, v48, v7, v5
	v_pk_fma_f16 v49, v48, v53, v49
	v_pk_fma_f16 v53, v48, v8, v6
	ds_read2_b32 v[47:48], v45 offset0:64 offset1:96
	ds_read_b128 v[5:8], v33 offset:400
	s_waitcnt lgkmcnt(0)
	v_mul_u32_u24_sdwa v56, v5, s19 dst_sel:DWORD dst_unused:UNUSED_PAD src0_sel:WORD_0 src1_sel:DWORD
	v_mul_u32_u24_sdwa v5, v5, s19 dst_sel:DWORD dst_unused:UNUSED_PAD src0_sel:WORD_1 src1_sel:DWORD
	v_mul_u32_u24_sdwa v57, v6, s19 dst_sel:DWORD dst_unused:UNUSED_PAD src0_sel:WORD_0 src1_sel:DWORD
	v_mul_u32_u24_sdwa v6, v6, s19 dst_sel:DWORD dst_unused:UNUSED_PAD src0_sel:WORD_1 src1_sel:DWORD
	v_pk_fma_f16 v54, v47, v56, v54
	v_pk_fma_f16 v5, v47, v5, v55
	v_pk_fma_f16 v49, v47, v57, v49
	v_pk_fma_f16 v6, v47, v6, v53
	v_mul_u32_u24_sdwa v47, v7, s19 dst_sel:DWORD dst_unused:UNUSED_PAD src0_sel:WORD_0 src1_sel:DWORD
	v_mul_u32_u24_sdwa v7, v7, s19 dst_sel:DWORD dst_unused:UNUSED_PAD src0_sel:WORD_1 src1_sel:DWORD
	v_mul_u32_u24_sdwa v53, v8, s19 dst_sel:DWORD dst_unused:UNUSED_PAD src0_sel:WORD_0 src1_sel:DWORD
	v_mul_u32_u24_sdwa v8, v8, s19 dst_sel:DWORD dst_unused:UNUSED_PAD src0_sel:WORD_1 src1_sel:DWORD
	v_pk_fma_f16 v54, v48, v47, v54
	v_pk_fma_f16 v55, v48, v7, v5
	v_pk_fma_f16 v49, v48, v53, v49
	v_pk_fma_f16 v53, v48, v8, v6
	ds_read2_b32 v[47:48], v45 offset0:128 offset1:160
	;; [unrolled: 19-line block ×3, first 2 shown]
	ds_read_b128 v[5:8], v33 offset:432
	s_waitcnt lgkmcnt(0)
	v_mul_u32_u24_sdwa v56, v5, s19 dst_sel:DWORD dst_unused:UNUSED_PAD src0_sel:WORD_0 src1_sel:DWORD
	v_mul_u32_u24_sdwa v5, v5, s19 dst_sel:DWORD dst_unused:UNUSED_PAD src0_sel:WORD_1 src1_sel:DWORD
	v_mul_u32_u24_sdwa v57, v6, s19 dst_sel:DWORD dst_unused:UNUSED_PAD src0_sel:WORD_0 src1_sel:DWORD
	v_mul_u32_u24_sdwa v6, v6, s19 dst_sel:DWORD dst_unused:UNUSED_PAD src0_sel:WORD_1 src1_sel:DWORD
	v_pk_fma_f16 v54, v47, v56, v54
	v_pk_fma_f16 v5, v47, v5, v55
	;; [unrolled: 1-line block ×4, first 2 shown]
	v_mul_u32_u24_sdwa v47, v7, s19 dst_sel:DWORD dst_unused:UNUSED_PAD src0_sel:WORD_0 src1_sel:DWORD
	v_mul_u32_u24_sdwa v7, v7, s19 dst_sel:DWORD dst_unused:UNUSED_PAD src0_sel:WORD_1 src1_sel:DWORD
	v_mul_u32_u24_sdwa v53, v8, s19 dst_sel:DWORD dst_unused:UNUSED_PAD src0_sel:WORD_0 src1_sel:DWORD
	v_mul_u32_u24_sdwa v8, v8, s19 dst_sel:DWORD dst_unused:UNUSED_PAD src0_sel:WORD_1 src1_sel:DWORD
	v_pk_fma_f16 v54, v48, v47, v54
	v_pk_fma_f16 v55, v48, v7, v5
	;; [unrolled: 1-line block ×4, first 2 shown]
	ds_read2_b32 v[47:48], v46 offset1:32
	ds_read_b128 v[5:8], v33 offset:448
	s_waitcnt lgkmcnt(0)
	v_mul_u32_u24_sdwa v56, v5, s19 dst_sel:DWORD dst_unused:UNUSED_PAD src0_sel:WORD_0 src1_sel:DWORD
	v_mul_u32_u24_sdwa v5, v5, s19 dst_sel:DWORD dst_unused:UNUSED_PAD src0_sel:WORD_1 src1_sel:DWORD
	v_mul_u32_u24_sdwa v57, v6, s19 dst_sel:DWORD dst_unused:UNUSED_PAD src0_sel:WORD_0 src1_sel:DWORD
	v_mul_u32_u24_sdwa v6, v6, s19 dst_sel:DWORD dst_unused:UNUSED_PAD src0_sel:WORD_1 src1_sel:DWORD
	v_pk_fma_f16 v54, v47, v56, v54
	v_pk_fma_f16 v5, v47, v5, v55
	v_pk_fma_f16 v49, v47, v57, v49
	v_pk_fma_f16 v6, v47, v6, v53
	v_mul_u32_u24_sdwa v47, v7, s19 dst_sel:DWORD dst_unused:UNUSED_PAD src0_sel:WORD_0 src1_sel:DWORD
	v_mul_u32_u24_sdwa v7, v7, s19 dst_sel:DWORD dst_unused:UNUSED_PAD src0_sel:WORD_1 src1_sel:DWORD
	v_mul_u32_u24_sdwa v53, v8, s19 dst_sel:DWORD dst_unused:UNUSED_PAD src0_sel:WORD_0 src1_sel:DWORD
	v_mul_u32_u24_sdwa v8, v8, s19 dst_sel:DWORD dst_unused:UNUSED_PAD src0_sel:WORD_1 src1_sel:DWORD
	v_pk_fma_f16 v54, v48, v47, v54
	v_pk_fma_f16 v55, v48, v7, v5
	v_pk_fma_f16 v49, v48, v53, v49
	v_pk_fma_f16 v53, v48, v8, v6
	ds_read2_b32 v[47:48], v46 offset0:64 offset1:96
	ds_read_b128 v[5:8], v33 offset:464
	s_waitcnt lgkmcnt(0)
	v_mul_u32_u24_sdwa v56, v5, s19 dst_sel:DWORD dst_unused:UNUSED_PAD src0_sel:WORD_0 src1_sel:DWORD
	v_mul_u32_u24_sdwa v5, v5, s19 dst_sel:DWORD dst_unused:UNUSED_PAD src0_sel:WORD_1 src1_sel:DWORD
	v_mul_u32_u24_sdwa v57, v6, s19 dst_sel:DWORD dst_unused:UNUSED_PAD src0_sel:WORD_0 src1_sel:DWORD
	v_mul_u32_u24_sdwa v6, v6, s19 dst_sel:DWORD dst_unused:UNUSED_PAD src0_sel:WORD_1 src1_sel:DWORD
	v_pk_fma_f16 v54, v47, v56, v54
	v_pk_fma_f16 v5, v47, v5, v55
	v_pk_fma_f16 v49, v47, v57, v49
	v_pk_fma_f16 v6, v47, v6, v53
	v_mul_u32_u24_sdwa v47, v7, s19 dst_sel:DWORD dst_unused:UNUSED_PAD src0_sel:WORD_0 src1_sel:DWORD
	v_mul_u32_u24_sdwa v7, v7, s19 dst_sel:DWORD dst_unused:UNUSED_PAD src0_sel:WORD_1 src1_sel:DWORD
	v_mul_u32_u24_sdwa v53, v8, s19 dst_sel:DWORD dst_unused:UNUSED_PAD src0_sel:WORD_0 src1_sel:DWORD
	v_mul_u32_u24_sdwa v8, v8, s19 dst_sel:DWORD dst_unused:UNUSED_PAD src0_sel:WORD_1 src1_sel:DWORD
	v_pk_fma_f16 v54, v48, v47, v54
	v_pk_fma_f16 v55, v48, v7, v5
	v_pk_fma_f16 v49, v48, v53, v49
	v_pk_fma_f16 v53, v48, v8, v6
	ds_read2_b32 v[47:48], v46 offset0:128 offset1:160
	;; [unrolled: 19-line block ×3, first 2 shown]
	ds_read_b128 v[5:8], v33 offset:496
	s_waitcnt lgkmcnt(0)
	s_barrier
	s_load_dword s27, s[0:1], 0x4
	v_mul_u32_u24_sdwa v56, v5, s19 dst_sel:DWORD dst_unused:UNUSED_PAD src0_sel:WORD_0 src1_sel:DWORD
	v_mul_u32_u24_sdwa v5, v5, s19 dst_sel:DWORD dst_unused:UNUSED_PAD src0_sel:WORD_1 src1_sel:DWORD
	v_mul_u32_u24_sdwa v57, v6, s19 dst_sel:DWORD dst_unused:UNUSED_PAD src0_sel:WORD_0 src1_sel:DWORD
	v_mul_u32_u24_sdwa v6, v6, s19 dst_sel:DWORD dst_unused:UNUSED_PAD src0_sel:WORD_1 src1_sel:DWORD
	s_waitcnt lgkmcnt(0)
	s_lshl_b32 s27, s27, 6
	v_pk_fma_f16 v47, v53, v56, v47
	v_pk_fma_f16 v5, v53, v5, v55
	;; [unrolled: 1-line block ×4, first 2 shown]
	v_mul_u32_u24_sdwa v48, v7, s19 dst_sel:DWORD dst_unused:UNUSED_PAD src0_sel:WORD_0 src1_sel:DWORD
	v_mul_u32_u24_sdwa v7, v7, s19 dst_sel:DWORD dst_unused:UNUSED_PAD src0_sel:WORD_1 src1_sel:DWORD
	v_mul_u32_u24_sdwa v53, v8, s19 dst_sel:DWORD dst_unused:UNUSED_PAD src0_sel:WORD_0 src1_sel:DWORD
	v_mul_u32_u24_sdwa v8, v8, s19 dst_sel:DWORD dst_unused:UNUSED_PAD src0_sel:WORD_1 src1_sel:DWORD
	s_add_i32 s6, s27, s6
	v_pk_fma_f16 v49, v54, v48, v47
	v_pk_fma_f16 v48, v54, v7, v5
	;; [unrolled: 1-line block ×4, first 2 shown]
	s_cmp_ge_i32 s6, s24
	s_cbranch_scc0 .LBB5_9
.LBB5_10:
	v_cmp_lt_i32_e32 vcc, v26, v21
	v_cndmask_b32_e32 v5, v20, v26, vcc
	v_lshlrev_b32_e32 v5, 2, v5
	ds_bpermute_b32 v6, v5, v50
	ds_bpermute_b32 v12, v5, v51
	ds_bpermute_b32 v13, v5, v52
	ds_bpermute_b32 v5, v5, v27
	v_cmp_lt_i32_e32 vcc, v25, v21
	v_cndmask_b32_e32 v7, v20, v25, vcc
	v_lshlrev_b32_e32 v7, 2, v7
	s_waitcnt lgkmcnt(3)
	v_add_f32_e32 v6, v50, v6
	s_waitcnt lgkmcnt(2)
	v_add_f32_e32 v12, v51, v12
	s_waitcnt lgkmcnt(1)
	v_add_f32_e32 v13, v52, v13
	s_waitcnt lgkmcnt(0)
	v_add_f32_e32 v5, v27, v5
	ds_bpermute_b32 v8, v7, v6
	ds_bpermute_b32 v14, v7, v12
	ds_bpermute_b32 v16, v7, v13
	ds_bpermute_b32 v7, v7, v5
	v_cmp_lt_i32_e32 vcc, v24, v21
	v_cndmask_b32_e32 v9, v20, v24, vcc
	v_lshlrev_b32_e32 v9, 2, v9
	s_waitcnt lgkmcnt(3)
	v_add_f32_e32 v6, v6, v8
	s_waitcnt lgkmcnt(2)
	v_add_f32_e32 v12, v12, v14
	s_waitcnt lgkmcnt(1)
	v_add_f32_e32 v13, v13, v16
	s_waitcnt lgkmcnt(0)
	v_add_f32_e32 v5, v5, v7
	;; [unrolled: 15-line block ×4, first 2 shown]
	ds_bpermute_b32 v8, v11, v6
	ds_bpermute_b32 v10, v11, v9
	;; [unrolled: 1-line block ×4, first 2 shown]
	s_cmp_lg_u64 s[16:17], 0
	s_cselect_b64 s[0:1], -1, 0
	s_cmp_eq_u32 s7, 0
	s_cselect_b64 s[8:9], -1, 0
	s_and_b64 s[0:1], s[8:9], s[0:1]
	v_lshlrev_b32_e32 v15, 1, v0
	s_waitcnt lgkmcnt(3)
	v_add_f32_e32 v5, v6, v8
	s_waitcnt lgkmcnt(2)
	v_add_f32_e32 v6, v9, v10
	;; [unrolled: 2-line block ×4, first 2 shown]
	s_and_b64 vcc, exec, s[0:1]
	s_cbranch_vccz .LBB5_13
; %bb.11:
	v_add_u32_e32 v9, s25, v19
	v_ashrrev_i32_e32 v10, 31, v9
	v_lshlrev_b64 v[9:10], 2, v[9:10]
	v_mov_b32_e32 v11, s17
	v_add_co_u32_e32 v9, vcc, s16, v9
	v_addc_co_u32_e32 v10, vcc, v11, v10, vcc
	global_load_dwordx4 v[9:12], v[9:10], off
	v_max_f32_e32 v13, v1, v1
	v_max_f32_e32 v16, v2, v2
	s_mov_b32 s6, 0x3fb8aa3b
	v_max_f32_e32 v17, v3, v3
	s_mov_b32 s1, 0xc2ce8ed0
	s_mov_b32 s0, 0x42b17218
	v_mov_b32_e32 v14, 0x7f800000
	s_waitcnt vmcnt(0)
	v_max_f32_e32 v20, v9, v9
	v_max_f32_e32 v20, v13, v20
	v_max_f32_e32 v21, v10, v10
	v_sub_f32_e32 v1, v1, v20
	v_max_f32_e32 v21, v16, v21
	v_sub_f32_e32 v9, v9, v20
	v_mul_f32_e32 v13, 0x3fb8aa3b, v1
	v_max_f32_e32 v22, v11, v11
	v_sub_f32_e32 v2, v2, v21
	v_mul_f32_e32 v16, 0x3fb8aa3b, v9
	v_fma_f32 v26, v1, s6, -v13
	v_rndne_f32_e32 v27, v13
	v_max_f32_e32 v22, v17, v22
	v_sub_f32_e32 v10, v10, v21
	v_mul_f32_e32 v17, 0x3fb8aa3b, v2
	v_fma_f32 v28, v9, s6, -v16
	v_rndne_f32_e32 v29, v16
	v_fmac_f32_e32 v26, 0x32a5705f, v1
	v_sub_f32_e32 v13, v13, v27
	v_mul_f32_e32 v23, 0x3fb8aa3b, v10
	v_fma_f32 v30, v2, s6, -v17
	v_rndne_f32_e32 v31, v17
	v_fmac_f32_e32 v28, 0x32a5705f, v9
	v_sub_f32_e32 v16, v16, v29
	v_add_f32_e32 v13, v13, v26
	v_fma_f32 v32, v10, s6, -v23
	v_rndne_f32_e32 v33, v23
	v_cvt_i32_f32_e32 v27, v27
	v_fmac_f32_e32 v30, 0x32a5705f, v2
	v_sub_f32_e32 v17, v17, v31
	v_add_f32_e32 v16, v16, v28
	v_exp_f32_e32 v13, v13
	v_cvt_i32_f32_e32 v29, v29
	v_fmac_f32_e32 v32, 0x32a5705f, v10
	v_sub_f32_e32 v23, v23, v33
	v_add_f32_e32 v17, v17, v30
	v_exp_f32_e32 v16, v16
	v_cvt_i32_f32_e32 v31, v31
	v_add_f32_e32 v23, v23, v32
	v_exp_f32_e32 v17, v17
	v_cvt_i32_f32_e32 v33, v33
	v_exp_f32_e32 v23, v23
	v_ldexp_f32 v13, v13, v27
	v_cmp_ngt_f32_e32 vcc, s1, v1
	v_sub_f32_e32 v3, v3, v22
	v_ldexp_f32 v16, v16, v29
	v_cndmask_b32_e32 v13, 0, v13, vcc
	v_cmp_ngt_f32_e32 vcc, s1, v9
	v_mul_f32_e32 v24, 0x3fb8aa3b, v3
	v_ldexp_f32 v17, v17, v31
	v_cndmask_b32_e32 v16, 0, v16, vcc
	v_cmp_ngt_f32_e32 vcc, s1, v2
	v_fma_f32 v34, v3, s6, -v24
	v_rndne_f32_e32 v35, v24
	v_ldexp_f32 v23, v23, v33
	v_cndmask_b32_e32 v17, 0, v17, vcc
	v_cmp_ngt_f32_e32 vcc, s1, v10
	v_fmac_f32_e32 v34, 0x32a5705f, v3
	v_sub_f32_e32 v24, v24, v35
	v_cndmask_b32_e32 v23, 0, v23, vcc
	v_cmp_nlt_f32_e32 vcc, s0, v1
	v_add_f32_e32 v24, v24, v34
	v_cndmask_b32_e32 v1, v14, v13, vcc
	v_sub_f32_e32 v11, v11, v22
	v_cvt_i32_f32_e32 v35, v35
	v_exp_f32_e32 v24, v24
	v_cvt_f16_f32_e32 v13, v1
	v_mul_f32_e32 v25, 0x3fb8aa3b, v11
	v_cmp_nlt_f32_e32 vcc, s0, v9
	v_fma_f32 v36, v11, s6, -v25
	v_rndne_f32_e32 v37, v25
	v_cndmask_b32_e32 v9, v14, v16, vcc
	v_cmp_nlt_f32_e32 vcc, s0, v2
	v_fmac_f32_e32 v36, 0x32a5705f, v11
	v_sub_f32_e32 v25, v25, v37
	v_cndmask_b32_e32 v2, v14, v17, vcc
	v_cmp_nlt_f32_e32 vcc, s0, v10
	v_add_f32_e32 v25, v25, v36
	v_ldexp_f32 v24, v24, v35
	v_cndmask_b32_e32 v10, v14, v23, vcc
	v_cvt_f16_f32_e32 v16, v2
	v_fmac_f32_e32 v9, v5, v1
	v_mul_u32_u24_e32 v1, 0x10001, v13
	v_cmp_ngt_f32_e32 vcc, s1, v3
	v_cvt_i32_f32_e32 v37, v37
	v_exp_f32_e32 v25, v25
	v_pk_mul_f16 v49, v49, v1
	v_cndmask_b32_e32 v1, 0, v24, vcc
	v_cmp_nlt_f32_e32 vcc, s0, v3
	v_max_f32_e32 v3, v12, v12
	v_max_f32_e32 v5, v4, v4
	;; [unrolled: 1-line block ×3, first 2 shown]
	v_sub_f32_e32 v3, v4, v23
	v_fmac_f32_e32 v10, v6, v2
	v_mul_u32_u24_e32 v2, 0x10001, v16
	v_mul_f32_e32 v4, 0x3fb8aa3b, v3
	v_pk_mul_f16 v48, v48, v2
	v_cndmask_b32_e32 v1, v14, v1, vcc
	v_ldexp_f32 v2, v25, v37
	v_cmp_ngt_f32_e32 vcc, s1, v11
	v_fma_f32 v5, v3, s6, -v4
	v_rndne_f32_e32 v6, v4
	v_cndmask_b32_e32 v2, 0, v2, vcc
	v_cmp_nlt_f32_e32 vcc, s0, v11
	v_fmac_f32_e32 v5, 0x32a5705f, v3
	v_sub_f32_e32 v4, v4, v6
	v_cndmask_b32_e32 v11, v14, v2, vcc
	v_cvt_f16_f32_e32 v2, v1
	v_add_f32_e32 v4, v4, v5
	v_exp_f32_e32 v4, v4
	v_cvt_i32_f32_e32 v5, v6
	v_fmac_f32_e32 v11, v7, v1
	v_mul_u32_u24_e32 v1, 0x10001, v2
	v_sub_f32_e32 v2, v12, v23
	v_pk_mul_f16 v47, v47, v1
	v_ldexp_f32 v1, v4, v5
	v_mul_f32_e32 v4, 0x3fb8aa3b, v2
	v_fma_f32 v5, v2, s6, -v4
	v_rndne_f32_e32 v6, v4
	v_fmac_f32_e32 v5, 0x32a5705f, v2
	v_sub_f32_e32 v4, v4, v6
	v_add_f32_e32 v4, v4, v5
	v_exp_f32_e32 v4, v4
	v_cvt_i32_f32_e32 v5, v6
	v_cmp_ngt_f32_e32 vcc, s1, v3
	v_cndmask_b32_e32 v1, 0, v1, vcc
	v_cmp_nlt_f32_e32 vcc, s0, v3
	v_cndmask_b32_e32 v1, v14, v1, vcc
	v_ldexp_f32 v3, v4, v5
	v_cvt_f16_f32_e32 v4, v1
	v_cmp_ngt_f32_e32 vcc, s1, v2
	v_cndmask_b32_e32 v3, 0, v3, vcc
	v_cmp_nlt_f32_e32 vcc, s0, v2
	v_cndmask_b32_e32 v12, v14, v3, vcc
	v_fmac_f32_e32 v12, v8, v1
	v_mul_u32_u24_e32 v1, 0x10001, v4
	v_pk_mul_f16 v53, v53, v1
	v_mov_b32_e32 v1, v20
	v_mov_b32_e32 v2, v21
	;; [unrolled: 1-line block ×8, first 2 shown]
	v_cmp_gt_i32_e32 vcc, s2, v18
	s_and_saveexec_b64 s[0:1], vcc
	s_cbranch_execnz .LBB5_14
.LBB5_12:
	s_endpgm
.LBB5_13:
	v_mov_b32_e32 v12, v8
	v_mov_b32_e32 v11, v7
	;; [unrolled: 1-line block ×4, first 2 shown]
	v_cmp_gt_i32_e32 vcc, s2, v18
	s_and_saveexec_b64 s[0:1], vcc
	s_cbranch_execz .LBB5_12
.LBB5_14:
	s_load_dword s6, s[4:5], 0xd4
	v_mov_b32_e32 v13, 1.0
	s_waitcnt lgkmcnt(0)
	s_cmp_lg_u32 s6, 1
	s_cselect_b64 s[0:1], -1, 0
	s_cmp_eq_u32 s6, 1
	s_cselect_b64 s[4:5], -1, 0
	s_and_b64 vcc, exec, s[0:1]
	s_cbranch_vccnz .LBB5_16
; %bb.15:
	v_div_scale_f32 v13, s[8:9], v5, v5, 1.0
	v_div_scale_f32 v14, vcc, 1.0, v5, 1.0
	v_rcp_f32_e32 v16, v13
	v_fma_f32 v17, -v13, v16, 1.0
	v_fmac_f32_e32 v16, v17, v16
	v_mul_f32_e32 v17, v14, v16
	v_fma_f32 v20, -v13, v17, v14
	v_fmac_f32_e32 v17, v20, v16
	v_fma_f32 v13, -v13, v17, v14
	v_div_fmas_f32 v13, v13, v16, v17
	v_div_fixup_f32 v13, v13, v5, 1.0
.LBB5_16:
	s_mul_i32 s30, s30, s2
	v_add_u32_e32 v5, s30, v18
	v_mul_lo_u32 v5, v5, s3
	v_cmp_eq_u32_e32 vcc, 0, v0
	v_cvt_f32_f16_e32 v0, v49
	v_cvt_f32_f16_sdwa v14, v49 dst_sel:DWORD dst_unused:UNUSED_PAD src0_sel:WORD_1
	v_add3_u32 v5, s25, v19, v5
	v_mul_lo_u32 v5, s6, v5
	v_mul_f32_e32 v16, v13, v0
	v_mul_f32_e32 v17, v13, v14
	v_mov_b32_e32 v19, 0
	v_add_u32_e32 v13, s7, v5
	v_lshl_add_u32 v18, v13, 6, v15
	v_lshlrev_b64 v[18:19], 2, v[18:19]
	s_and_b64 s[2:3], vcc, s[0:1]
	v_mov_b32_e32 v0, s21
	v_add_co_u32_e32 v18, vcc, s20, v18
	v_addc_co_u32_e32 v19, vcc, v0, v19, vcc
	global_store_dwordx2 v[18:19], v[16:17], off
	s_and_saveexec_b64 s[0:1], s[2:3]
	s_cbranch_execz .LBB5_18
; %bb.17:
	v_ashrrev_i32_e32 v14, 31, v13
	v_lshlrev_b64 v[16:17], 3, v[13:14]
	v_mov_b32_e32 v0, s23
	v_add_co_u32_e32 v16, vcc, s22, v16
	v_addc_co_u32_e32 v17, vcc, v0, v17, vcc
	v_mov_b32_e32 v0, v1
	v_mov_b32_e32 v1, v9
	global_store_dwordx2 v[16:17], v[0:1], off
.LBB5_18:
	s_or_b64 exec, exec, s[0:1]
	v_cndmask_b32_e64 v0, 0, 1, s[4:5]
	v_cmp_ne_u32_e64 s[0:1], 1, v0
	s_andn2_b64 vcc, exec, s[4:5]
	v_mov_b32_e32 v1, 1.0
	s_cbranch_vccnz .LBB5_20
; %bb.19:
	v_div_scale_f32 v0, s[4:5], v6, v6, 1.0
	v_div_scale_f32 v1, vcc, 1.0, v6, 1.0
	v_rcp_f32_e32 v5, v0
	v_fma_f32 v9, -v0, v5, 1.0
	v_fmac_f32_e32 v5, v9, v5
	v_mul_f32_e32 v9, v1, v5
	v_fma_f32 v14, -v0, v9, v1
	v_fmac_f32_e32 v9, v14, v5
	v_fma_f32 v0, -v0, v9, v1
	v_div_fmas_f32 v0, v0, v5, v9
	v_div_fixup_f32 v1, v0, v6, 1.0
.LBB5_20:
	v_cvt_f32_f16_e32 v5, v48
	v_cvt_f32_f16_sdwa v6, v48 dst_sel:DWORD dst_unused:UNUSED_PAD src0_sel:WORD_1
	v_add_u32_e32 v0, s6, v13
	v_lshl_add_u32 v13, v0, 6, v15
	v_mov_b32_e32 v14, 0
	v_lshlrev_b64 v[13:14], 2, v[13:14]
	v_mul_f32_e32 v5, v1, v5
	v_mul_f32_e32 v6, v1, v6
	v_mov_b32_e32 v1, s21
	v_add_co_u32_e32 v13, vcc, s20, v13
	v_addc_co_u32_e32 v14, vcc, v1, v14, vcc
	global_store_dwordx2 v[13:14], v[5:6], off
	s_and_saveexec_b64 s[4:5], s[2:3]
	s_cbranch_execz .LBB5_22
; %bb.21:
	v_ashrrev_i32_e32 v1, 31, v0
	v_lshlrev_b64 v[5:6], 3, v[0:1]
	v_mov_b32_e32 v1, s23
	v_add_co_u32_e32 v5, vcc, s22, v5
	v_addc_co_u32_e32 v6, vcc, v1, v6, vcc
	v_mov_b32_e32 v9, v2
	global_store_dwordx2 v[5:6], v[9:10], off
.LBB5_22:
	s_or_b64 exec, exec, s[4:5]
	s_and_b64 vcc, exec, s[0:1]
	v_mov_b32_e32 v1, 1.0
	s_cbranch_vccnz .LBB5_24
; %bb.23:
	v_div_scale_f32 v1, s[4:5], v7, v7, 1.0
	v_div_scale_f32 v2, vcc, 1.0, v7, 1.0
	v_rcp_f32_e32 v5, v1
	v_fma_f32 v6, -v1, v5, 1.0
	v_fmac_f32_e32 v5, v6, v5
	v_mul_f32_e32 v6, v2, v5
	v_fma_f32 v9, -v1, v6, v2
	v_fmac_f32_e32 v6, v9, v5
	v_fma_f32 v1, -v1, v6, v2
	v_div_fmas_f32 v1, v1, v5, v6
	v_div_fixup_f32 v1, v1, v7, 1.0
.LBB5_24:
	v_cvt_f32_f16_e32 v2, v47
	v_cvt_f32_f16_sdwa v6, v47 dst_sel:DWORD dst_unused:UNUSED_PAD src0_sel:WORD_1
	v_add_u32_e32 v0, s6, v0
	v_mov_b32_e32 v7, s21
	v_mul_f32_e32 v5, v1, v2
	v_mul_f32_e32 v6, v1, v6
	v_lshl_add_u32 v1, v0, 6, v15
	v_mov_b32_e32 v2, 0
	v_lshlrev_b64 v[1:2], 2, v[1:2]
	v_add_co_u32_e32 v1, vcc, s20, v1
	v_addc_co_u32_e32 v2, vcc, v7, v2, vcc
	global_store_dwordx2 v[1:2], v[5:6], off
	s_and_saveexec_b64 s[4:5], s[2:3]
	s_cbranch_execz .LBB5_26
; %bb.25:
	v_ashrrev_i32_e32 v1, 31, v0
	v_lshlrev_b64 v[1:2], 3, v[0:1]
	v_mov_b32_e32 v5, s23
	v_add_co_u32_e32 v1, vcc, s22, v1
	v_addc_co_u32_e32 v2, vcc, v5, v2, vcc
	v_mov_b32_e32 v10, v3
	global_store_dwordx2 v[1:2], v[10:11], off
.LBB5_26:
	s_or_b64 exec, exec, s[4:5]
	s_and_b64 vcc, exec, s[0:1]
	v_mov_b32_e32 v1, 1.0
	s_cbranch_vccnz .LBB5_28
; %bb.27:
	v_div_scale_f32 v1, s[0:1], v8, v8, 1.0
	v_div_scale_f32 v2, vcc, 1.0, v8, 1.0
	v_rcp_f32_e32 v3, v1
	v_fma_f32 v5, -v1, v3, 1.0
	v_fmac_f32_e32 v3, v5, v3
	v_mul_f32_e32 v5, v2, v3
	v_fma_f32 v6, -v1, v5, v2
	v_fmac_f32_e32 v5, v6, v3
	v_fma_f32 v1, -v1, v5, v2
	v_div_fmas_f32 v1, v1, v3, v5
	v_div_fixup_f32 v1, v1, v8, 1.0
.LBB5_28:
	v_cvt_f32_f16_e32 v2, v53
	v_cvt_f32_f16_sdwa v3, v53 dst_sel:DWORD dst_unused:UNUSED_PAD src0_sel:WORD_1
	v_add_u32_e32 v0, s6, v0
	v_lshl_add_u32 v5, v0, 6, v15
	v_mov_b32_e32 v6, 0
	v_lshlrev_b64 v[5:6], 2, v[5:6]
	v_mul_f32_e32 v2, v1, v2
	v_mul_f32_e32 v3, v1, v3
	v_mov_b32_e32 v1, s21
	v_add_co_u32_e32 v5, vcc, s20, v5
	v_addc_co_u32_e32 v6, vcc, v1, v6, vcc
	global_store_dwordx2 v[5:6], v[2:3], off
	s_and_b64 exec, exec, s[2:3]
	s_cbranch_execz .LBB5_12
; %bb.29:
	v_ashrrev_i32_e32 v1, 31, v0
	v_lshlrev_b64 v[0:1], 3, v[0:1]
	v_mov_b32_e32 v2, s23
	v_add_co_u32_e32 v0, vcc, s22, v0
	v_addc_co_u32_e32 v1, vcc, v2, v1, vcc
	v_mov_b32_e32 v11, v4
	global_store_dwordx2 v[0:1], v[11:12], off
	s_endpgm
	.section	.rodata,"a",@progbits
	.p2align	6, 0x0
	.amdhsa_kernel _ZL15flash_attn_tileILi64ELi64ELi4ELi8ELb0EEvPKcS1_S1_S1_S1_PKiPfP15HIP_vector_typeIfLj2EEffffjfiS5_IjLj3EEiiiiiiiiiiiliiliiiiil
		.amdhsa_group_segment_fixed_size 17408
		.amdhsa_private_segment_fixed_size 0
		.amdhsa_kernarg_size 464
		.amdhsa_user_sgpr_count 6
		.amdhsa_user_sgpr_private_segment_buffer 1
		.amdhsa_user_sgpr_dispatch_ptr 0
		.amdhsa_user_sgpr_queue_ptr 0
		.amdhsa_user_sgpr_kernarg_segment_ptr 1
		.amdhsa_user_sgpr_dispatch_id 0
		.amdhsa_user_sgpr_flat_scratch_init 0
		.amdhsa_user_sgpr_private_segment_size 0
		.amdhsa_uses_dynamic_stack 0
		.amdhsa_system_sgpr_private_segment_wavefront_offset 0
		.amdhsa_system_sgpr_workgroup_id_x 1
		.amdhsa_system_sgpr_workgroup_id_y 1
		.amdhsa_system_sgpr_workgroup_id_z 1
		.amdhsa_system_sgpr_workgroup_info 0
		.amdhsa_system_vgpr_workitem_id 1
		.amdhsa_next_free_vgpr 82
		.amdhsa_next_free_sgpr 98
		.amdhsa_reserve_vcc 1
		.amdhsa_reserve_flat_scratch 0
		.amdhsa_float_round_mode_32 0
		.amdhsa_float_round_mode_16_64 0
		.amdhsa_float_denorm_mode_32 3
		.amdhsa_float_denorm_mode_16_64 3
		.amdhsa_dx10_clamp 1
		.amdhsa_ieee_mode 1
		.amdhsa_fp16_overflow 0
		.amdhsa_exception_fp_ieee_invalid_op 0
		.amdhsa_exception_fp_denorm_src 0
		.amdhsa_exception_fp_ieee_div_zero 0
		.amdhsa_exception_fp_ieee_overflow 0
		.amdhsa_exception_fp_ieee_underflow 0
		.amdhsa_exception_fp_ieee_inexact 0
		.amdhsa_exception_int_div_zero 0
	.end_amdhsa_kernel
	.section	.text._ZL15flash_attn_tileILi64ELi64ELi4ELi8ELb0EEvPKcS1_S1_S1_S1_PKiPfP15HIP_vector_typeIfLj2EEffffjfiS5_IjLj3EEiiiiiiiiiiiliiliiiiil,"axG",@progbits,_ZL15flash_attn_tileILi64ELi64ELi4ELi8ELb0EEvPKcS1_S1_S1_S1_PKiPfP15HIP_vector_typeIfLj2EEffffjfiS5_IjLj3EEiiiiiiiiiiiliiliiiiil,comdat
.Lfunc_end5:
	.size	_ZL15flash_attn_tileILi64ELi64ELi4ELi8ELb0EEvPKcS1_S1_S1_S1_PKiPfP15HIP_vector_typeIfLj2EEffffjfiS5_IjLj3EEiiiiiiiiiiiliiliiiiil, .Lfunc_end5-_ZL15flash_attn_tileILi64ELi64ELi4ELi8ELb0EEvPKcS1_S1_S1_S1_PKiPfP15HIP_vector_typeIfLj2EEffffjfiS5_IjLj3EEiiiiiiiiiiiliiliiiiil
                                        ; -- End function
	.set _ZL15flash_attn_tileILi64ELi64ELi4ELi8ELb0EEvPKcS1_S1_S1_S1_PKiPfP15HIP_vector_typeIfLj2EEffffjfiS5_IjLj3EEiiiiiiiiiiiliiliiiiil.num_vgpr, 82
	.set _ZL15flash_attn_tileILi64ELi64ELi4ELi8ELb0EEvPKcS1_S1_S1_S1_PKiPfP15HIP_vector_typeIfLj2EEffffjfiS5_IjLj3EEiiiiiiiiiiiliiliiiiil.num_agpr, 0
	.set _ZL15flash_attn_tileILi64ELi64ELi4ELi8ELb0EEvPKcS1_S1_S1_S1_PKiPfP15HIP_vector_typeIfLj2EEffffjfiS5_IjLj3EEiiiiiiiiiiiliiliiiiil.numbered_sgpr, 40
	.set _ZL15flash_attn_tileILi64ELi64ELi4ELi8ELb0EEvPKcS1_S1_S1_S1_PKiPfP15HIP_vector_typeIfLj2EEffffjfiS5_IjLj3EEiiiiiiiiiiiliiliiiiil.num_named_barrier, 0
	.set _ZL15flash_attn_tileILi64ELi64ELi4ELi8ELb0EEvPKcS1_S1_S1_S1_PKiPfP15HIP_vector_typeIfLj2EEffffjfiS5_IjLj3EEiiiiiiiiiiiliiliiiiil.private_seg_size, 0
	.set _ZL15flash_attn_tileILi64ELi64ELi4ELi8ELb0EEvPKcS1_S1_S1_S1_PKiPfP15HIP_vector_typeIfLj2EEffffjfiS5_IjLj3EEiiiiiiiiiiiliiliiiiil.uses_vcc, 1
	.set _ZL15flash_attn_tileILi64ELi64ELi4ELi8ELb0EEvPKcS1_S1_S1_S1_PKiPfP15HIP_vector_typeIfLj2EEffffjfiS5_IjLj3EEiiiiiiiiiiiliiliiiiil.uses_flat_scratch, 0
	.set _ZL15flash_attn_tileILi64ELi64ELi4ELi8ELb0EEvPKcS1_S1_S1_S1_PKiPfP15HIP_vector_typeIfLj2EEffffjfiS5_IjLj3EEiiiiiiiiiiiliiliiiiil.has_dyn_sized_stack, 0
	.set _ZL15flash_attn_tileILi64ELi64ELi4ELi8ELb0EEvPKcS1_S1_S1_S1_PKiPfP15HIP_vector_typeIfLj2EEffffjfiS5_IjLj3EEiiiiiiiiiiiliiliiiiil.has_recursion, 0
	.set _ZL15flash_attn_tileILi64ELi64ELi4ELi8ELb0EEvPKcS1_S1_S1_S1_PKiPfP15HIP_vector_typeIfLj2EEffffjfiS5_IjLj3EEiiiiiiiiiiiliiliiiiil.has_indirect_call, 0
	.section	.AMDGPU.csdata,"",@progbits
; Kernel info:
; codeLenInByte = 13308
; TotalNumSgprs: 44
; NumVgprs: 82
; ScratchSize: 0
; MemoryBound: 0
; FloatMode: 240
; IeeeMode: 1
; LDSByteSize: 17408 bytes/workgroup (compile time only)
; SGPRBlocks: 12
; VGPRBlocks: 20
; NumSGPRsForWavesPerEU: 102
; NumVGPRsForWavesPerEU: 82
; Occupancy: 3
; WaveLimiterHint : 1
; COMPUTE_PGM_RSRC2:SCRATCH_EN: 0
; COMPUTE_PGM_RSRC2:USER_SGPR: 6
; COMPUTE_PGM_RSRC2:TRAP_HANDLER: 0
; COMPUTE_PGM_RSRC2:TGID_X_EN: 1
; COMPUTE_PGM_RSRC2:TGID_Y_EN: 1
; COMPUTE_PGM_RSRC2:TGID_Z_EN: 1
; COMPUTE_PGM_RSRC2:TIDIG_COMP_CNT: 1
	.section	.text._ZL25flash_attn_mask_to_KV_maxILi4EEvPK7__half2Piiii,"axG",@progbits,_ZL25flash_attn_mask_to_KV_maxILi4EEvPK7__half2Piiii,comdat
	.globl	_ZL25flash_attn_mask_to_KV_maxILi4EEvPK7__half2Piiii ; -- Begin function _ZL25flash_attn_mask_to_KV_maxILi4EEvPK7__half2Piiii
	.p2align	8
	.type	_ZL25flash_attn_mask_to_KV_maxILi4EEvPK7__half2Piiii,@function
_ZL25flash_attn_mask_to_KV_maxILi4EEvPK7__half2Piiii: ; @_ZL25flash_attn_mask_to_KV_maxILi4EEvPK7__half2Piiii
; %bb.0:
	s_load_dwordx4 s[8:11], s[4:5], 0x0
	v_cmp_gt_u32_e32 vcc, 32, v0
	s_and_saveexec_b64 s[0:1], vcc
; %bb.1:
	v_lshlrev_b32_e32 v1, 2, v0
	v_mov_b32_e32 v2, 1
	ds_write_b32 v1, v2
; %bb.2:
	s_or_b64 exec, exec, s[0:1]
	s_load_dwordx4 s[12:15], s[4:5], 0x10
	s_load_dword s22, s[4:5], 0x20
	v_and_b32_e32 v1, 31, v0
	v_lshlrev_b32_e32 v6, 2, v1
	v_lshrrev_b32_e32 v5, 3, v0
	s_waitcnt lgkmcnt(0)
	s_mul_i32 s1, s6, s13
	s_mul_i32 s0, s14, s7
	s_lshl_b32 s1, s1, 2
	s_add_i32 s0, s0, s1
	s_ashr_i32 s1, s0, 31
	s_lshl_b64 s[0:1], s[0:1], 2
	s_add_u32 s23, s8, s0
	s_addc_u32 s24, s9, s1
	v_cmp_eq_u32_e64 s[0:1], 0, v1
	v_mbcnt_lo_u32_b32 v1, -1, 0
	s_lshl_b32 s12, s12, 8
	s_mov_b64 s[4:5], 0
	v_mov_b32_e32 v2, 0
	s_movk_i32 s25, 0x204
	v_mbcnt_hi_u32_b32 v7, -1, v1
	s_barrier
                                        ; implicit-def: $sgpr2_sgpr3
	s_branch .LBB6_5
.LBB6_3:                                ;   in Loop: Header=BB6_5 Depth=1
	s_or_b64 exec, exec, s[8:9]
	s_waitcnt lgkmcnt(0)
	s_barrier
	ds_read_b32 v10, v6
	s_waitcnt lgkmcnt(0)
	s_barrier
	ds_bpermute_b32 v1, v1, v10
	v_cmp_ne_u32_e32 vcc, 0, v10
	s_waitcnt lgkmcnt(0)
	v_cmp_ne_u32_e64 s[2:3], 0, v1
	s_and_b64 s[2:3], vcc, s[2:3]
	v_cndmask_b32_e64 v1, 0, 1, s[2:3]
	ds_bpermute_b32 v1, v3, v1
	s_waitcnt lgkmcnt(0)
	v_cmp_ne_u32_e32 vcc, 0, v1
	s_and_b64 s[2:3], vcc, s[2:3]
	v_cndmask_b32_e64 v1, 0, 1, s[2:3]
	ds_bpermute_b32 v1, v4, v1
	s_waitcnt lgkmcnt(0)
	v_cmp_ne_u32_e32 vcc, 0, v1
	;; [unrolled: 5-line block ×3, first 2 shown]
	s_and_b64 s[2:3], vcc, s[2:3]
	v_cndmask_b32_e64 v1, 0, 1, s[2:3]
	ds_bpermute_b32 v1, v9, v1
	s_xor_b64 s[2:3], s[2:3], -1
	s_waitcnt lgkmcnt(0)
	v_cmp_eq_u32_e32 vcc, 0, v1
	s_or_b64 s[2:3], vcc, s[2:3]
.LBB6_4:                                ;   in Loop: Header=BB6_5 Depth=1
	s_and_b64 s[8:9], exec, s[2:3]
	s_or_b64 s[4:5], s[8:9], s[4:5]
	v_mov_b32_e32 v1, s12
	s_mov_b32 s12, s26
	s_andn2_b64 exec, exec, s[4:5]
	s_cbranch_execz .LBB6_20
.LBB6_5:                                ; =>This Inner Loop Header: Depth=1
	s_add_i32 s26, s12, 0xffffff00
	s_or_b64 s[2:3], s[2:3], exec
	s_cmp_lt_i32 s26, 0
	s_cbranch_scc1 .LBB6_4
; %bb.6:                                ;   in Loop: Header=BB6_5 Depth=1
	s_lshr_b32 s2, s26, 1
	v_add_u32_e32 v1, s2, v0
	v_lshlrev_b64 v[3:4], 2, v[1:2]
	v_mov_b32_e32 v8, s24
	v_add_co_u32_e32 v3, vcc, s23, v3
	v_addc_co_u32_e32 v4, vcc, v8, v4, vcc
	global_load_dword v3, v[3:4], off
	v_mov_b32_e32 v4, 0
	s_waitcnt vmcnt(0)
	v_cmp_class_f16_e64 s[2:3], v3, s25
	v_cmp_class_f16_sdwa s[8:9], v3, s25 src0_sel:WORD_1 src1_sel:DWORD
	s_and_b64 s[8:9], s[2:3], s[8:9]
	s_and_saveexec_b64 s[2:3], s[8:9]
	s_cbranch_execz .LBB6_18
; %bb.7:                                ;   in Loop: Header=BB6_5 Depth=1
	v_add_u32_e32 v3, s13, v1
	v_ashrrev_i32_e32 v4, 31, v3
	v_lshlrev_b64 v[8:9], 2, v[3:4]
	v_mov_b32_e32 v1, s24
	v_add_co_u32_e32 v8, vcc, s23, v8
	v_addc_co_u32_e32 v9, vcc, v1, v9, vcc
	global_load_dword v1, v[8:9], off
	v_mov_b32_e32 v4, 0
	s_waitcnt vmcnt(0)
	v_cmp_class_f16_e64 s[14:15], v1, s25
	s_and_saveexec_b64 s[8:9], s[14:15]
	s_cbranch_execz .LBB6_17
; %bb.8:                                ;   in Loop: Header=BB6_5 Depth=1
	v_cmp_class_f16_sdwa s[16:17], v1, s25 src0_sel:WORD_1 src1_sel:DWORD
	v_mov_b32_e32 v4, 0
	s_and_saveexec_b64 s[14:15], s[16:17]
	s_cbranch_execz .LBB6_16
; %bb.9:                                ;   in Loop: Header=BB6_5 Depth=1
	v_add_u32_e32 v3, s13, v3
	v_ashrrev_i32_e32 v4, 31, v3
	v_lshlrev_b64 v[8:9], 2, v[3:4]
	v_mov_b32_e32 v1, s24
	v_add_co_u32_e32 v8, vcc, s23, v8
	v_addc_co_u32_e32 v9, vcc, v1, v9, vcc
	global_load_dword v1, v[8:9], off
	v_mov_b32_e32 v4, 0
	s_waitcnt vmcnt(0)
	v_cmp_class_f16_e64 s[18:19], v1, s25
	s_and_saveexec_b64 s[16:17], s[18:19]
	s_cbranch_execz .LBB6_15
; %bb.10:                               ;   in Loop: Header=BB6_5 Depth=1
	v_cmp_class_f16_sdwa s[20:21], v1, s25 src0_sel:WORD_1 src1_sel:DWORD
	v_mov_b32_e32 v4, 0
	s_and_saveexec_b64 s[18:19], s[20:21]
	s_cbranch_execz .LBB6_14
; %bb.11:                               ;   in Loop: Header=BB6_5 Depth=1
	v_add_u32_e32 v3, s13, v3
	v_ashrrev_i32_e32 v4, 31, v3
	v_lshlrev_b64 v[3:4], 2, v[3:4]
	v_mov_b32_e32 v1, s24
	v_add_co_u32_e32 v3, vcc, s23, v3
	v_addc_co_u32_e32 v4, vcc, v1, v4, vcc
	global_load_dword v1, v[3:4], off
	v_mov_b32_e32 v4, 0
	s_waitcnt vmcnt(0)
	v_cmp_class_f16_e64 s[28:29], v1, s25
	s_and_saveexec_b64 s[20:21], s[28:29]
; %bb.12:                               ;   in Loop: Header=BB6_5 Depth=1
	v_cmp_class_f16_sdwa s[28:29], v1, s25 src0_sel:WORD_1 src1_sel:DWORD
	v_cndmask_b32_e64 v4, 0, 1, s[28:29]
; %bb.13:                               ;   in Loop: Header=BB6_5 Depth=1
	s_or_b64 exec, exec, s[20:21]
.LBB6_14:                               ;   in Loop: Header=BB6_5 Depth=1
	s_or_b64 exec, exec, s[18:19]
.LBB6_15:                               ;   in Loop: Header=BB6_5 Depth=1
	s_or_b64 exec, exec, s[16:17]
.LBB6_16:                               ;   in Loop: Header=BB6_5 Depth=1
	s_or_b64 exec, exec, s[14:15]
.LBB6_17:                               ;   in Loop: Header=BB6_5 Depth=1
	s_or_b64 exec, exec, s[8:9]
.LBB6_18:                               ;   in Loop: Header=BB6_5 Depth=1
	s_or_b64 exec, exec, s[2:3]
	v_and_b32_e32 v1, 0x60, v7
	v_add_u32_e32 v9, 32, v1
	v_xor_b32_e32 v1, 16, v7
	v_cmp_lt_i32_e32 vcc, v1, v9
	v_cndmask_b32_e32 v1, v7, v1, vcc
	v_lshlrev_b32_e32 v1, 2, v1
	ds_bpermute_b32 v3, v1, v4
	v_cmp_ne_u32_e32 vcc, 0, v4
	v_xor_b32_e32 v11, 1, v7
	s_waitcnt lgkmcnt(0)
	v_cmp_ne_u32_e64 s[2:3], 0, v3
	v_xor_b32_e32 v3, 8, v7
	s_and_b64 s[2:3], vcc, s[2:3]
	v_cmp_lt_i32_e32 vcc, v3, v9
	v_cndmask_b32_e32 v3, v7, v3, vcc
	v_cndmask_b32_e64 v4, 0, 1, s[2:3]
	v_lshlrev_b32_e32 v3, 2, v3
	ds_bpermute_b32 v4, v3, v4
	s_waitcnt lgkmcnt(0)
	v_cmp_ne_u32_e32 vcc, 0, v4
	v_xor_b32_e32 v4, 4, v7
	s_and_b64 s[2:3], vcc, s[2:3]
	v_cmp_lt_i32_e32 vcc, v4, v9
	v_cndmask_b32_e32 v4, v7, v4, vcc
	v_cndmask_b32_e64 v8, 0, 1, s[2:3]
	v_lshlrev_b32_e32 v4, 2, v4
	ds_bpermute_b32 v8, v4, v8
	s_waitcnt lgkmcnt(0)
	v_cmp_ne_u32_e32 vcc, 0, v8
	;; [unrolled: 9-line block ×3, first 2 shown]
	s_and_b64 s[2:3], vcc, s[2:3]
	v_cmp_lt_i32_e32 vcc, v11, v9
	v_cndmask_b32_e32 v9, v7, v11, vcc
	v_cndmask_b32_e64 v10, 0, 1, s[2:3]
	v_lshlrev_b32_e32 v9, 2, v9
	ds_bpermute_b32 v10, v9, v10
	s_and_saveexec_b64 s[8:9], s[0:1]
	s_cbranch_execz .LBB6_3
; %bb.19:                               ;   in Loop: Header=BB6_5 Depth=1
	s_waitcnt lgkmcnt(0)
	v_cmp_ne_u32_e32 vcc, 0, v10
	s_and_b64 s[2:3], vcc, s[2:3]
	v_cndmask_b32_e64 v10, 0, 1, s[2:3]
	ds_write_b32 v5, v10
	s_branch .LBB6_3
.LBB6_20:
	s_or_b64 exec, exec, s[4:5]
	v_cmp_eq_u32_e32 vcc, 0, v0
	s_and_saveexec_b64 s[0:1], vcc
	s_cbranch_execz .LBB6_22
; %bb.21:
	s_mul_i32 s0, s22, s7
	s_add_i32 s0, s0, s6
	s_ashr_i32 s1, s0, 31
	s_lshl_b64 s[0:1], s[0:1], 2
	s_add_u32 s0, s10, s0
	s_addc_u32 s1, s11, s1
	v_mov_b32_e32 v0, 0
	global_store_dword v0, v1, s[0:1]
.LBB6_22:
	s_endpgm
	.section	.rodata,"a",@progbits
	.p2align	6, 0x0
	.amdhsa_kernel _ZL25flash_attn_mask_to_KV_maxILi4EEvPK7__half2Piiii
		.amdhsa_group_segment_fixed_size 128
		.amdhsa_private_segment_fixed_size 0
		.amdhsa_kernarg_size 288
		.amdhsa_user_sgpr_count 6
		.amdhsa_user_sgpr_private_segment_buffer 1
		.amdhsa_user_sgpr_dispatch_ptr 0
		.amdhsa_user_sgpr_queue_ptr 0
		.amdhsa_user_sgpr_kernarg_segment_ptr 1
		.amdhsa_user_sgpr_dispatch_id 0
		.amdhsa_user_sgpr_flat_scratch_init 0
		.amdhsa_user_sgpr_private_segment_size 0
		.amdhsa_uses_dynamic_stack 0
		.amdhsa_system_sgpr_private_segment_wavefront_offset 0
		.amdhsa_system_sgpr_workgroup_id_x 1
		.amdhsa_system_sgpr_workgroup_id_y 1
		.amdhsa_system_sgpr_workgroup_id_z 0
		.amdhsa_system_sgpr_workgroup_info 0
		.amdhsa_system_vgpr_workitem_id 0
		.amdhsa_next_free_vgpr 12
		.amdhsa_next_free_sgpr 30
		.amdhsa_reserve_vcc 1
		.amdhsa_reserve_flat_scratch 0
		.amdhsa_float_round_mode_32 0
		.amdhsa_float_round_mode_16_64 0
		.amdhsa_float_denorm_mode_32 3
		.amdhsa_float_denorm_mode_16_64 3
		.amdhsa_dx10_clamp 1
		.amdhsa_ieee_mode 1
		.amdhsa_fp16_overflow 0
		.amdhsa_exception_fp_ieee_invalid_op 0
		.amdhsa_exception_fp_denorm_src 0
		.amdhsa_exception_fp_ieee_div_zero 0
		.amdhsa_exception_fp_ieee_overflow 0
		.amdhsa_exception_fp_ieee_underflow 0
		.amdhsa_exception_fp_ieee_inexact 0
		.amdhsa_exception_int_div_zero 0
	.end_amdhsa_kernel
	.section	.text._ZL25flash_attn_mask_to_KV_maxILi4EEvPK7__half2Piiii,"axG",@progbits,_ZL25flash_attn_mask_to_KV_maxILi4EEvPK7__half2Piiii,comdat
.Lfunc_end6:
	.size	_ZL25flash_attn_mask_to_KV_maxILi4EEvPK7__half2Piiii, .Lfunc_end6-_ZL25flash_attn_mask_to_KV_maxILi4EEvPK7__half2Piiii
                                        ; -- End function
	.set _ZL25flash_attn_mask_to_KV_maxILi4EEvPK7__half2Piiii.num_vgpr, 12
	.set _ZL25flash_attn_mask_to_KV_maxILi4EEvPK7__half2Piiii.num_agpr, 0
	.set _ZL25flash_attn_mask_to_KV_maxILi4EEvPK7__half2Piiii.numbered_sgpr, 30
	.set _ZL25flash_attn_mask_to_KV_maxILi4EEvPK7__half2Piiii.num_named_barrier, 0
	.set _ZL25flash_attn_mask_to_KV_maxILi4EEvPK7__half2Piiii.private_seg_size, 0
	.set _ZL25flash_attn_mask_to_KV_maxILi4EEvPK7__half2Piiii.uses_vcc, 1
	.set _ZL25flash_attn_mask_to_KV_maxILi4EEvPK7__half2Piiii.uses_flat_scratch, 0
	.set _ZL25flash_attn_mask_to_KV_maxILi4EEvPK7__half2Piiii.has_dyn_sized_stack, 0
	.set _ZL25flash_attn_mask_to_KV_maxILi4EEvPK7__half2Piiii.has_recursion, 0
	.set _ZL25flash_attn_mask_to_KV_maxILi4EEvPK7__half2Piiii.has_indirect_call, 0
	.section	.AMDGPU.csdata,"",@progbits
; Kernel info:
; codeLenInByte = 1008
; TotalNumSgprs: 34
; NumVgprs: 12
; ScratchSize: 0
; MemoryBound: 0
; FloatMode: 240
; IeeeMode: 1
; LDSByteSize: 128 bytes/workgroup (compile time only)
; SGPRBlocks: 4
; VGPRBlocks: 2
; NumSGPRsForWavesPerEU: 34
; NumVGPRsForWavesPerEU: 12
; Occupancy: 10
; WaveLimiterHint : 0
; COMPUTE_PGM_RSRC2:SCRATCH_EN: 0
; COMPUTE_PGM_RSRC2:USER_SGPR: 6
; COMPUTE_PGM_RSRC2:TRAP_HANDLER: 0
; COMPUTE_PGM_RSRC2:TGID_X_EN: 1
; COMPUTE_PGM_RSRC2:TGID_Y_EN: 1
; COMPUTE_PGM_RSRC2:TGID_Z_EN: 0
; COMPUTE_PGM_RSRC2:TIDIG_COMP_CNT: 0
	.section	.text._ZL33flash_attn_stream_k_fixup_uniformILi64ELi4ELi8EEvPfPK15HIP_vector_typeIfLj2EEiiiiiiS1_IjLj3EES5_S5_,"axG",@progbits,_ZL33flash_attn_stream_k_fixup_uniformILi64ELi4ELi8EEvPfPK15HIP_vector_typeIfLj2EEiiiiiiS1_IjLj3EES5_S5_,comdat
	.globl	_ZL33flash_attn_stream_k_fixup_uniformILi64ELi4ELi8EEvPfPK15HIP_vector_typeIfLj2EEiiiiiiS1_IjLj3EES5_S5_ ; -- Begin function _ZL33flash_attn_stream_k_fixup_uniformILi64ELi4ELi8EEvPfPK15HIP_vector_typeIfLj2EEiiiiiiS1_IjLj3EES5_S5_
	.p2align	8
	.type	_ZL33flash_attn_stream_k_fixup_uniformILi64ELi4ELi8EEvPfPK15HIP_vector_typeIfLj2EEiiiiiiS1_IjLj3EES5_S5_,@function
_ZL33flash_attn_stream_k_fixup_uniformILi64ELi4ELi8EEvPfPK15HIP_vector_typeIfLj2EEiiiiiiS1_IjLj3EES5_S5_: ; @_ZL33flash_attn_stream_k_fixup_uniformILi64ELi4ELi8EEvPfPK15HIP_vector_typeIfLj2EEiiiiiiS1_IjLj3EES5_S5_
; %bb.0:
	s_load_dwordx8 s[12:19], s[4:5], 0x1c
	s_load_dwordx2 s[10:11], s[4:5], 0x10
	s_load_dwordx4 s[0:3], s[4:5], 0x3c
	s_waitcnt lgkmcnt(0)
	s_mul_hi_u32 s9, s15, s6
	s_add_i32 s9, s6, s9
	s_lshr_b32 s9, s9, s16
	s_mul_i32 s15, s9, s17
	s_sub_i32 s15, s6, s15
	s_mul_hi_u32 s16, s15, s18
	s_add_i32 s16, s15, s16
	s_lshr_b32 s16, s16, s19
	s_mul_i32 s0, s16, s0
	s_sub_i32 s0, s15, s0
	;; [unrolled: 5-line block ×3, first 2 shown]
	s_lshl_b32 s0, s17, 2
	s_lshl_b32 s15, s1, 3
	s_add_i32 s0, s0, s7
	s_cmp_lt_i32 s0, s10
	s_cselect_b64 s[0:1], -1, 0
	s_add_i32 s2, s15, s8
	s_cmp_lt_i32 s2, s13
	s_cselect_b64 s[2:3], -1, 0
	s_and_b64 s[0:1], s[0:1], s[2:3]
	s_andn2_b64 vcc, exec, s[0:1]
	s_cbranch_vccnz .LBB7_6
; %bb.1:
	s_load_dwordx4 s[0:3], s[4:5], 0x0
	s_mul_i32 s4, s9, s10
	s_add_i32 s4, s4, s7
	s_mul_i32 s4, s4, s11
	s_mul_i32 s16, s16, s13
	s_add_i32 s4, s4, s8
	s_add_i32 s4, s4, s16
	s_mul_i32 s5, s11, s17
	s_add_i32 s4, s4, s15
	s_lshl_b32 s5, s5, 8
	s_lshl_b32 s4, s4, 6
	s_add_i32 s5, s5, s4
	v_or_b32_e32 v1, s5, v0
	v_ashrrev_i32_e32 v2, 31, v1
	v_lshlrev_b64 v[1:2], 2, v[1:2]
	s_waitcnt lgkmcnt(0)
	v_mov_b32_e32 v3, s1
	v_add_co_u32_e32 v1, vcc, s0, v1
	v_addc_co_u32_e32 v2, vcc, v3, v2, vcc
	global_load_dword v8, v[1:2], off
	s_mul_i32 s9, s14, s6
	s_lshl_b32 s4, s7, 3
	s_add_i32 s11, s9, s14
	s_add_i32 s0, s4, s8
	s_lshl_b32 s1, s11, 5
	s_add_i32 s0, s0, s1
	s_sub_i32 s0, s0, 32
	s_ashr_i32 s1, s0, 31
	s_lshl_b64 s[0:1], s[0:1], 3
	s_add_u32 s0, s2, s0
	s_addc_u32 s1, s3, s1
	s_load_dword s5, s[0:1], 0x4
	s_add_i32 s10, s11, -2
	s_cmp_lt_i32 s10, s9
	s_cbranch_scc1 .LBB7_4
; %bb.2:
	s_lshl_b32 s16, s12, 7
	s_ashr_i32 s17, s16, 31
	s_lshl_b64 s[16:17], s[16:17], 2
	s_add_u32 s10, s2, s16
	s_addc_u32 s13, s3, s17
	s_add_i32 s6, s6, 1
	s_load_dword s0, s[0:1], 0x0
	s_mul_i32 s1, s14, s6
	s_lshl_b32 s7, s7, 9
	s_lshl_b32 s14, s8, 6
	;; [unrolled: 1-line block ×3, first 2 shown]
	s_add_i32 s7, s14, s7
	s_lshl_b32 s1, s1, 5
	s_add_i32 s7, s7, s6
	s_add_i32 s1, s8, s1
	s_lshl_b32 s6, s12, 5
	s_add_i32 s1, s1, s6
	v_or_b32_e32 v0, s7, v0
	s_add_i32 s1, s1, s4
	s_add_i32 s11, s11, -1
	v_add_u32_e32 v3, 0xfffff000, v0
	s_sub_i32 s4, s1, 64
	s_waitcnt lgkmcnt(0)
	v_mov_b32_e32 v7, s5
	v_mov_b32_e32 v6, s0
	v_mov_b32_e32 v0, s13
	s_mov_b32 s6, 0x3fb8aa3b
	s_mov_b32 s7, 0xc2ce8ed0
	;; [unrolled: 1-line block ×3, first 2 shown]
	v_mov_b32_e32 v5, 0x7f800000
	s_mov_b32 s12, 0xc1a00000
.LBB7_3:                                ; =>This Inner Loop Header: Depth=1
	v_ashrrev_i32_e32 v4, 31, v3
	v_lshlrev_b64 v[9:10], 2, v[3:4]
	s_ashr_i32 s5, s4, 31
	v_add_co_u32_e32 v9, vcc, s10, v9
	v_addc_co_u32_e32 v10, vcc, v0, v10, vcc
	global_load_dword v4, v[9:10], off
	s_lshl_b64 s[0:1], s[4:5], 3
	s_add_u32 s0, s2, s0
	s_addc_u32 s1, s3, s1
	s_load_dwordx2 s[14:15], s[0:1], 0x0
	s_waitcnt vmcnt(1)
	v_mov_b32_e32 v9, v8
	v_max_f32_e32 v8, v6, v6
	v_mov_b32_e32 v10, v7
	s_add_i32 s11, s11, -1
	s_waitcnt lgkmcnt(0)
	v_max_f32_e64 v7, s14, s14
	v_max_f32_e32 v7, v8, v7
	v_sub_f32_e32 v11, s14, v7
	v_sub_f32_e32 v8, v6, v7
	v_mul_f32_e32 v12, 0x3fb8aa3b, v11
	v_mov_b32_e32 v6, v7
	v_mul_f32_e32 v7, 0x3fb8aa3b, v8
	v_fma_f32 v15, v11, s6, -v12
	v_rndne_f32_e32 v16, v12
	v_fma_f32 v13, v8, s6, -v7
	v_rndne_f32_e32 v14, v7
	v_fmac_f32_e32 v15, 0x32a5705f, v11
	v_sub_f32_e32 v12, v12, v16
	v_fmac_f32_e32 v13, 0x32a5705f, v8
	v_sub_f32_e32 v7, v7, v14
	v_add_f32_e32 v12, v12, v15
	v_cvt_i32_f32_e32 v16, v16
	v_add_f32_e32 v7, v7, v13
	v_exp_f32_e32 v12, v12
	v_cvt_i32_f32_e32 v14, v14
	v_exp_f32_e32 v7, v7
	v_cmp_ngt_f32_e32 vcc, s7, v11
	v_ldexp_f32 v12, v12, v16
	v_cmp_ngt_f32_e64 s[0:1], s7, v8
	v_ldexp_f32 v7, v7, v14
	v_cndmask_b32_e32 v12, 0, v12, vcc
	v_cmp_nlt_f32_e32 vcc, s8, v11
	v_cndmask_b32_e64 v7, 0, v7, s[0:1]
	v_cmp_nlt_f32_e64 s[0:1], s8, v8
	v_cndmask_b32_e32 v12, v5, v12, vcc
	v_cmp_le_f32_e32 vcc, s12, v11
	v_cndmask_b32_e64 v7, v5, v7, s[0:1]
	v_cmp_le_f32_e64 s[0:1], s12, v8
	v_cndmask_b32_e32 v8, 0, v12, vcc
	s_sub_i32 s4, s4, 32
	v_cndmask_b32_e64 v11, 0, v7, s[0:1]
	v_mul_f32_e32 v7, s15, v8
	v_add_u32_e32 v3, 0xfffff800, v3
	s_cmp_le_i32 s11, s9
	v_fmac_f32_e32 v7, v10, v11
	s_waitcnt vmcnt(0)
	v_mul_f32_e32 v8, v4, v8
	v_fmac_f32_e32 v8, v9, v11
	s_cbranch_scc0 .LBB7_3
	s_branch .LBB7_5
.LBB7_4:
	s_waitcnt lgkmcnt(0)
	v_mov_b32_e32 v7, s5
.LBB7_5:
	s_waitcnt vmcnt(0)
	v_div_scale_f32 v0, s[0:1], v7, v7, v8
	v_div_scale_f32 v3, vcc, v8, v7, v8
	v_rcp_f32_e32 v4, v0
	v_fma_f32 v5, -v0, v4, 1.0
	v_fmac_f32_e32 v4, v5, v4
	v_mul_f32_e32 v5, v3, v4
	v_fma_f32 v6, -v0, v5, v3
	v_fmac_f32_e32 v5, v6, v4
	v_fma_f32 v0, -v0, v5, v3
	v_div_fmas_f32 v0, v0, v4, v5
	v_div_fixup_f32 v0, v0, v7, v8
	global_store_dword v[1:2], v0, off
.LBB7_6:
	s_endpgm
	.section	.rodata,"a",@progbits
	.p2align	6, 0x0
	.amdhsa_kernel _ZL33flash_attn_stream_k_fixup_uniformILi64ELi4ELi8EEvPfPK15HIP_vector_typeIfLj2EEiiiiiiS1_IjLj3EES5_S5_
		.amdhsa_group_segment_fixed_size 0
		.amdhsa_private_segment_fixed_size 0
		.amdhsa_kernarg_size 76
		.amdhsa_user_sgpr_count 6
		.amdhsa_user_sgpr_private_segment_buffer 1
		.amdhsa_user_sgpr_dispatch_ptr 0
		.amdhsa_user_sgpr_queue_ptr 0
		.amdhsa_user_sgpr_kernarg_segment_ptr 1
		.amdhsa_user_sgpr_dispatch_id 0
		.amdhsa_user_sgpr_flat_scratch_init 0
		.amdhsa_user_sgpr_private_segment_size 0
		.amdhsa_uses_dynamic_stack 0
		.amdhsa_system_sgpr_private_segment_wavefront_offset 0
		.amdhsa_system_sgpr_workgroup_id_x 1
		.amdhsa_system_sgpr_workgroup_id_y 1
		.amdhsa_system_sgpr_workgroup_id_z 1
		.amdhsa_system_sgpr_workgroup_info 0
		.amdhsa_system_vgpr_workitem_id 0
		.amdhsa_next_free_vgpr 17
		.amdhsa_next_free_sgpr 20
		.amdhsa_reserve_vcc 1
		.amdhsa_reserve_flat_scratch 0
		.amdhsa_float_round_mode_32 0
		.amdhsa_float_round_mode_16_64 0
		.amdhsa_float_denorm_mode_32 3
		.amdhsa_float_denorm_mode_16_64 3
		.amdhsa_dx10_clamp 1
		.amdhsa_ieee_mode 1
		.amdhsa_fp16_overflow 0
		.amdhsa_exception_fp_ieee_invalid_op 0
		.amdhsa_exception_fp_denorm_src 0
		.amdhsa_exception_fp_ieee_div_zero 0
		.amdhsa_exception_fp_ieee_overflow 0
		.amdhsa_exception_fp_ieee_underflow 0
		.amdhsa_exception_fp_ieee_inexact 0
		.amdhsa_exception_int_div_zero 0
	.end_amdhsa_kernel
	.section	.text._ZL33flash_attn_stream_k_fixup_uniformILi64ELi4ELi8EEvPfPK15HIP_vector_typeIfLj2EEiiiiiiS1_IjLj3EES5_S5_,"axG",@progbits,_ZL33flash_attn_stream_k_fixup_uniformILi64ELi4ELi8EEvPfPK15HIP_vector_typeIfLj2EEiiiiiiS1_IjLj3EES5_S5_,comdat
.Lfunc_end7:
	.size	_ZL33flash_attn_stream_k_fixup_uniformILi64ELi4ELi8EEvPfPK15HIP_vector_typeIfLj2EEiiiiiiS1_IjLj3EES5_S5_, .Lfunc_end7-_ZL33flash_attn_stream_k_fixup_uniformILi64ELi4ELi8EEvPfPK15HIP_vector_typeIfLj2EEiiiiiiS1_IjLj3EES5_S5_
                                        ; -- End function
	.set _ZL33flash_attn_stream_k_fixup_uniformILi64ELi4ELi8EEvPfPK15HIP_vector_typeIfLj2EEiiiiiiS1_IjLj3EES5_S5_.num_vgpr, 17
	.set _ZL33flash_attn_stream_k_fixup_uniformILi64ELi4ELi8EEvPfPK15HIP_vector_typeIfLj2EEiiiiiiS1_IjLj3EES5_S5_.num_agpr, 0
	.set _ZL33flash_attn_stream_k_fixup_uniformILi64ELi4ELi8EEvPfPK15HIP_vector_typeIfLj2EEiiiiiiS1_IjLj3EES5_S5_.numbered_sgpr, 20
	.set _ZL33flash_attn_stream_k_fixup_uniformILi64ELi4ELi8EEvPfPK15HIP_vector_typeIfLj2EEiiiiiiS1_IjLj3EES5_S5_.num_named_barrier, 0
	.set _ZL33flash_attn_stream_k_fixup_uniformILi64ELi4ELi8EEvPfPK15HIP_vector_typeIfLj2EEiiiiiiS1_IjLj3EES5_S5_.private_seg_size, 0
	.set _ZL33flash_attn_stream_k_fixup_uniformILi64ELi4ELi8EEvPfPK15HIP_vector_typeIfLj2EEiiiiiiS1_IjLj3EES5_S5_.uses_vcc, 1
	.set _ZL33flash_attn_stream_k_fixup_uniformILi64ELi4ELi8EEvPfPK15HIP_vector_typeIfLj2EEiiiiiiS1_IjLj3EES5_S5_.uses_flat_scratch, 0
	.set _ZL33flash_attn_stream_k_fixup_uniformILi64ELi4ELi8EEvPfPK15HIP_vector_typeIfLj2EEiiiiiiS1_IjLj3EES5_S5_.has_dyn_sized_stack, 0
	.set _ZL33flash_attn_stream_k_fixup_uniformILi64ELi4ELi8EEvPfPK15HIP_vector_typeIfLj2EEiiiiiiS1_IjLj3EES5_S5_.has_recursion, 0
	.set _ZL33flash_attn_stream_k_fixup_uniformILi64ELi4ELi8EEvPfPK15HIP_vector_typeIfLj2EEiiiiiiS1_IjLj3EES5_S5_.has_indirect_call, 0
	.section	.AMDGPU.csdata,"",@progbits
; Kernel info:
; codeLenInByte = 856
; TotalNumSgprs: 24
; NumVgprs: 17
; ScratchSize: 0
; MemoryBound: 0
; FloatMode: 240
; IeeeMode: 1
; LDSByteSize: 0 bytes/workgroup (compile time only)
; SGPRBlocks: 2
; VGPRBlocks: 4
; NumSGPRsForWavesPerEU: 24
; NumVGPRsForWavesPerEU: 17
; Occupancy: 10
; WaveLimiterHint : 0
; COMPUTE_PGM_RSRC2:SCRATCH_EN: 0
; COMPUTE_PGM_RSRC2:USER_SGPR: 6
; COMPUTE_PGM_RSRC2:TRAP_HANDLER: 0
; COMPUTE_PGM_RSRC2:TGID_X_EN: 1
; COMPUTE_PGM_RSRC2:TGID_Y_EN: 1
; COMPUTE_PGM_RSRC2:TGID_Z_EN: 1
; COMPUTE_PGM_RSRC2:TIDIG_COMP_CNT: 0
	.section	.text._ZL33flash_attn_stream_k_fixup_generalILi64ELi4ELi8EEvPfPK15HIP_vector_typeIfLj2EEiiiiS1_IjLj3EES5_S5_S5_,"axG",@progbits,_ZL33flash_attn_stream_k_fixup_generalILi64ELi4ELi8EEvPfPK15HIP_vector_typeIfLj2EEiiiiS1_IjLj3EES5_S5_S5_,comdat
	.globl	_ZL33flash_attn_stream_k_fixup_generalILi64ELi4ELi8EEvPfPK15HIP_vector_typeIfLj2EEiiiiS1_IjLj3EES5_S5_S5_ ; -- Begin function _ZL33flash_attn_stream_k_fixup_generalILi64ELi4ELi8EEvPfPK15HIP_vector_typeIfLj2EEiiiiS1_IjLj3EES5_S5_S5_
	.p2align	8
	.type	_ZL33flash_attn_stream_k_fixup_generalILi64ELi4ELi8EEvPfPK15HIP_vector_typeIfLj2EEiiiiS1_IjLj3EES5_S5_S5_,@function
_ZL33flash_attn_stream_k_fixup_generalILi64ELi4ELi8EEvPfPK15HIP_vector_typeIfLj2EEiiiiS1_IjLj3EES5_S5_S5_: ; @_ZL33flash_attn_stream_k_fixup_generalILi64ELi4ELi8EEvPfPK15HIP_vector_typeIfLj2EEiiiiS1_IjLj3EES5_S5_S5_
; %bb.0:
	s_load_dwordx4 s[0:3], s[4:5], 0x10
	s_load_dword s22, s[4:5], 0x50
	s_mov_b32 s12, 0
	s_waitcnt lgkmcnt(0)
	s_mul_hi_i32 s13, s3, s6
	s_cmp_lg_u64 s[12:13], 0
	s_mul_i32 s9, s3, s6
	s_cbranch_scc0 .LBB8_20
; %bb.1:
	s_add_u32 s10, s22, 0
	s_addc_u32 s11, 0, 0
	s_xor_b64 s[10:11], s[10:11], 0
	v_cvt_f32_u32_e32 v1, s10
	v_cvt_f32_u32_e32 v2, s11
	s_sub_u32 s12, 0, s10
	s_subb_u32 s18, 0, s11
	v_madmk_f32 v1, v2, 0x4f800000, v1
	v_rcp_f32_e32 v1, v1
	v_mul_f32_e32 v1, 0x5f7ffffc, v1
	v_mul_f32_e32 v2, 0x2f800000, v1
	v_trunc_f32_e32 v2, v2
	v_madmk_f32 v1, v2, 0xcf800000, v1
	v_cvt_u32_f32_e32 v2, v2
	v_cvt_u32_f32_e32 v1, v1
	v_readfirstlane_b32 s19, v2
	v_readfirstlane_b32 s14, v1
	s_mul_i32 s15, s12, s19
	s_mul_hi_u32 s21, s12, s14
	s_mul_i32 s20, s18, s14
	s_add_i32 s15, s21, s15
	s_add_i32 s15, s15, s20
	s_mul_i32 s23, s12, s14
	s_mul_i32 s21, s14, s15
	s_mul_hi_u32 s24, s14, s23
	s_mul_hi_u32 s20, s14, s15
	s_add_u32 s21, s24, s21
	s_addc_u32 s20, 0, s20
	s_mul_hi_u32 s25, s19, s23
	s_mul_i32 s23, s19, s23
	s_add_u32 s21, s21, s23
	s_mul_hi_u32 s24, s19, s15
	s_addc_u32 s20, s20, s25
	s_addc_u32 s21, s24, 0
	s_mul_i32 s15, s19, s15
	s_add_u32 s15, s20, s15
	s_addc_u32 s20, 0, s21
	s_add_u32 s21, s14, s15
	s_cselect_b64 s[14:15], -1, 0
	s_cmp_lg_u64 s[14:15], 0
	s_addc_u32 s19, s19, s20
	s_mul_i32 s14, s12, s19
	s_mul_hi_u32 s15, s12, s21
	s_add_i32 s14, s15, s14
	s_mul_i32 s18, s18, s21
	s_add_i32 s14, s14, s18
	s_mul_i32 s12, s12, s21
	s_mul_hi_u32 s18, s19, s12
	s_mul_i32 s20, s19, s12
	s_mul_i32 s24, s21, s14
	s_mul_hi_u32 s12, s21, s12
	s_mul_hi_u32 s23, s21, s14
	s_add_u32 s12, s12, s24
	s_addc_u32 s23, 0, s23
	s_add_u32 s12, s12, s20
	s_mul_hi_u32 s15, s19, s14
	s_addc_u32 s12, s23, s18
	s_addc_u32 s15, s15, 0
	s_mul_i32 s14, s19, s14
	s_add_u32 s12, s12, s14
	s_addc_u32 s18, 0, s15
	s_add_u32 s20, s21, s12
	s_cselect_b64 s[14:15], -1, 0
	s_cmp_lg_u64 s[14:15], 0
	s_addc_u32 s18, s19, s18
	s_ashr_i32 s14, s13, 31
	s_add_u32 s12, s9, s14
	s_mov_b32 s15, s14
	s_addc_u32 s13, s13, s14
	s_xor_b64 s[12:13], s[12:13], s[14:15]
	s_mul_i32 s21, s12, s18
	s_mul_hi_u32 s23, s12, s20
	s_mul_hi_u32 s19, s12, s18
	s_add_u32 s21, s23, s21
	s_addc_u32 s19, 0, s19
	s_mul_hi_u32 s24, s13, s20
	s_mul_i32 s20, s13, s20
	s_add_u32 s20, s21, s20
	s_mul_hi_u32 s23, s13, s18
	s_addc_u32 s19, s19, s24
	s_addc_u32 s20, s23, 0
	s_mul_i32 s18, s13, s18
	s_add_u32 s23, s19, s18
	s_addc_u32 s24, 0, s20
	s_mul_i32 s18, s10, s24
	s_mul_hi_u32 s19, s10, s23
	s_add_i32 s18, s19, s18
	s_mul_i32 s19, s11, s23
	s_add_i32 s25, s18, s19
	s_sub_i32 s20, s13, s25
	s_mul_i32 s18, s10, s23
	s_sub_u32 s12, s12, s18
	s_cselect_b64 s[18:19], -1, 0
	s_cmp_lg_u64 s[18:19], 0
	s_subb_u32 s26, s20, s11
	s_sub_u32 s27, s12, s10
	s_cselect_b64 s[20:21], -1, 0
	s_cmp_lg_u64 s[20:21], 0
	s_subb_u32 s20, s26, 0
	s_cmp_ge_u32 s20, s11
	s_cselect_b32 s21, -1, 0
	s_cmp_ge_u32 s27, s10
	s_cselect_b32 s26, -1, 0
	s_cmp_eq_u32 s20, s11
	s_cselect_b32 s20, s26, s21
	s_add_u32 s21, s23, 1
	s_addc_u32 s26, s24, 0
	s_add_u32 s27, s23, 2
	s_addc_u32 s28, s24, 0
	s_cmp_lg_u32 s20, 0
	s_cselect_b32 s20, s27, s21
	s_cselect_b32 s21, s28, s26
	s_cmp_lg_u64 s[18:19], 0
	s_subb_u32 s13, s13, s25
	s_cmp_ge_u32 s13, s11
	s_cselect_b32 s18, -1, 0
	s_cmp_ge_u32 s12, s10
	s_cselect_b32 s10, -1, 0
	s_cmp_eq_u32 s13, s11
	s_cselect_b32 s10, s10, s18
	s_cmp_lg_u32 s10, 0
	s_cselect_b32 s11, s21, s24
	s_cselect_b32 s10, s20, s23
	s_xor_b64 s[12:13], s[14:15], 0
	s_xor_b64 s[10:11], s[10:11], s[12:13]
	s_sub_u32 s10, s10, s12
	s_load_dwordx4 s[12:15], s[4:5], 0x44
	s_cbranch_execnz .LBB8_3
.LBB8_2:
	v_cvt_f32_u32_e32 v1, s22
	s_sub_i32 s10, 0, s22
	v_rcp_iflag_f32_e32 v1, v1
	v_mul_f32_e32 v1, 0x4f7ffffe, v1
	v_cvt_u32_f32_e32 v1, v1
	v_readfirstlane_b32 s11, v1
	s_mul_i32 s10, s10, s11
	s_mul_hi_u32 s10, s11, s10
	s_add_i32 s11, s11, s10
	s_mul_hi_u32 s10, s9, s11
	s_waitcnt lgkmcnt(0)
	s_mul_i32 s15, s10, s22
	s_sub_i32 s9, s9, s15
	s_add_i32 s11, s10, 1
	s_sub_i32 s15, s9, s22
	s_cmp_ge_u32 s9, s22
	s_cselect_b32 s10, s11, s10
	s_cselect_b32 s9, s15, s9
	s_add_i32 s11, s10, 1
	s_cmp_ge_u32 s9, s22
	s_cselect_b32 s10, s11, s10
.LBB8_3:
	s_add_i32 s9, s6, 1
	s_mul_hi_i32 s21, s3, s9
	s_mov_b32 s20, 0
	s_cmp_lg_u64 s[20:21], 0
	s_mul_i32 s9, s3, s9
	s_cbranch_scc0 .LBB8_21
; %bb.4:
	s_add_u32 s16, s22, 0
	s_addc_u32 s17, 0, 0
	s_xor_b64 s[18:19], s[16:17], 0
	v_cvt_f32_u32_e32 v1, s18
	v_cvt_f32_u32_e32 v2, s19
	s_sub_u32 s11, 0, s18
	s_waitcnt lgkmcnt(0)
	s_subb_u32 s15, 0, s19
	v_madmk_f32 v1, v2, 0x4f800000, v1
	v_rcp_f32_e32 v1, v1
	v_mul_f32_e32 v1, 0x5f7ffffc, v1
	v_mul_f32_e32 v2, 0x2f800000, v1
	v_trunc_f32_e32 v2, v2
	v_madmk_f32 v1, v2, 0xcf800000, v1
	v_cvt_u32_f32_e32 v2, v2
	v_cvt_u32_f32_e32 v1, v1
	v_readfirstlane_b32 s20, v2
	v_readfirstlane_b32 s23, v1
	s_mul_i32 s24, s11, s20
	s_mul_hi_u32 s26, s11, s23
	s_mul_i32 s25, s15, s23
	s_add_i32 s24, s26, s24
	s_add_i32 s24, s24, s25
	s_mul_i32 s27, s11, s23
	s_mul_i32 s26, s23, s24
	s_mul_hi_u32 s28, s23, s27
	s_mul_hi_u32 s25, s23, s24
	s_add_u32 s26, s28, s26
	s_addc_u32 s25, 0, s25
	s_mul_hi_u32 s29, s20, s27
	s_mul_i32 s27, s20, s27
	s_add_u32 s26, s26, s27
	s_mul_hi_u32 s28, s20, s24
	s_addc_u32 s25, s25, s29
	s_addc_u32 s26, s28, 0
	s_mul_i32 s24, s20, s24
	s_add_u32 s24, s25, s24
	s_addc_u32 s26, 0, s26
	s_add_u32 s23, s23, s24
	s_cselect_b64 s[24:25], -1, 0
	s_cmp_lg_u64 s[24:25], 0
	s_addc_u32 s20, s20, s26
	s_mul_i32 s24, s11, s20
	s_mul_hi_u32 s25, s11, s23
	s_add_i32 s24, s25, s24
	s_mul_i32 s15, s15, s23
	s_add_i32 s24, s24, s15
	s_mul_i32 s11, s11, s23
	s_mul_hi_u32 s25, s20, s11
	s_mul_i32 s26, s20, s11
	s_mul_i32 s28, s23, s24
	s_mul_hi_u32 s11, s23, s11
	s_mul_hi_u32 s27, s23, s24
	s_add_u32 s11, s11, s28
	s_addc_u32 s27, 0, s27
	s_add_u32 s11, s11, s26
	s_mul_hi_u32 s15, s20, s24
	s_addc_u32 s11, s27, s25
	s_addc_u32 s15, s15, 0
	s_mul_i32 s24, s20, s24
	s_add_u32 s11, s11, s24
	s_addc_u32 s15, 0, s15
	s_add_u32 s11, s23, s11
	s_cselect_b64 s[24:25], -1, 0
	s_cmp_lg_u64 s[24:25], 0
	s_addc_u32 s15, s20, s15
	s_ashr_i32 s24, s21, 31
	s_add_u32 s20, s9, s24
	s_mov_b32 s25, s24
	s_addc_u32 s21, s21, s24
	s_xor_b64 s[20:21], s[20:21], s[24:25]
	s_mul_i32 s26, s20, s15
	s_mul_hi_u32 s27, s20, s11
	s_mul_hi_u32 s23, s20, s15
	s_add_u32 s26, s27, s26
	s_addc_u32 s23, 0, s23
	s_mul_hi_u32 s28, s21, s11
	s_mul_i32 s11, s21, s11
	s_add_u32 s11, s26, s11
	s_mul_hi_u32 s27, s21, s15
	s_addc_u32 s11, s23, s28
	s_addc_u32 s23, s27, 0
	s_mul_i32 s15, s21, s15
	s_add_u32 s11, s11, s15
	s_addc_u32 s15, 0, s23
	s_mul_i32 s23, s18, s15
	s_mul_hi_u32 s26, s18, s11
	s_add_i32 s23, s26, s23
	s_mul_i32 s26, s19, s11
	s_add_i32 s23, s23, s26
	s_sub_i32 s28, s21, s23
	s_mul_i32 s26, s18, s11
	s_sub_u32 s20, s20, s26
	s_cselect_b64 s[26:27], -1, 0
	s_cmp_lg_u64 s[26:27], 0
	s_subb_u32 s30, s28, s19
	s_sub_u32 s31, s20, s18
	s_cselect_b64 s[28:29], -1, 0
	s_cmp_lg_u64 s[28:29], 0
	s_subb_u32 s28, s30, 0
	s_cmp_ge_u32 s28, s19
	s_cselect_b32 s29, -1, 0
	s_cmp_ge_u32 s31, s18
	s_cselect_b32 s30, -1, 0
	s_cmp_eq_u32 s28, s19
	s_cselect_b32 s28, s30, s29
	s_add_u32 s29, s11, 1
	s_addc_u32 s30, s15, 0
	s_add_u32 s31, s11, 2
	s_addc_u32 s33, s15, 0
	s_cmp_lg_u32 s28, 0
	s_cselect_b32 s28, s31, s29
	s_cselect_b32 s29, s33, s30
	s_cmp_lg_u64 s[26:27], 0
	s_subb_u32 s21, s21, s23
	s_cmp_ge_u32 s21, s19
	s_cselect_b32 s23, -1, 0
	s_cmp_ge_u32 s20, s18
	s_cselect_b32 s18, -1, 0
	s_cmp_eq_u32 s21, s19
	s_cselect_b32 s18, s18, s23
	s_cmp_lg_u32 s18, 0
	s_cselect_b32 s19, s29, s15
	s_cselect_b32 s18, s28, s11
	s_xor_b64 s[20:21], s[24:25], 0
	s_xor_b64 s[18:19], s[18:19], s[20:21]
	s_sub_u32 s18, s18, s20
	s_cbranch_execnz .LBB8_6
.LBB8_5:
	v_cvt_f32_u32_e32 v1, s22
	s_sub_i32 s11, 0, s22
	v_rcp_iflag_f32_e32 v1, v1
	v_mul_f32_e32 v1, 0x4f7ffffe, v1
	v_cvt_u32_f32_e32 v1, v1
	s_waitcnt lgkmcnt(0)
	v_readfirstlane_b32 s15, v1
	s_mul_i32 s11, s11, s15
	s_mul_hi_u32 s11, s15, s11
	s_add_i32 s15, s15, s11
	s_mul_hi_u32 s11, s9, s15
	s_mul_i32 s16, s11, s22
	s_sub_i32 s9, s9, s16
	s_add_i32 s15, s11, 1
	s_sub_i32 s16, s9, s22
	s_cmp_ge_u32 s9, s22
	s_cselect_b32 s11, s15, s11
	s_cselect_b32 s9, s16, s9
	s_add_i32 s15, s11, 1
	s_cmp_ge_u32 s9, s22
	s_cselect_b32 s18, s15, s11
.LBB8_6:
	s_cmp_eq_u32 s10, s18
	s_waitcnt lgkmcnt(0)
	s_mul_hi_u32 s9, s10, s12
	s_cselect_b64 s[16:17], -1, 0
	s_add_i32 s9, s9, s10
	s_lshr_b32 s11, s9, s13
	s_mul_i32 s9, s11, s14
	s_cmp_eq_u32 s9, s10
	s_mul_hi_u32 s9, s18, s12
	s_cselect_b64 s[20:21], -1, 0
	s_add_i32 s9, s9, s18
	s_lshr_b32 s9, s9, s13
	s_cmp_eq_u32 s11, s9
	s_mul_i32 s9, s9, s14
	s_cselect_b64 s[24:25], -1, 0
	s_cmp_lg_u32 s9, s18
	s_cselect_b64 s[18:19], -1, 0
	s_and_b64 s[18:19], s[24:25], s[18:19]
	s_or_b64 s[16:17], s[16:17], s[20:21]
	s_or_b64 s[16:17], s[16:17], s[18:19]
	s_and_b64 vcc, exec, s[16:17]
	s_cbranch_vccnz .LBB8_23
; %bb.7:
	s_load_dwordx8 s[24:31], s[4:5], 0x20
	s_load_dword s15, s[4:5], 0x40
	s_waitcnt lgkmcnt(0)
	s_mul_hi_u32 s9, s10, s24
	s_add_i32 s9, s9, s10
	s_lshr_b32 s9, s9, s25
	s_mul_i32 s16, s9, s26
	s_sub_i32 s16, s10, s16
	s_mul_hi_u32 s17, s16, s27
	s_add_i32 s17, s16, s17
	s_lshr_b32 s23, s17, s28
	s_mul_i32 s17, s23, s29
	s_sub_i32 s16, s16, s17
	;; [unrolled: 5-line block ×3, first 2 shown]
	s_mul_hi_u32 s16, s15, s12
	s_add_i32 s15, s15, s16
	s_lshr_b32 s25, s15, s13
	s_lshl_b32 s15, s25, 2
	s_lshl_b32 s24, s17, 3
	s_add_i32 s15, s15, s7
	s_cmp_lt_i32 s15, s0
	s_cselect_b64 s[16:17], -1, 0
	s_add_i32 s15, s24, s8
	s_cmp_lt_i32 s15, s2
	s_cselect_b64 s[18:19], -1, 0
	s_and_b64 s[16:17], s[16:17], s[18:19]
	s_andn2_b64 vcc, exec, s[16:17]
	s_cbranch_vccnz .LBB8_23
; %bb.8:
	s_load_dwordx4 s[16:19], s[4:5], 0x0
	s_mov_b32 s4, 0
	s_lshl_b32 s15, s7, 3
	s_lshl_b32 s20, s22, 7
	s_mov_b32 s21, s4
	s_add_i32 s15, s15, s8
	s_lshl_b64 s[20:21], s[20:21], 2
	s_waitcnt lgkmcnt(0)
	s_add_u32 s20, s18, s20
	s_mul_i32 s0, s9, s0
	s_addc_u32 s21, s19, s21
	s_add_i32 s0, s0, s7
	s_mul_i32 s0, s0, s1
	s_mul_i32 s23, s23, s2
	s_add_i32 s0, s0, s8
	s_add_i32 s0, s0, s23
	s_mul_i32 s2, s1, s25
	s_add_i32 s0, s0, s24
	s_lshl_b32 s2, s2, 8
	s_lshl_b32 s0, s0, 6
	s_add_i32 s2, s2, s0
	v_or_b32_e32 v1, s2, v0
	v_ashrrev_i32_e32 v2, 31, v1
	v_lshlrev_b64 v[1:2], 2, v[1:2]
	v_mov_b32_e32 v3, s17
	v_add_co_u32_e32 v1, vcc, s16, v1
	v_addc_co_u32_e32 v2, vcc, v3, v2, vcc
	global_load_dword v3, v[1:2], off
	v_cvt_f32_u32_e32 v4, s22
	s_lshl_b32 s0, s6, 5
	s_add_i32 s0, s15, s0
	s_ashr_i32 s1, s0, 31
	s_lshl_b64 s[0:1], s[0:1], 3
	v_rcp_iflag_f32_e32 v4, v4
	s_add_u32 s0, s18, s0
	s_addc_u32 s1, s19, s1
	s_load_dwordx2 s[0:1], s[0:1], 0x0
	v_mul_f32_e32 v4, 0x4f7ffffe, v4
	v_cvt_u32_f32_e32 v4, v4
	s_add_i32 s24, s6, -1
	v_lshl_or_b32 v0, s15, 6, v0
	s_waitcnt lgkmcnt(0)
	v_mov_b32_e32 v6, s1
	v_mov_b32_e32 v7, s0
	s_mov_b32 s2, 0x3fb8aa3b
	s_mov_b32 s16, 0xc2ce8ed0
	;; [unrolled: 1-line block ×4, first 2 shown]
	v_mov_b32_e32 v5, 0x7f800000
	s_mul_hi_i32 s5, s24, s3
	s_cmp_lg_u64 s[4:5], 0
	s_mul_i32 s8, s24, s3
	s_cbranch_scc0 .LBB8_19
.LBB8_9:
	s_add_u32 s0, s22, 0
	s_addc_u32 s1, 0, 0
	s_xor_b64 s[0:1], s[0:1], 0
	v_cvt_f32_u32_e32 v8, s0
	v_cvt_f32_u32_e32 v9, s1
	s_sub_u32 s9, 0, s0
	s_subb_u32 s25, 0, s1
	v_mac_f32_e32 v8, 0x4f800000, v9
	v_rcp_f32_e32 v8, v8
	v_mul_f32_e32 v8, 0x5f7ffffc, v8
	v_mul_f32_e32 v9, 0x2f800000, v8
	v_trunc_f32_e32 v9, v9
	v_mac_f32_e32 v8, 0xcf800000, v9
	v_cvt_u32_f32_e32 v9, v9
	v_cvt_u32_f32_e32 v8, v8
	v_readfirstlane_b32 s26, v9
	v_readfirstlane_b32 s6, v8
	s_mul_i32 s7, s9, s26
	s_mul_hi_u32 s28, s9, s6
	s_mul_i32 s27, s25, s6
	s_add_i32 s7, s28, s7
	s_mul_i32 s29, s9, s6
	s_add_i32 s7, s7, s27
	s_mul_i32 s28, s6, s7
	s_mul_hi_u32 s30, s6, s29
	s_mul_hi_u32 s27, s6, s7
	s_add_u32 s28, s30, s28
	s_addc_u32 s27, 0, s27
	s_mul_hi_u32 s31, s26, s29
	s_mul_i32 s29, s26, s29
	s_add_u32 s28, s28, s29
	s_mul_hi_u32 s30, s26, s7
	s_addc_u32 s27, s27, s31
	s_addc_u32 s28, s30, 0
	s_mul_i32 s7, s26, s7
	s_add_u32 s7, s27, s7
	s_addc_u32 s27, 0, s28
	s_add_u32 s28, s6, s7
	s_cselect_b64 s[6:7], -1, 0
	s_cmp_lg_u64 s[6:7], 0
	s_addc_u32 s26, s26, s27
	s_mul_i32 s6, s9, s26
	s_mul_hi_u32 s7, s9, s28
	s_add_i32 s6, s7, s6
	s_mul_i32 s25, s25, s28
	s_add_i32 s6, s6, s25
	s_mul_i32 s9, s9, s28
	s_mul_hi_u32 s25, s26, s9
	s_mul_i32 s27, s26, s9
	s_mul_i32 s30, s28, s6
	s_mul_hi_u32 s9, s28, s9
	s_mul_hi_u32 s29, s28, s6
	s_add_u32 s9, s9, s30
	s_addc_u32 s29, 0, s29
	s_add_u32 s9, s9, s27
	s_mul_hi_u32 s7, s26, s6
	s_addc_u32 s9, s29, s25
	s_addc_u32 s7, s7, 0
	s_mul_i32 s6, s26, s6
	s_add_u32 s6, s9, s6
	s_addc_u32 s9, 0, s7
	s_add_u32 s25, s28, s6
	s_cselect_b64 s[6:7], -1, 0
	s_cmp_lg_u64 s[6:7], 0
	s_addc_u32 s9, s26, s9
	s_ashr_i32 s6, s5, 31
	s_add_u32 s26, s8, s6
	s_mov_b32 s7, s6
	s_addc_u32 s27, s5, s6
	s_xor_b64 s[26:27], s[26:27], s[6:7]
	s_mul_i32 s28, s26, s9
	s_mul_hi_u32 s29, s26, s25
	s_mul_hi_u32 s5, s26, s9
	s_add_u32 s28, s29, s28
	s_addc_u32 s5, 0, s5
	s_mul_hi_u32 s30, s27, s25
	s_mul_i32 s25, s27, s25
	s_add_u32 s25, s28, s25
	s_mul_hi_u32 s29, s27, s9
	s_addc_u32 s5, s5, s30
	s_addc_u32 s25, s29, 0
	s_mul_i32 s9, s27, s9
	s_add_u32 s5, s5, s9
	s_addc_u32 s9, 0, s25
	s_mul_i32 s25, s0, s9
	s_mul_hi_u32 s28, s0, s5
	s_add_i32 s25, s28, s25
	s_mul_i32 s28, s1, s5
	s_add_i32 s25, s25, s28
	s_sub_i32 s30, s27, s25
	s_mul_i32 s28, s0, s5
	s_sub_u32 s26, s26, s28
	s_cselect_b64 s[28:29], -1, 0
	s_cmp_lg_u64 s[28:29], 0
	s_subb_u32 s33, s30, s1
	s_sub_u32 s34, s26, s0
	s_cselect_b64 s[30:31], -1, 0
	s_cmp_lg_u64 s[30:31], 0
	s_subb_u32 s30, s33, 0
	s_cmp_ge_u32 s30, s1
	s_cselect_b32 s31, -1, 0
	s_cmp_ge_u32 s34, s0
	s_cselect_b32 s33, -1, 0
	s_cmp_eq_u32 s30, s1
	s_cselect_b32 s30, s33, s31
	s_add_u32 s31, s5, 1
	s_addc_u32 s33, s9, 0
	s_add_u32 s34, s5, 2
	s_addc_u32 s35, s9, 0
	s_cmp_lg_u32 s30, 0
	s_cselect_b32 s30, s34, s31
	s_cselect_b32 s31, s35, s33
	s_cmp_lg_u64 s[28:29], 0
	s_subb_u32 s25, s27, s25
	s_cmp_ge_u32 s25, s1
	s_cselect_b32 s27, -1, 0
	s_cmp_ge_u32 s26, s0
	s_cselect_b32 s0, -1, 0
	s_cmp_eq_u32 s25, s1
	s_cselect_b32 s0, s0, s27
	s_cmp_lg_u32 s0, 0
	s_cselect_b32 s1, s31, s9
	s_cselect_b32 s0, s30, s5
	s_xor_b64 s[6:7], s[6:7], 0
	s_xor_b64 s[0:1], s[0:1], s[6:7]
	s_sub_u32 s6, s0, s6
	s_cbranch_execnz .LBB8_11
.LBB8_10:
	s_sub_i32 s0, 0, s22
	v_readfirstlane_b32 s1, v4
	s_mul_i32 s0, s0, s1
	s_mul_hi_u32 s0, s1, s0
	s_add_i32 s1, s1, s0
	s_mul_hi_u32 s0, s8, s1
	s_mul_i32 s5, s0, s22
	s_sub_i32 s5, s8, s5
	s_add_i32 s1, s0, 1
	s_sub_i32 s6, s5, s22
	s_cmp_ge_u32 s5, s22
	s_cselect_b32 s0, s1, s0
	s_cselect_b32 s5, s6, s5
	s_add_i32 s1, s0, 1
	s_cmp_ge_u32 s5, s22
	s_cselect_b32 s6, s1, s0
.LBB8_11:
	s_cmp_lg_u32 s10, s6
	s_mov_b64 s[8:9], -1
                                        ; implicit-def: $sgpr0_sgpr1
                                        ; implicit-def: $vgpr10
                                        ; implicit-def: $vgpr8
                                        ; implicit-def: $vgpr9
                                        ; implicit-def: $sgpr5
                                        ; implicit-def: $sgpr7
	s_cbranch_scc1 .LBB8_14
; %bb.12:
	s_andn2_b64 vcc, exec, s[8:9]
	s_cbranch_vccz .LBB8_17
.LBB8_13:
	s_andn2_b64 vcc, exec, s[0:1]
	s_cbranch_vccnz .LBB8_18
	s_branch .LBB8_22
.LBB8_14:
	s_add_i32 s0, s24, s22
	s_lshl_b32 s0, s0, 5
	s_add_i32 s0, s0, s15
	s_mov_b32 s1, s4
	s_lshl_b64 s[0:1], s[0:1], 3
	s_add_u32 s8, s18, s0
	s_mul_hi_u32 s0, s6, s12
	s_addc_u32 s9, s19, s1
	s_add_i32 s0, s0, s6
	s_lshr_b32 s5, s0, s13
	s_mul_i32 s0, s5, s14
	s_cmp_eq_u32 s0, s6
	s_cselect_b64 s[0:1], -1, 0
	s_cmp_lt_u32 s5, s11
	s_cselect_b64 s[26:27], -1, 0
	s_or_b64 s[26:27], s[26:27], s[0:1]
	s_mov_b64 s[0:1], -1
	s_and_b64 vcc, exec, s[26:27]
	s_mov_b32 s5, s24
	s_mov_b32 s7, s10
	s_cbranch_vccnz .LBB8_16
; %bb.15:
	s_add_i32 s5, s24, -1
	s_mov_b64 s[0:1], 0
	s_mov_b32 s7, s6
.LBB8_16:
	v_lshl_add_u32 v8, s24, 11, v0
	v_ashrrev_i32_e32 v9, 31, v8
	v_lshlrev_b64 v[8:9], 2, v[8:9]
	v_mov_b32_e32 v10, s21
	v_add_co_u32_e32 v8, vcc, s20, v8
	v_addc_co_u32_e32 v9, vcc, v10, v9, vcc
	global_load_dword v10, v[8:9], off
	s_load_dwordx2 s[8:9], s[8:9], 0x0
	v_max_f32_e32 v8, v7, v7
	s_waitcnt lgkmcnt(0)
	v_max_f32_e64 v9, s8, s8
	v_max_f32_e32 v8, v8, v9
	v_sub_f32_e32 v9, v7, v8
	v_sub_f32_e32 v11, s8, v8
	v_mul_f32_e32 v12, 0x3fb8aa3b, v9
	v_mul_f32_e32 v13, 0x3fb8aa3b, v11
	v_fma_f32 v14, v9, s2, -v12
	v_rndne_f32_e32 v15, v12
	v_fma_f32 v16, v11, s2, -v13
	v_rndne_f32_e32 v17, v13
	v_fmac_f32_e32 v14, 0x32a5705f, v9
	v_sub_f32_e32 v12, v12, v15
	v_fmac_f32_e32 v16, 0x32a5705f, v11
	v_sub_f32_e32 v13, v13, v17
	v_add_f32_e32 v12, v12, v14
	v_cvt_i32_f32_e32 v15, v15
	v_add_f32_e32 v13, v13, v16
	v_exp_f32_e32 v12, v12
	v_cvt_i32_f32_e32 v17, v17
	v_exp_f32_e32 v13, v13
	v_cmp_ngt_f32_e32 vcc, s16, v9
	v_ldexp_f32 v12, v12, v15
	v_cndmask_b32_e32 v12, 0, v12, vcc
	v_ldexp_f32 v13, v13, v17
	v_cmp_ngt_f32_e32 vcc, s16, v11
	v_cndmask_b32_e32 v13, 0, v13, vcc
	v_cmp_nlt_f32_e32 vcc, s17, v9
	v_cndmask_b32_e32 v12, v5, v12, vcc
	v_cmp_nlt_f32_e32 vcc, s17, v11
	v_cndmask_b32_e32 v13, v5, v13, vcc
	v_cmp_le_f32_e32 vcc, s23, v9
	v_cndmask_b32_e32 v12, 0, v12, vcc
	v_cmp_le_f32_e32 vcc, s23, v11
	v_cndmask_b32_e32 v11, 0, v13, vcc
	v_mul_f32_e32 v9, s9, v11
	v_fmac_f32_e32 v9, v6, v12
	s_waitcnt vmcnt(0)
	v_mul_f32_e32 v10, v10, v11
	v_fmac_f32_e32 v10, v3, v12
	s_cbranch_execnz .LBB8_13
.LBB8_17:
	s_add_i32 s5, s24, -1
	s_mov_b32 s7, s10
	v_mov_b32_e32 v9, v6
	v_mov_b32_e32 v8, v7
	s_waitcnt vmcnt(0)
	v_mov_b32_e32 v10, v3
	s_cbranch_execz .LBB8_22
.LBB8_18:
	s_mov_b32 s10, s7
	s_mov_b32 s24, s5
	v_mov_b32_e32 v6, v9
	v_mov_b32_e32 v7, v8
	s_waitcnt vmcnt(0)
	v_mov_b32_e32 v3, v10
	s_mul_hi_i32 s5, s24, s3
	s_cmp_lg_u64 s[4:5], 0
	s_mul_i32 s8, s24, s3
	s_cbranch_scc1 .LBB8_9
.LBB8_19:
                                        ; implicit-def: $sgpr6_sgpr7
	s_branch .LBB8_10
.LBB8_20:
                                        ; implicit-def: $sgpr10_sgpr11
	s_load_dwordx4 s[12:15], s[4:5], 0x44
	s_branch .LBB8_2
.LBB8_21:
                                        ; implicit-def: $sgpr18_sgpr19
	s_branch .LBB8_5
.LBB8_22:
	v_div_scale_f32 v0, s[0:1], v9, v9, v10
	s_waitcnt vmcnt(0)
	v_div_scale_f32 v3, vcc, v10, v9, v10
	v_rcp_f32_e32 v4, v0
	v_fma_f32 v5, -v0, v4, 1.0
	v_fmac_f32_e32 v4, v5, v4
	v_mul_f32_e32 v5, v3, v4
	v_fma_f32 v6, -v0, v5, v3
	v_fmac_f32_e32 v5, v6, v4
	v_fma_f32 v0, -v0, v5, v3
	v_div_fmas_f32 v0, v0, v4, v5
	v_div_fixup_f32 v0, v0, v9, v10
	global_store_dword v[1:2], v0, off
.LBB8_23:
	s_endpgm
	.section	.rodata,"a",@progbits
	.p2align	6, 0x0
	.amdhsa_kernel _ZL33flash_attn_stream_k_fixup_generalILi64ELi4ELi8EEvPfPK15HIP_vector_typeIfLj2EEiiiiS1_IjLj3EES5_S5_S5_
		.amdhsa_group_segment_fixed_size 0
		.amdhsa_private_segment_fixed_size 0
		.amdhsa_kernarg_size 336
		.amdhsa_user_sgpr_count 6
		.amdhsa_user_sgpr_private_segment_buffer 1
		.amdhsa_user_sgpr_dispatch_ptr 0
		.amdhsa_user_sgpr_queue_ptr 0
		.amdhsa_user_sgpr_kernarg_segment_ptr 1
		.amdhsa_user_sgpr_dispatch_id 0
		.amdhsa_user_sgpr_flat_scratch_init 0
		.amdhsa_user_sgpr_private_segment_size 0
		.amdhsa_uses_dynamic_stack 0
		.amdhsa_system_sgpr_private_segment_wavefront_offset 0
		.amdhsa_system_sgpr_workgroup_id_x 1
		.amdhsa_system_sgpr_workgroup_id_y 1
		.amdhsa_system_sgpr_workgroup_id_z 1
		.amdhsa_system_sgpr_workgroup_info 0
		.amdhsa_system_vgpr_workitem_id 0
		.amdhsa_next_free_vgpr 18
		.amdhsa_next_free_sgpr 36
		.amdhsa_reserve_vcc 1
		.amdhsa_reserve_flat_scratch 0
		.amdhsa_float_round_mode_32 0
		.amdhsa_float_round_mode_16_64 0
		.amdhsa_float_denorm_mode_32 3
		.amdhsa_float_denorm_mode_16_64 3
		.amdhsa_dx10_clamp 1
		.amdhsa_ieee_mode 1
		.amdhsa_fp16_overflow 0
		.amdhsa_exception_fp_ieee_invalid_op 0
		.amdhsa_exception_fp_denorm_src 0
		.amdhsa_exception_fp_ieee_div_zero 0
		.amdhsa_exception_fp_ieee_overflow 0
		.amdhsa_exception_fp_ieee_underflow 0
		.amdhsa_exception_fp_ieee_inexact 0
		.amdhsa_exception_int_div_zero 0
	.end_amdhsa_kernel
	.section	.text._ZL33flash_attn_stream_k_fixup_generalILi64ELi4ELi8EEvPfPK15HIP_vector_typeIfLj2EEiiiiS1_IjLj3EES5_S5_S5_,"axG",@progbits,_ZL33flash_attn_stream_k_fixup_generalILi64ELi4ELi8EEvPfPK15HIP_vector_typeIfLj2EEiiiiS1_IjLj3EES5_S5_S5_,comdat
.Lfunc_end8:
	.size	_ZL33flash_attn_stream_k_fixup_generalILi64ELi4ELi8EEvPfPK15HIP_vector_typeIfLj2EEiiiiS1_IjLj3EES5_S5_S5_, .Lfunc_end8-_ZL33flash_attn_stream_k_fixup_generalILi64ELi4ELi8EEvPfPK15HIP_vector_typeIfLj2EEiiiiS1_IjLj3EES5_S5_S5_
                                        ; -- End function
	.set _ZL33flash_attn_stream_k_fixup_generalILi64ELi4ELi8EEvPfPK15HIP_vector_typeIfLj2EEiiiiS1_IjLj3EES5_S5_S5_.num_vgpr, 18
	.set _ZL33flash_attn_stream_k_fixup_generalILi64ELi4ELi8EEvPfPK15HIP_vector_typeIfLj2EEiiiiS1_IjLj3EES5_S5_S5_.num_agpr, 0
	.set _ZL33flash_attn_stream_k_fixup_generalILi64ELi4ELi8EEvPfPK15HIP_vector_typeIfLj2EEiiiiS1_IjLj3EES5_S5_S5_.numbered_sgpr, 36
	.set _ZL33flash_attn_stream_k_fixup_generalILi64ELi4ELi8EEvPfPK15HIP_vector_typeIfLj2EEiiiiS1_IjLj3EES5_S5_S5_.num_named_barrier, 0
	.set _ZL33flash_attn_stream_k_fixup_generalILi64ELi4ELi8EEvPfPK15HIP_vector_typeIfLj2EEiiiiS1_IjLj3EES5_S5_S5_.private_seg_size, 0
	.set _ZL33flash_attn_stream_k_fixup_generalILi64ELi4ELi8EEvPfPK15HIP_vector_typeIfLj2EEiiiiS1_IjLj3EES5_S5_S5_.uses_vcc, 1
	.set _ZL33flash_attn_stream_k_fixup_generalILi64ELi4ELi8EEvPfPK15HIP_vector_typeIfLj2EEiiiiS1_IjLj3EES5_S5_S5_.uses_flat_scratch, 0
	.set _ZL33flash_attn_stream_k_fixup_generalILi64ELi4ELi8EEvPfPK15HIP_vector_typeIfLj2EEiiiiS1_IjLj3EES5_S5_S5_.has_dyn_sized_stack, 0
	.set _ZL33flash_attn_stream_k_fixup_generalILi64ELi4ELi8EEvPfPK15HIP_vector_typeIfLj2EEiiiiS1_IjLj3EES5_S5_S5_.has_recursion, 0
	.set _ZL33flash_attn_stream_k_fixup_generalILi64ELi4ELi8EEvPfPK15HIP_vector_typeIfLj2EEiiiiS1_IjLj3EES5_S5_S5_.has_indirect_call, 0
	.section	.AMDGPU.csdata,"",@progbits
; Kernel info:
; codeLenInByte = 2940
; TotalNumSgprs: 40
; NumVgprs: 18
; ScratchSize: 0
; MemoryBound: 0
; FloatMode: 240
; IeeeMode: 1
; LDSByteSize: 0 bytes/workgroup (compile time only)
; SGPRBlocks: 4
; VGPRBlocks: 4
; NumSGPRsForWavesPerEU: 40
; NumVGPRsForWavesPerEU: 18
; Occupancy: 10
; WaveLimiterHint : 0
; COMPUTE_PGM_RSRC2:SCRATCH_EN: 0
; COMPUTE_PGM_RSRC2:USER_SGPR: 6
; COMPUTE_PGM_RSRC2:TRAP_HANDLER: 0
; COMPUTE_PGM_RSRC2:TGID_X_EN: 1
; COMPUTE_PGM_RSRC2:TGID_Y_EN: 1
; COMPUTE_PGM_RSRC2:TGID_Z_EN: 1
; COMPUTE_PGM_RSRC2:TIDIG_COMP_CNT: 0
	.section	.text._ZL15flash_attn_tileILi64ELi64ELi2ELi8ELb0EEvPKcS1_S1_S1_S1_PKiPfP15HIP_vector_typeIfLj2EEffffjfiS5_IjLj3EEiiiiiiiiiiiliiliiiiil,"axG",@progbits,_ZL15flash_attn_tileILi64ELi64ELi2ELi8ELb0EEvPKcS1_S1_S1_S1_PKiPfP15HIP_vector_typeIfLj2EEffffjfiS5_IjLj3EEiiiiiiiiiiiliiliiiiil,comdat
	.globl	_ZL15flash_attn_tileILi64ELi64ELi2ELi8ELb0EEvPKcS1_S1_S1_S1_PKiPfP15HIP_vector_typeIfLj2EEffffjfiS5_IjLj3EEiiiiiiiiiiiliiliiiiil ; -- Begin function _ZL15flash_attn_tileILi64ELi64ELi2ELi8ELb0EEvPKcS1_S1_S1_S1_PKiPfP15HIP_vector_typeIfLj2EEffffjfiS5_IjLj3EEiiiiiiiiiiiliiliiiiil
	.p2align	8
	.type	_ZL15flash_attn_tileILi64ELi64ELi2ELi8ELb0EEvPKcS1_S1_S1_S1_PKiPfP15HIP_vector_typeIfLj2EEffffjfiS5_IjLj3EEiiiiiiiiiiiliiliiiiil,@function
_ZL15flash_attn_tileILi64ELi64ELi2ELi8ELb0EEvPKcS1_S1_S1_S1_PKiPfP15HIP_vector_typeIfLj2EEffffjfiS5_IjLj3EEiiiiiiiiiiiliiliiiiil: ; @_ZL15flash_attn_tileILi64ELi64ELi2ELi8ELb0EEvPKcS1_S1_S1_S1_PKiPfP15HIP_vector_typeIfLj2EEffffjfiS5_IjLj3EEiiiiiiiiiiiliiliiiiil
; %bb.0:
	s_load_dwordx4 s[0:3], s[4:5], 0x5c
	s_load_dwordx2 s[24:25], s[4:5], 0x80
	s_load_dwordx2 s[28:29], s[4:5], 0xb8
	s_mov_b64 s[26:27], 0
	s_waitcnt lgkmcnt(0)
	s_ashr_i32 s9, s3, 31
	s_lshr_b32 s9, s9, 29
	s_add_i32 s9, s3, s9
	s_ashr_i32 s9, s9, 3
	v_cvt_f32_u32_e32 v2, s9
	s_sub_i32 s10, 0, s9
	v_rcp_iflag_f32_e32 v2, v2
	v_mul_f32_e32 v2, 0x4f7ffffe, v2
	v_cvt_u32_f32_e32 v2, v2
	v_readfirstlane_b32 s11, v2
	s_mul_i32 s10, s10, s11
	s_mul_hi_u32 s10, s11, s10
	s_add_i32 s11, s11, s10
	s_mul_hi_u32 s10, s8, s11
	s_mul_i32 s11, s10, s9
	s_sub_i32 s11, s8, s11
	s_add_i32 s12, s10, 1
	s_sub_i32 s13, s11, s9
	s_cmp_ge_u32 s11, s9
	s_cselect_b32 s10, s12, s10
	s_cselect_b32 s11, s13, s11
	s_add_i32 s12, s10, 1
	s_cmp_ge_u32 s11, s9
	s_cselect_b32 s30, s12, s10
	s_abs_i32 s9, s25
	v_cvt_f32_u32_e32 v2, s9
	s_lshl_b32 s8, s8, 3
	s_mul_i32 s12, s30, s3
	s_xor_b32 s10, s3, s25
	v_rcp_iflag_f32_e32 v2, v2
	s_sub_i32 s13, 0, s9
	s_sub_i32 s25, s8, s12
	s_abs_i32 s11, s3
	v_mul_f32_e32 v2, 0x4f7ffffe, v2
	v_cvt_u32_f32_e32 v2, v2
	s_ashr_i32 s10, s10, 31
	v_readfirstlane_b32 s8, v2
	s_mul_i32 s13, s13, s8
	s_mul_hi_u32 s12, s8, s13
	s_add_i32 s8, s8, s12
	s_mul_hi_u32 s8, s11, s8
	s_mul_i32 s12, s8, s9
	s_sub_i32 s11, s11, s12
	s_add_i32 s13, s8, 1
	s_sub_i32 s12, s11, s9
	s_cmp_ge_u32 s11, s9
	s_cselect_b32 s8, s13, s8
	s_cselect_b32 s11, s12, s11
	s_add_i32 s12, s8, 1
	s_cmp_ge_u32 s11, s9
	s_cselect_b32 s8, s12, s8
	s_xor_b32 s8, s8, s10
	s_sub_i32 s33, s8, s10
	s_abs_i32 s31, s33
	v_cvt_f32_u32_e32 v2, s31
	s_load_dwordx16 s[8:23], s[4:5], 0x0
	v_rcp_iflag_f32_e32 v2, v2
	s_waitcnt lgkmcnt(0)
	s_cmp_eq_u64 s[14:15], 0
	v_mul_f32_e32 v2, 0x4f7ffffe, v2
	v_cvt_u32_f32_e32 v2, v2
	v_readfirstlane_b32 s34, v2
	s_cbranch_scc1 .LBB9_2
; %bb.1:
	s_abs_i32 s28, s28
	v_cvt_f32_u32_e32 v2, s28
	s_sub_i32 s37, 0, s28
	s_abs_i32 s36, s30
	s_ashr_i32 s35, s30, 31
	v_rcp_iflag_f32_e32 v2, v2
	s_load_dwordx2 s[26:27], s[4:5], 0xc8
	v_mul_f32_e32 v2, 0x4f7ffffe, v2
	v_cvt_u32_f32_e32 v2, v2
	v_readfirstlane_b32 s38, v2
	s_mul_i32 s37, s37, s38
	s_mul_hi_u32 s37, s38, s37
	s_add_i32 s38, s38, s37
	s_mul_hi_u32 s37, s36, s38
	s_mul_i32 s37, s37, s28
	s_sub_i32 s36, s36, s37
	s_sub_i32 s37, s36, s28
	s_cmp_ge_u32 s36, s28
	s_cselect_b32 s36, s37, s36
	s_sub_i32 s37, s36, s28
	s_cmp_ge_u32 s36, s28
	s_cselect_b32 s28, s37, s36
	s_xor_b32 s28, s28, s35
	s_sub_i32 s28, s28, s35
	s_ashr_i32 s35, s28, 31
	s_waitcnt lgkmcnt(0)
	s_mul_hi_u32 s36, s26, s28
	s_mul_i32 s35, s26, s35
	s_mul_i32 s27, s27, s28
	s_add_i32 s35, s36, s35
	s_add_i32 s35, s35, s27
	s_mul_i32 s26, s26, s28
	s_add_u32 s26, s14, s26
	s_addc_u32 s27, s15, s35
.LBB9_2:
	v_lshrrev_b32_e32 v2, 2, v1
	s_load_dwordx4 s[36:39], s[4:5], 0x70
	v_lshl_add_u32 v30, s6, 1, v2
	v_mul_hi_u32 v2, s0, v30
	v_lshlrev_b32_e32 v7, 1, v1
	v_and_b32_e32 v31, 6, v7
	s_waitcnt lgkmcnt(0)
	s_mul_i32 s0, s30, s38
	v_add_u32_e32 v2, v30, v2
	s_ashr_i32 s15, s0, 31
	v_lshrrev_b32_e32 v2, s1, v2
	s_mul_i32 s14, s25, s37
	s_add_u32 s0, s8, s0
	v_mul_lo_u32 v2, v2, s2
	s_addc_u32 s8, s9, s15
	s_ashr_i32 s9, s14, 31
	s_add_u32 s28, s0, s14
	s_addc_u32 s14, s8, s9
	s_ashr_i32 s1, s37, 31
	s_mov_b32 s0, s37
	s_ashr_i32 s37, s36, 31
	v_sub_u32_e32 v2, v30, v2
	s_lshr_b64 s[8:9], s[36:37], 2
	v_mad_u64_u32 v[3:4], s[8:9], s8, v2, 0
	s_lshr_b32 s8, s37, 2
	v_mov_b32_e32 v8, s14
	v_mad_u64_u32 v[4:5], s[8:9], s8, v2, v[4:5]
	s_lshr_b64 s[8:9], s[0:1], 2
	v_mad_u64_u32 v[5:6], s[14:15], s8, v31, 0
	v_lshlrev_b64 v[3:4], 2, v[3:4]
	s_lshr_b32 s9, s1, 2
	v_add_co_u32_e32 v9, vcc, s28, v3
	v_mov_b32_e32 v3, v6
	v_or_b32_e32 v12, 1, v7
	v_addc_co_u32_e32 v10, vcc, v8, v4, vcc
	v_mad_u64_u32 v[3:4], s[0:1], s9, v31, v[3:4]
	v_and_b32_e32 v13, 7, v12
	v_mad_u64_u32 v[7:8], s[0:1], s8, v13, 0
	v_mov_b32_e32 v6, v3
	v_lshlrev_b64 v[3:4], 2, v[5:6]
	v_mov_b32_e32 v5, v8
	v_lshlrev_b32_e32 v11, 3, v0
	v_mad_u64_u32 v[5:6], s[0:1], s9, v13, v[5:6]
	v_add_co_u32_e32 v11, vcc, v9, v11
	v_addc_co_u32_e32 v14, vcc, 0, v10, vcc
	v_add_co_u32_e32 v3, vcc, v11, v3
	v_addc_co_u32_e32 v4, vcc, v14, v4, vcc
	v_mov_b32_e32 v8, v5
	global_load_dwordx2 v[9:10], v[3:4], off
	v_lshlrev_b64 v[3:4], 2, v[7:8]
	s_load_dword s0, s[4:5], 0x40
	v_add_co_u32_e32 v3, vcc, v11, v3
	v_addc_co_u32_e32 v4, vcc, v14, v4, vcc
	global_load_dwordx2 v[4:5], v[3:4], off
	v_mov_b32_e32 v6, 0x5800
	v_lshlrev_b32_e32 v3, 8, v1
	v_lshl_or_b32 v6, v0, 2, v6
	v_add_u32_e32 v7, v6, v3
	s_cmp_eq_u64 s[18:19], 0
	v_lshl_add_u32 v6, v12, 7, v6
	s_waitcnt vmcnt(1) lgkmcnt(0)
	v_fma_mixlo_f16 v8, s0, v9, 0
	v_fma_mixlo_f16 v9, s0, v10, 0
	v_lshlrev_b32_e32 v9, 16, v9
	v_or_b32_sdwa v8, v9, v8 dst_sel:DWORD dst_unused:UNUSED_PAD src0_sel:DWORD src1_sel:WORD_0
	s_waitcnt vmcnt(0)
	v_fma_mixlo_f16 v5, s0, v5, 0
	v_fma_mixlo_f16 v4, s0, v4, 0
	v_lshlrev_b32_e32 v5, 16, v5
	v_or_b32_sdwa v4, v5, v4 dst_sel:DWORD dst_unused:UNUSED_PAD src0_sel:DWORD src1_sel:WORD_0
	ds_write_b32 v7, v8
	ds_write_b32 v6, v4
	s_waitcnt lgkmcnt(0)
	s_barrier
	s_cbranch_scc1 .LBB9_4
; %bb.3:
	s_load_dword s0, s[4:5], 0xd0
	s_mov_b32 s1, 0
	s_waitcnt lgkmcnt(0)
	s_mul_i32 s0, s0, s30
	s_add_i32 s0, s0, s6
	s_lshl_b64 s[0:1], s[0:1], 2
	s_add_u32 s0, s18, s0
	s_addc_u32 s1, s19, s1
	s_load_dword s24, s[0:1], 0x0
.LBB9_4:
	s_lshl_b32 s6, s7, 7
	s_waitcnt lgkmcnt(0)
	s_cmp_lt_i32 s6, s24
	v_mbcnt_lo_u32_b32 v4, -1, 0
	s_cbranch_scc1 .LBB9_7
; %bb.5:
	v_mbcnt_hi_u32_b32 v32, -1, v4
	v_and_b32_e32 v5, 0x60, v32
	v_add_u32_e32 v33, 32, v5
	v_xor_b32_e32 v38, 16, v32
	v_xor_b32_e32 v37, 8, v32
	;; [unrolled: 1-line block ×5, first 2 shown]
	s_cbranch_execz .LBB9_8
; %bb.6:
	v_mov_b32_e32 v72, 0
	v_mov_b32_e32 v46, 0
	;; [unrolled: 1-line block ×6, first 2 shown]
	s_branch .LBB9_10
.LBB9_7:
                                        ; implicit-def: $vgpr32
                                        ; implicit-def: $vgpr33
                                        ; implicit-def: $vgpr38
                                        ; implicit-def: $vgpr37
                                        ; implicit-def: $vgpr36
                                        ; implicit-def: $vgpr35
                                        ; implicit-def: $vgpr34
.LBB9_8:
	s_sub_i32 s0, 0, s31
	s_mul_i32 s0, s0, s34
	s_mul_hi_u32 s0, s34, s0
	s_add_i32 s34, s34, s0
	s_load_dwordx2 s[0:1], s[4:5], 0x8c
	s_load_dwordx4 s[36:39], s[4:5], 0x98
	s_abs_i32 s18, s25
	s_mul_hi_u32 s19, s18, s34
	s_ashr_i32 s28, s25, 31
	s_waitcnt lgkmcnt(0)
	s_ashr_i32 s9, s0, 2
	s_ashr_i32 s0, s30, 31
	s_mul_hi_u32 s34, s36, s30
	s_mul_i32 s35, s36, s0
	s_add_i32 s34, s34, s35
	s_mul_i32 s35, s37, s30
	s_ashr_i32 s33, s33, 31
	s_ashr_i32 s8, s38, 2
	;; [unrolled: 1-line block ×3, first 2 shown]
	s_add_i32 s34, s34, s35
	s_mul_i32 s35, s36, s30
	s_add_u32 s10, s10, s35
	s_addc_u32 s11, s11, s34
	s_xor_b32 s28, s28, s33
	s_mul_i32 s33, s19, s31
	s_sub_i32 s18, s18, s33
	s_add_i32 s33, s19, 1
	s_sub_i32 s34, s18, s31
	s_cmp_ge_u32 s18, s31
	s_cselect_b32 s19, s33, s19
	s_cselect_b32 s18, s34, s18
	s_add_i32 s33, s19, 1
	s_cmp_ge_u32 s18, s31
	s_load_dwordx2 s[14:15], s[4:5], 0xa8
	s_cselect_b32 s18, s33, s19
	s_xor_b32 s18, s18, s28
	s_sub_i32 s18, s18, s28
	s_mul_i32 s1, s18, s1
	s_ashr_i32 s19, s1, 31
	s_add_u32 s10, s10, s1
	s_waitcnt lgkmcnt(0)
	s_mul_hi_u32 s1, s14, s30
	s_mul_i32 s0, s14, s0
	s_addc_u32 s11, s11, s19
	s_add_i32 s0, s1, s0
	s_mul_i32 s1, s15, s30
	s_add_i32 s0, s0, s1
	s_mul_i32 s1, s14, s30
	v_lshrrev_b32_e32 v5, 3, v0
	s_add_u32 s1, s12, s1
	s_mul_i32 s18, s18, s39
	v_lshl_add_u32 v5, v1, 2, v5
	s_addc_u32 s0, s13, s0
	s_ashr_i32 s13, s18, 31
	v_lshlrev_b32_e32 v39, 2, v0
	v_mul_lo_u32 v6, s9, v5
	s_add_u32 s12, s1, s18
	v_and_b32_e32 v12, 28, v39
	s_addc_u32 s13, s0, s13
	v_lshlrev_b32_e32 v15, 2, v12
	s_movk_i32 s0, 0x90
	v_mad_u32_u24 v40, v5, s0, v15
	s_lshl_b32 s0, s9, 5
	v_add_u32_e32 v8, s0, v6
	v_add_u32_e32 v10, s0, v8
	;; [unrolled: 1-line block ×3, first 2 shown]
	v_mad_u64_u32 v[13:14], s[0:1], v2, s29, v[0:1]
	v_mul_lo_u32 v2, s8, v5
	s_lshl_b32 s0, s8, 5
	v_add_u32_e32 v44, 0x5800, v3
	v_mov_b32_e32 v3, 0x4800
	v_add_u32_e32 v24, s0, v2
	v_add_u32_e32 v26, s0, v24
	;; [unrolled: 1-line block ×3, first 2 shown]
	v_ashrrev_i32_e32 v7, 31, v6
	v_ashrrev_i32_e32 v9, 31, v8
	;; [unrolled: 1-line block ×4, first 2 shown]
	v_lshl_add_u32 v47, v1, 9, v3
	v_ashrrev_i32_e32 v3, 31, v2
	v_ashrrev_i32_e32 v25, 31, v24
	;; [unrolled: 1-line block ×4, first 2 shown]
	v_mbcnt_hi_u32_b32 v32, -1, v4
	v_lshl_or_b32 v48, v5, 7, v15
	s_add_u32 s0, s4, 0xd0
	v_lshlrev_b64 v[14:15], 2, v[6:7]
	v_lshlrev_b64 v[16:17], 2, v[8:9]
	;; [unrolled: 1-line block ×4, first 2 shown]
	v_and_b32_e32 v1, 0x60, v32
	v_lshlrev_b64 v[22:23], 2, v[2:3]
	v_lshlrev_b64 v[24:25], 2, v[24:25]
	;; [unrolled: 1-line block ×4, first 2 shown]
	v_mov_b32_e32 v71, 0
	v_add_u32_e32 v41, 0x1200, v40
	v_add_u32_e32 v42, 0x2400, v40
	;; [unrolled: 1-line block ×3, first 2 shown]
	v_mul_u32_u24_e32 v45, 0x90, v0
	v_add_u32_e32 v49, 0x1000, v48
	v_add_u32_e32 v50, 0x2000, v48
	;; [unrolled: 1-line block ×3, first 2 shown]
	s_addc_u32 s1, s5, 0
	v_mov_b32_e32 v5, 0xfeffffff
	v_lshlrev_b32_e32 v52, 2, v12
	v_add_u32_e32 v33, 32, v1
	v_xor_b32_e32 v38, 16, v32
	v_xor_b32_e32 v37, 8, v32
	;; [unrolled: 1-line block ×5, first 2 shown]
	v_mov_b32_e32 v53, s27
	s_mov_b32 s14, 0x3fb8aa3b
	s_mov_b32 s15, 0xc2ce8ed0
	;; [unrolled: 1-line block ×3, first 2 shown]
	v_mov_b32_e32 v54, 0x7f800000
	s_mov_b32 s19, 0x10001
	v_add_u32_e32 v55, v47, v39
	v_add_u32_e32 v56, 0x400, v39
	;; [unrolled: 1-line block ×16, first 2 shown]
	v_mov_b32_e32 v72, 0
	v_mov_b32_e32 v6, 0xfeffffff
	;; [unrolled: 1-line block ×4, first 2 shown]
.LBB9_9:                                ; =>This Inner Loop Header: Depth=1
	s_mul_hi_i32 s29, s6, s9
	s_mul_i32 s28, s6, s9
	s_lshl_b64 s[28:29], s[28:29], 2
	s_add_u32 s27, s10, s28
	s_addc_u32 s28, s11, s29
	v_add_co_u32_e32 v1, vcc, s27, v14
	v_mov_b32_e32 v2, s28
	v_addc_co_u32_e32 v2, vcc, v2, v15, vcc
	v_add_co_u32_e32 v1, vcc, v1, v52
	v_addc_co_u32_e32 v2, vcc, 0, v2, vcc
	global_load_dwordx4 v[1:4], v[1:2], off
	v_mov_b32_e32 v74, v11
	v_mov_b32_e32 v73, v6
	;; [unrolled: 1-line block ×5, first 2 shown]
	s_mul_hi_i32 s29, s6, s8
	s_waitcnt vmcnt(0)
	ds_write_b128 v40, v[1:4]
	v_add_co_u32_e32 v1, vcc, s27, v16
	v_mov_b32_e32 v2, s28
	v_addc_co_u32_e32 v2, vcc, v2, v17, vcc
	v_add_co_u32_e32 v1, vcc, v1, v52
	v_addc_co_u32_e32 v2, vcc, 0, v2, vcc
	global_load_dwordx4 v[1:4], v[1:2], off
	s_waitcnt vmcnt(0)
	ds_write_b128 v41, v[1:4]
	v_add_co_u32_e32 v1, vcc, s27, v18
	v_mov_b32_e32 v2, s28
	v_addc_co_u32_e32 v2, vcc, v2, v19, vcc
	v_add_co_u32_e32 v1, vcc, v1, v52
	v_addc_co_u32_e32 v2, vcc, 0, v2, vcc
	global_load_dwordx4 v[1:4], v[1:2], off
	;; [unrolled: 8-line block ×3, first 2 shown]
	v_cmp_lt_i32_e32 vcc, v38, v33
	s_mul_i32 s28, s6, s8
	s_lshl_b64 s[28:29], s[28:29], 2
	s_add_u32 s27, s12, s28
	s_addc_u32 s28, s13, s29
	s_waitcnt vmcnt(0)
	ds_write_b128 v43, v[1:4]
	s_waitcnt lgkmcnt(0)
	s_barrier
	ds_read_b128 v[78:81], v45
	ds_read_b128 v[82:85], v45 offset:4608
	ds_read_b128 v[86:89], v45 offset:9216
	;; [unrolled: 1-line block ×3, first 2 shown]
	ds_read_b128 v[9:12], v44
	ds_read_b128 v[5:8], v44 offset:128
	s_waitcnt lgkmcnt(1)
	;;#ASMSTART
	v_dot2_f32_f16 v77, v78, v9, v77
	;;#ASMEND
	;;#ASMSTART
	v_dot2_f32_f16 v77, v79, v10, v77
	;;#ASMEND
	;;#ASMSTART
	v_dot2_f32_f16 v77, v80, v11, v77
	;;#ASMEND
	;;#ASMSTART
	v_dot2_f32_f16 v77, v81, v12, v77
	;;#ASMEND
	s_waitcnt lgkmcnt(0)
	;;#ASMSTART
	v_dot2_f32_f16 v76, v78, v5, v76
	;;#ASMEND
	;;#ASMSTART
	v_dot2_f32_f16 v76, v79, v6, v76
	;;#ASMEND
	;;#ASMSTART
	v_dot2_f32_f16 v76, v80, v7, v76
	;;#ASMEND
	v_mov_b32_e32 v79, 0
	;;#ASMSTART
	v_dot2_f32_f16 v76, v81, v8, v76
	;;#ASMEND
	;;#ASMSTART
	v_dot2_f32_f16 v79, v82, v9, v79
	;;#ASMEND
	;;#ASMSTART
	v_dot2_f32_f16 v79, v83, v10, v79
	;;#ASMEND
	;;#ASMSTART
	v_dot2_f32_f16 v79, v84, v11, v79
	;;#ASMEND
	v_mov_b32_e32 v78, 0
	;;#ASMSTART
	v_dot2_f32_f16 v79, v85, v12, v79
	;;#ASMEND
	;; [unrolled: 13-line block ×6, first 2 shown]
	;;#ASMSTART
	v_dot2_f32_f16 v9, v1, v5, v9
	;;#ASMEND
	;;#ASMSTART
	v_dot2_f32_f16 v9, v2, v6, v9
	;;#ASMEND
	;; [unrolled: 3-line block ×4, first 2 shown]
	ds_read_b128 v[1:4], v45 offset:16
	ds_read_b128 v[5:8], v45 offset:4624
	;; [unrolled: 1-line block ×6, first 2 shown]
	s_waitcnt lgkmcnt(1)
	;;#ASMSTART
	v_dot2_f32_f16 v77, v1, v91, v77
	;;#ASMEND
	;;#ASMSTART
	v_dot2_f32_f16 v77, v2, v92, v77
	;;#ASMEND
	;; [unrolled: 3-line block ×4, first 2 shown]
	s_waitcnt lgkmcnt(0)
	;;#ASMSTART
	v_dot2_f32_f16 v76, v1, v95, v76
	;;#ASMEND
	;;#ASMSTART
	v_dot2_f32_f16 v76, v2, v96, v76
	;;#ASMEND
	;; [unrolled: 3-line block ×28, first 2 shown]
	ds_read_b128 v[1:4], v45 offset:32
	ds_read_b128 v[5:8], v45 offset:4640
	;; [unrolled: 1-line block ×6, first 2 shown]
	s_waitcnt lgkmcnt(1)
	;;#ASMSTART
	v_dot2_f32_f16 v77, v1, v91, v77
	;;#ASMEND
	;;#ASMSTART
	v_dot2_f32_f16 v77, v2, v92, v77
	;;#ASMEND
	;; [unrolled: 3-line block ×4, first 2 shown]
	s_waitcnt lgkmcnt(0)
	;;#ASMSTART
	v_dot2_f32_f16 v76, v1, v95, v76
	;;#ASMEND
	;;#ASMSTART
	v_dot2_f32_f16 v76, v2, v96, v76
	;;#ASMEND
	;; [unrolled: 3-line block ×28, first 2 shown]
	ds_read_b128 v[1:4], v45 offset:48
	ds_read_b128 v[5:8], v45 offset:4656
	;; [unrolled: 1-line block ×6, first 2 shown]
	s_waitcnt lgkmcnt(1)
	;;#ASMSTART
	v_dot2_f32_f16 v77, v1, v91, v77
	;;#ASMEND
	;;#ASMSTART
	v_dot2_f32_f16 v77, v2, v92, v77
	;;#ASMEND
	;; [unrolled: 3-line block ×4, first 2 shown]
	s_waitcnt lgkmcnt(0)
	;;#ASMSTART
	v_dot2_f32_f16 v76, v1, v95, v76
	;;#ASMEND
	;;#ASMSTART
	v_dot2_f32_f16 v76, v2, v96, v76
	;;#ASMEND
	;; [unrolled: 3-line block ×28, first 2 shown]
	ds_read_b128 v[1:4], v45 offset:64
	ds_read_b128 v[5:8], v45 offset:4672
	;; [unrolled: 1-line block ×6, first 2 shown]
	s_waitcnt lgkmcnt(1)
	;;#ASMSTART
	v_dot2_f32_f16 v77, v1, v91, v77
	;;#ASMEND
	;;#ASMSTART
	v_dot2_f32_f16 v77, v2, v92, v77
	;;#ASMEND
	;; [unrolled: 3-line block ×4, first 2 shown]
	s_waitcnt lgkmcnt(0)
	;;#ASMSTART
	v_dot2_f32_f16 v76, v1, v95, v76
	;;#ASMEND
	;;#ASMSTART
	v_dot2_f32_f16 v76, v2, v96, v76
	;;#ASMEND
	;; [unrolled: 3-line block ×28, first 2 shown]
	ds_read_b128 v[1:4], v45 offset:80
	ds_read_b128 v[5:8], v45 offset:4688
	;; [unrolled: 1-line block ×6, first 2 shown]
	s_waitcnt lgkmcnt(1)
	;;#ASMSTART
	v_dot2_f32_f16 v77, v1, v91, v77
	;;#ASMEND
	;;#ASMSTART
	v_dot2_f32_f16 v77, v2, v92, v77
	;;#ASMEND
	;; [unrolled: 3-line block ×4, first 2 shown]
	s_waitcnt lgkmcnt(0)
	;;#ASMSTART
	v_dot2_f32_f16 v76, v1, v95, v76
	;;#ASMEND
	;;#ASMSTART
	v_dot2_f32_f16 v76, v2, v96, v76
	;;#ASMEND
	;; [unrolled: 3-line block ×28, first 2 shown]
	ds_read_b128 v[1:4], v45 offset:96
	ds_read_b128 v[5:8], v45 offset:4704
	;; [unrolled: 1-line block ×6, first 2 shown]
	s_waitcnt lgkmcnt(1)
	;;#ASMSTART
	v_dot2_f32_f16 v77, v1, v91, v77
	;;#ASMEND
	;;#ASMSTART
	v_dot2_f32_f16 v77, v2, v92, v77
	;;#ASMEND
	;; [unrolled: 3-line block ×4, first 2 shown]
	s_waitcnt lgkmcnt(0)
	;;#ASMSTART
	v_dot2_f32_f16 v76, v1, v95, v76
	;;#ASMEND
	;;#ASMSTART
	v_dot2_f32_f16 v76, v2, v96, v76
	;;#ASMEND
	;;#ASMSTART
	v_dot2_f32_f16 v76, v3, v97, v76
	;;#ASMEND
	;;#ASMSTART
	v_dot2_f32_f16 v76, v4, v98, v76
	;;#ASMEND
	;;#ASMSTART
	v_dot2_f32_f16 v79, v5, v91, v79
	;;#ASMEND
	;;#ASMSTART
	v_dot2_f32_f16 v79, v6, v92, v79
	;;#ASMEND
	;;#ASMSTART
	v_dot2_f32_f16 v79, v7, v93, v79
	;;#ASMEND
	;;#ASMSTART
	v_dot2_f32_f16 v79, v8, v94, v79
	;;#ASMEND
	;;#ASMSTART
	v_dot2_f32_f16 v78, v5, v95, v78
	;;#ASMEND
	;;#ASMSTART
	v_dot2_f32_f16 v78, v6, v96, v78
	;;#ASMEND
	;;#ASMSTART
	v_dot2_f32_f16 v78, v7, v97, v78
	;;#ASMEND
	;;#ASMSTART
	v_dot2_f32_f16 v78, v8, v98, v78
	;;#ASMEND
	;;#ASMSTART
	v_dot2_f32_f16 v81, v83, v91, v81
	;;#ASMEND
	;;#ASMSTART
	v_dot2_f32_f16 v81, v84, v92, v81
	;;#ASMEND
	;;#ASMSTART
	v_dot2_f32_f16 v81, v85, v93, v81
	;;#ASMEND
	;;#ASMSTART
	v_dot2_f32_f16 v81, v86, v94, v81
	;;#ASMEND
	;;#ASMSTART
	v_dot2_f32_f16 v80, v83, v95, v80
	;;#ASMEND
	;;#ASMSTART
	v_dot2_f32_f16 v80, v84, v96, v80
	;;#ASMEND
	;;#ASMSTART
	v_dot2_f32_f16 v80, v85, v97, v80
	;;#ASMEND
	;;#ASMSTART
	v_dot2_f32_f16 v80, v86, v98, v80
	;;#ASMEND
	;;#ASMSTART
	v_dot2_f32_f16 v82, v87, v91, v82
	;;#ASMEND
	;;#ASMSTART
	v_dot2_f32_f16 v82, v88, v92, v82
	;;#ASMEND
	;;#ASMSTART
	v_dot2_f32_f16 v82, v89, v93, v82
	;;#ASMEND
	;;#ASMSTART
	v_dot2_f32_f16 v82, v90, v94, v82
	;;#ASMEND
	;;#ASMSTART
	v_dot2_f32_f16 v9, v87, v95, v9
	;;#ASMEND
	;;#ASMSTART
	v_dot2_f32_f16 v9, v88, v96, v9
	;;#ASMEND
	;;#ASMSTART
	v_dot2_f32_f16 v9, v89, v97, v9
	;;#ASMEND
	;;#ASMSTART
	v_dot2_f32_f16 v9, v90, v98, v9
	;;#ASMEND
	ds_read_b128 v[1:4], v45 offset:112
	ds_read_b128 v[5:8], v45 offset:4720
	ds_read_b128 v[83:86], v45 offset:9328
	ds_read_b128 v[87:90], v45 offset:13936
	ds_read_b128 v[91:94], v44 offset:112
	ds_read_b128 v[95:98], v44 offset:240
	s_waitcnt lgkmcnt(1)
	;;#ASMSTART
	v_dot2_f32_f16 v77, v1, v91, v77
	;;#ASMEND
	;;#ASMSTART
	v_dot2_f32_f16 v77, v2, v92, v77
	;;#ASMEND
	;; [unrolled: 3-line block ×4, first 2 shown]
	s_waitcnt lgkmcnt(0)
	;;#ASMSTART
	v_dot2_f32_f16 v76, v1, v95, v76
	;;#ASMEND
	;;#ASMSTART
	v_dot2_f32_f16 v76, v2, v96, v76
	;;#ASMEND
	;; [unrolled: 3-line block ×15, first 2 shown]
	v_cndmask_b32_e32 v2, v32, v38, vcc
	v_cmp_lt_i32_e32 vcc, v37, v33
	;;#ASMSTART
	v_dot2_f32_f16 v81, v86, v94, v81
	;;#ASMEND
	;;#ASMSTART
	v_dot2_f32_f16 v80, v83, v95, v80
	;;#ASMEND
	v_lshlrev_b32_e32 v3, 2, v2
	v_cndmask_b32_e32 v2, v32, v37, vcc
	v_cmp_lt_i32_e32 vcc, v36, v33
	;;#ASMSTART
	v_dot2_f32_f16 v80, v84, v96, v80
	;;#ASMEND
	v_lshlrev_b32_e32 v4, 2, v2
	v_cndmask_b32_e32 v2, v32, v36, vcc
	v_cmp_lt_i32_e32 vcc, v35, v33
	;; [unrolled: 6-line block ×3, first 2 shown]
	;;#ASMSTART
	v_dot2_f32_f16 v80, v86, v98, v80
	;;#ASMEND
	;;#ASMSTART
	v_dot2_f32_f16 v82, v87, v91, v82
	;;#ASMEND
	v_add_u32_e32 v1, s6, v13
	v_lshlrev_b32_e32 v7, 2, v2
	v_cndmask_b32_e32 v2, v32, v34, vcc
	;;#ASMSTART
	v_dot2_f32_f16 v82, v88, v92, v82
	;;#ASMEND
	v_lshlrev_b32_e32 v8, 2, v2
	v_ashrrev_i32_e32 v2, 31, v1
	;;#ASMSTART
	v_dot2_f32_f16 v82, v89, v93, v82
	;;#ASMEND
	v_lshlrev_b64 v[1:2], 1, v[1:2]
	;;#ASMSTART
	v_dot2_f32_f16 v82, v90, v94, v82
	;;#ASMEND
	;;#ASMSTART
	v_dot2_f32_f16 v9, v87, v95, v9
	;;#ASMEND
	;; [unrolled: 3-line block ×3, first 2 shown]
	v_add_co_u32_e32 v1, vcc, s26, v1
	;;#ASMSTART
	v_dot2_f32_f16 v9, v89, v97, v9
	;;#ASMEND
	v_addc_co_u32_e32 v2, vcc, v53, v2, vcc
	;;#ASMSTART
	v_dot2_f32_f16 v9, v90, v98, v9
	;;#ASMEND
	global_load_ushort v5, v[1:2], off
	global_load_ushort v12, v[1:2], off offset:64
	s_waitcnt vmcnt(1)
	v_cvt_f32_f16_e32 v10, v5
	s_waitcnt vmcnt(0)
	v_cvt_f32_f16_e32 v12, v12
	v_add_f32_e32 v11, v77, v10
	v_add_f32_e32 v77, v79, v12
	;; [unrolled: 1-line block ×4, first 2 shown]
	v_max3_f32 v5, v75, v5, v79
	global_load_ushort v79, v[1:2], off offset:128
	v_add_f32_e32 v10, v76, v10
	global_load_ushort v1, v[1:2], off offset:192
	v_add_f32_e32 v78, v78, v12
	v_add_f32_e32 v76, 0x40051340, v10
	;; [unrolled: 1-line block ×3, first 2 shown]
	v_max3_f32 v12, v73, v76, v12
	s_waitcnt vmcnt(0)
	s_barrier
	v_cvt_f32_f16_e32 v79, v79
	v_cvt_f32_f16_e32 v1, v1
	v_add_f32_e32 v81, v81, v79
	v_add_f32_e32 v83, 0x40051340, v81
	;; [unrolled: 1-line block ×6, first 2 shown]
	v_max3_f32 v5, v5, v83, v82
	v_add_f32_e32 v79, 0x40051340, v76
	v_add_f32_e32 v9, 0x40051340, v1
	ds_bpermute_b32 v82, v3, v5
	v_max3_f32 v9, v12, v79, v9
	ds_bpermute_b32 v3, v3, v9
	s_waitcnt lgkmcnt(1)
	v_max_f32_e32 v82, v82, v82
	v_max_f32_e32 v5, v5, v82
	s_waitcnt lgkmcnt(0)
	v_max_f32_e32 v3, v3, v3
	ds_bpermute_b32 v82, v4, v5
	v_max_f32_e32 v3, v9, v3
	ds_bpermute_b32 v4, v4, v3
	s_waitcnt lgkmcnt(1)
	v_max_f32_e32 v82, v82, v82
	v_max_f32_e32 v5, v5, v82
	s_waitcnt lgkmcnt(0)
	v_max_f32_e32 v4, v4, v4
	ds_bpermute_b32 v82, v6, v5
	v_max_f32_e32 v3, v3, v4
	;; [unrolled: 8-line block ×4, first 2 shown]
	ds_bpermute_b32 v4, v8, v3
	s_waitcnt lgkmcnt(1)
	v_max_f32_e32 v82, v82, v82
	v_max_f32_e32 v5, v5, v82
	s_waitcnt lgkmcnt(0)
	v_max_f32_e32 v4, v4, v4
	v_max_f32_e32 v6, v3, v4
	v_sub_f32_e32 v4, v11, v5
	v_mul_f32_e32 v7, 0x3fb8aa3b, v4
	v_fma_f32 v8, v4, s14, -v7
	v_rndne_f32_e32 v9, v7
	v_fmac_f32_e32 v8, 0x32a5705f, v4
	v_sub_f32_e32 v7, v7, v9
	v_add_f32_e32 v7, v7, v8
	v_exp_f32_e32 v7, v7
	v_cvt_i32_f32_e32 v8, v9
	v_cmp_ngt_f32_e32 vcc, s15, v4
	v_sub_f32_e32 v3, v75, v5
	v_sub_f32_e32 v2, v2, v5
	v_ldexp_f32 v7, v7, v8
	v_sub_f32_e32 v8, v77, v5
	v_mul_f32_e32 v9, 0x3fb8aa3b, v8
	v_fma_f32 v11, v8, s14, -v9
	v_rndne_f32_e32 v12, v9
	v_fmac_f32_e32 v11, 0x32a5705f, v8
	v_sub_f32_e32 v9, v9, v12
	v_add_f32_e32 v9, v9, v11
	v_exp_f32_e32 v9, v9
	v_cvt_i32_f32_e32 v11, v12
	v_cndmask_b32_e32 v7, 0, v7, vcc
	v_cmp_nlt_f32_e32 vcc, s18, v4
	v_cndmask_b32_e32 v4, v54, v7, vcc
	v_ldexp_f32 v9, v9, v11
	v_cmp_ngt_f32_e32 vcc, s15, v8
	v_cndmask_b32_e32 v9, 0, v9, vcc
	v_cmp_nlt_f32_e32 vcc, s18, v8
	v_cndmask_b32_e32 v8, v54, v9, vcc
	v_sub_f32_e32 v9, v81, v5
	v_mul_f32_e32 v11, 0x3fb8aa3b, v9
	v_fma_f32 v12, v9, s14, -v11
	v_rndne_f32_e32 v75, v11
	v_fmac_f32_e32 v12, 0x32a5705f, v9
	v_sub_f32_e32 v11, v11, v75
	v_add_f32_e32 v11, v11, v12
	v_exp_f32_e32 v11, v11
	v_cvt_i32_f32_e32 v12, v75
	v_cmp_ngt_f32_e32 vcc, s15, v9
	v_cvt_f16_f32_e32 v7, v4
	v_add_f32_e32 v4, v4, v8
	v_ldexp_f32 v11, v11, v12
	v_cndmask_b32_e32 v11, 0, v11, vcc
	v_cmp_nlt_f32_e32 vcc, s18, v9
	v_cndmask_b32_e32 v9, v54, v11, vcc
	v_mul_f32_e32 v11, 0x3fb8aa3b, v2
	v_fma_f32 v12, v2, s14, -v11
	v_rndne_f32_e32 v75, v11
	v_fmac_f32_e32 v12, 0x32a5705f, v2
	v_sub_f32_e32 v11, v11, v75
	v_add_f32_e32 v11, v11, v12
	v_exp_f32_e32 v11, v11
	v_cvt_i32_f32_e32 v12, v75
	v_cmp_ngt_f32_e32 vcc, s15, v2
	v_add_f32_e32 v4, v9, v4
	v_sub_f32_e32 v1, v1, v6
	v_ldexp_f32 v11, v11, v12
	v_cndmask_b32_e32 v11, 0, v11, vcc
	v_cmp_nlt_f32_e32 vcc, s18, v2
	v_cndmask_b32_e32 v2, v54, v11, vcc
	v_add_f32_e32 v11, v2, v4
	v_mul_f32_e32 v4, 0x3fb8aa3b, v3
	v_fma_f32 v12, v3, s14, -v4
	v_rndne_f32_e32 v75, v4
	v_fmac_f32_e32 v12, 0x32a5705f, v3
	v_sub_f32_e32 v4, v4, v75
	v_add_f32_e32 v4, v4, v12
	v_exp_f32_e32 v4, v4
	v_cvt_i32_f32_e32 v12, v75
	v_cmp_ngt_f32_e32 vcc, s15, v3
	v_cvt_f16_f32_e32 v8, v8
	v_cvt_f16_f32_e32 v9, v9
	v_ldexp_f32 v4, v4, v12
	v_cndmask_b32_e32 v4, 0, v4, vcc
	v_cmp_nlt_f32_e32 vcc, s18, v3
	v_cndmask_b32_e32 v3, v54, v4, vcc
	v_fmac_f32_e32 v11, v74, v3
	v_cvt_f16_f32_e32 v3, v3
	v_sub_f32_e32 v4, v10, v6
	v_mul_f32_e32 v10, 0x3fb8aa3b, v4
	v_rndne_f32_e32 v74, v10
	v_mul_u32_u24_e32 v12, 0x10001, v3
	v_sub_f32_e32 v3, v73, v6
	v_fma_f32 v73, v4, s14, -v10
	v_fmac_f32_e32 v73, 0x32a5705f, v4
	v_sub_f32_e32 v10, v10, v74
	v_add_f32_e32 v10, v10, v73
	v_exp_f32_e32 v10, v10
	v_cvt_i32_f32_e32 v73, v74
	v_cmp_ngt_f32_e32 vcc, s15, v4
	v_cvt_f16_f32_e32 v2, v2
	v_ldexp_f32 v10, v10, v73
	v_sub_f32_e32 v73, v78, v6
	v_mul_f32_e32 v74, 0x3fb8aa3b, v73
	v_fma_f32 v75, v73, s14, -v74
	v_rndne_f32_e32 v77, v74
	v_fmac_f32_e32 v75, 0x32a5705f, v73
	v_sub_f32_e32 v74, v74, v77
	v_add_f32_e32 v74, v74, v75
	v_exp_f32_e32 v74, v74
	v_cvt_i32_f32_e32 v75, v77
	v_cndmask_b32_e32 v10, 0, v10, vcc
	v_cmp_nlt_f32_e32 vcc, s18, v4
	v_cndmask_b32_e32 v4, v54, v10, vcc
	v_ldexp_f32 v74, v74, v75
	v_cmp_ngt_f32_e32 vcc, s15, v73
	v_cndmask_b32_e32 v74, 0, v74, vcc
	v_cmp_nlt_f32_e32 vcc, s18, v73
	v_cndmask_b32_e32 v73, v54, v74, vcc
	v_cvt_f16_f32_e32 v10, v4
	v_add_f32_e32 v4, v4, v73
	v_cvt_f16_f32_e32 v74, v73
	v_sub_f32_e32 v73, v76, v6
	v_mul_f32_e32 v75, 0x3fb8aa3b, v73
	v_fma_f32 v76, v73, s14, -v75
	v_rndne_f32_e32 v77, v75
	v_fmac_f32_e32 v76, 0x32a5705f, v73
	v_sub_f32_e32 v75, v75, v77
	v_add_f32_e32 v75, v75, v76
	v_exp_f32_e32 v75, v75
	v_cvt_i32_f32_e32 v76, v77
	v_cmp_ngt_f32_e32 vcc, s15, v73
	v_ldexp_f32 v75, v75, v76
	v_cndmask_b32_e32 v75, 0, v75, vcc
	v_cmp_nlt_f32_e32 vcc, s18, v73
	v_cndmask_b32_e32 v73, v54, v75, vcc
	v_add_f32_e32 v4, v73, v4
	v_cvt_f16_f32_e32 v75, v73
	v_mul_f32_e32 v73, 0x3fb8aa3b, v1
	v_fma_f32 v76, v1, s14, -v73
	v_rndne_f32_e32 v77, v73
	v_fmac_f32_e32 v76, 0x32a5705f, v1
	v_sub_f32_e32 v73, v73, v77
	v_add_f32_e32 v73, v73, v76
	v_exp_f32_e32 v73, v73
	v_cvt_i32_f32_e32 v76, v77
	v_cmp_ngt_f32_e32 vcc, s15, v1
	v_ldexp_f32 v73, v73, v76
	v_cndmask_b32_e32 v73, 0, v73, vcc
	v_cmp_nlt_f32_e32 vcc, s18, v1
	v_cndmask_b32_e32 v1, v54, v73, vcc
	v_mul_f32_e32 v73, 0x3fb8aa3b, v3
	v_fma_f32 v76, v3, s14, -v73
	v_rndne_f32_e32 v77, v73
	v_fmac_f32_e32 v76, 0x32a5705f, v3
	v_sub_f32_e32 v73, v73, v77
	v_add_f32_e32 v73, v73, v76
	v_exp_f32_e32 v73, v73
	v_cvt_i32_f32_e32 v76, v77
	v_cmp_ngt_f32_e32 vcc, s15, v3
	v_add_f32_e32 v4, v1, v4
	v_cvt_f16_f32_e32 v1, v1
	v_ldexp_f32 v73, v73, v76
	v_cndmask_b32_e32 v73, 0, v73, vcc
	v_cmp_nlt_f32_e32 vcc, s18, v3
	v_cndmask_b32_e32 v3, v54, v73, vcc
	v_mov_b32_e32 v73, v46
	v_mov_b32_e32 v46, v4
	v_fmac_f32_e32 v46, v73, v3
	v_cvt_f16_f32_e32 v3, v3
	v_pack_b32_f16 v4, v8, v74
	v_pack_b32_f16 v1, v2, v1
	v_mov_b32_e32 v2, s28
	v_mul_u32_u24_e32 v73, 0x10001, v3
	v_pack_b32_f16 v3, v7, v10
	ds_write2_b32 v55, v3, v4 offset1:32
	v_pack_b32_f16 v3, v9, v75
	ds_write2_b32 v55, v3, v1 offset0:64 offset1:96
	v_add_co_u32_e32 v1, vcc, s27, v22
	v_addc_co_u32_e32 v2, vcc, v2, v23, vcc
	v_add_co_u32_e32 v1, vcc, v1, v52
	v_addc_co_u32_e32 v2, vcc, 0, v2, vcc
	v_add_co_u32_e32 v3, vcc, s27, v24
	v_mov_b32_e32 v4, s28
	v_addc_co_u32_e32 v4, vcc, v4, v25, vcc
	v_add_co_u32_e32 v3, vcc, v3, v52
	v_addc_co_u32_e32 v4, vcc, 0, v4, vcc
	global_load_dwordx4 v[74:77], v[1:2], off
	v_add_co_u32_e32 v7, vcc, s27, v26
	global_load_dwordx4 v[1:4], v[3:4], off
	v_mov_b32_e32 v8, s28
	v_addc_co_u32_e32 v8, vcc, v8, v27, vcc
	v_add_co_u32_e32 v7, vcc, v7, v52
	v_addc_co_u32_e32 v8, vcc, 0, v8, vcc
	v_add_co_u32_e32 v9, vcc, s27, v28
	v_mov_b32_e32 v10, s28
	v_addc_co_u32_e32 v10, vcc, v10, v29, vcc
	v_add_co_u32_e32 v9, vcc, v9, v52
	v_addc_co_u32_e32 v10, vcc, 0, v10, vcc
	s_waitcnt vmcnt(1)
	ds_write_b128 v48, v[74:77]
	s_waitcnt vmcnt(0)
	ds_write_b128 v49, v[1:4]
	global_load_dwordx4 v[1:4], v[7:8], off
	s_waitcnt vmcnt(0)
	ds_write_b128 v50, v[1:4]
	global_load_dwordx4 v[1:4], v[9:10], off
	s_waitcnt vmcnt(0)
	ds_write_b128 v51, v[1:4]
	s_waitcnt lgkmcnt(0)
	s_barrier
	ds_read2_b32 v[7:8], v39 offset1:32
	ds_read_b128 v[1:4], v47
	s_waitcnt lgkmcnt(0)
	v_mul_u32_u24_sdwa v9, v1, s19 dst_sel:DWORD dst_unused:UNUSED_PAD src0_sel:WORD_0 src1_sel:DWORD
	v_mul_u32_u24_sdwa v1, v1, s19 dst_sel:DWORD dst_unused:UNUSED_PAD src0_sel:WORD_1 src1_sel:DWORD
	v_pk_mul_f16 v9, v7, v9
	v_pk_mul_f16 v1, v7, v1
	v_pk_fma_f16 v9, v72, v12, v9
	v_pk_fma_f16 v1, v71, v73, v1
	v_mul_u32_u24_sdwa v7, v2, s19 dst_sel:DWORD dst_unused:UNUSED_PAD src0_sel:WORD_0 src1_sel:DWORD
	v_mul_u32_u24_sdwa v2, v2, s19 dst_sel:DWORD dst_unused:UNUSED_PAD src0_sel:WORD_1 src1_sel:DWORD
	v_pk_fma_f16 v7, v8, v7, v9
	v_pk_fma_f16 v8, v8, v2, v1
	ds_read2_b32 v[1:2], v39 offset0:64 offset1:96
	v_mul_u32_u24_sdwa v9, v3, s19 dst_sel:DWORD dst_unused:UNUSED_PAD src0_sel:WORD_0 src1_sel:DWORD
	v_mul_u32_u24_sdwa v3, v3, s19 dst_sel:DWORD dst_unused:UNUSED_PAD src0_sel:WORD_1 src1_sel:DWORD
	s_waitcnt lgkmcnt(0)
	v_pk_fma_f16 v7, v1, v9, v7
	v_pk_fma_f16 v1, v1, v3, v8
	v_mul_u32_u24_sdwa v3, v4, s19 dst_sel:DWORD dst_unused:UNUSED_PAD src0_sel:WORD_0 src1_sel:DWORD
	v_mul_u32_u24_sdwa v4, v4, s19 dst_sel:DWORD dst_unused:UNUSED_PAD src0_sel:WORD_1 src1_sel:DWORD
	v_pk_fma_f16 v9, v2, v3, v7
	v_pk_fma_f16 v10, v2, v4, v1
	ds_read2_b32 v[7:8], v39 offset0:128 offset1:160
	ds_read_b128 v[1:4], v47 offset:16
	s_waitcnt lgkmcnt(0)
	v_mul_u32_u24_sdwa v12, v1, s19 dst_sel:DWORD dst_unused:UNUSED_PAD src0_sel:WORD_0 src1_sel:DWORD
	v_mul_u32_u24_sdwa v1, v1, s19 dst_sel:DWORD dst_unused:UNUSED_PAD src0_sel:WORD_1 src1_sel:DWORD
	v_pk_fma_f16 v9, v7, v12, v9
	v_pk_fma_f16 v1, v7, v1, v10
	v_mul_u32_u24_sdwa v7, v2, s19 dst_sel:DWORD dst_unused:UNUSED_PAD src0_sel:WORD_0 src1_sel:DWORD
	v_mul_u32_u24_sdwa v2, v2, s19 dst_sel:DWORD dst_unused:UNUSED_PAD src0_sel:WORD_1 src1_sel:DWORD
	v_pk_fma_f16 v7, v8, v7, v9
	v_pk_fma_f16 v8, v8, v2, v1
	ds_read2_b32 v[1:2], v39 offset0:192 offset1:224
	v_mul_u32_u24_sdwa v9, v3, s19 dst_sel:DWORD dst_unused:UNUSED_PAD src0_sel:WORD_0 src1_sel:DWORD
	v_mul_u32_u24_sdwa v3, v3, s19 dst_sel:DWORD dst_unused:UNUSED_PAD src0_sel:WORD_1 src1_sel:DWORD
	s_waitcnt lgkmcnt(0)
	v_pk_fma_f16 v7, v1, v9, v7
	v_pk_fma_f16 v1, v1, v3, v8
	v_mul_u32_u24_sdwa v3, v4, s19 dst_sel:DWORD dst_unused:UNUSED_PAD src0_sel:WORD_0 src1_sel:DWORD
	v_mul_u32_u24_sdwa v4, v4, s19 dst_sel:DWORD dst_unused:UNUSED_PAD src0_sel:WORD_1 src1_sel:DWORD
	v_pk_fma_f16 v9, v2, v3, v7
	v_pk_fma_f16 v10, v2, v4, v1
	ds_read2_b32 v[7:8], v56 offset1:32
	ds_read_b128 v[1:4], v47 offset:32
	s_waitcnt lgkmcnt(0)
	v_mul_u32_u24_sdwa v12, v1, s19 dst_sel:DWORD dst_unused:UNUSED_PAD src0_sel:WORD_0 src1_sel:DWORD
	v_mul_u32_u24_sdwa v1, v1, s19 dst_sel:DWORD dst_unused:UNUSED_PAD src0_sel:WORD_1 src1_sel:DWORD
	v_pk_fma_f16 v9, v7, v12, v9
	v_pk_fma_f16 v1, v7, v1, v10
	v_mul_u32_u24_sdwa v7, v2, s19 dst_sel:DWORD dst_unused:UNUSED_PAD src0_sel:WORD_0 src1_sel:DWORD
	v_mul_u32_u24_sdwa v2, v2, s19 dst_sel:DWORD dst_unused:UNUSED_PAD src0_sel:WORD_1 src1_sel:DWORD
	v_pk_fma_f16 v7, v8, v7, v9
	v_pk_fma_f16 v8, v8, v2, v1
	ds_read2_b32 v[1:2], v56 offset0:64 offset1:96
	v_mul_u32_u24_sdwa v9, v3, s19 dst_sel:DWORD dst_unused:UNUSED_PAD src0_sel:WORD_0 src1_sel:DWORD
	v_mul_u32_u24_sdwa v3, v3, s19 dst_sel:DWORD dst_unused:UNUSED_PAD src0_sel:WORD_1 src1_sel:DWORD
	s_waitcnt lgkmcnt(0)
	v_pk_fma_f16 v7, v1, v9, v7
	v_pk_fma_f16 v1, v1, v3, v8
	v_mul_u32_u24_sdwa v3, v4, s19 dst_sel:DWORD dst_unused:UNUSED_PAD src0_sel:WORD_0 src1_sel:DWORD
	v_mul_u32_u24_sdwa v4, v4, s19 dst_sel:DWORD dst_unused:UNUSED_PAD src0_sel:WORD_1 src1_sel:DWORD
	v_pk_fma_f16 v9, v2, v3, v7
	v_pk_fma_f16 v10, v2, v4, v1
	ds_read2_b32 v[7:8], v56 offset0:128 offset1:160
	ds_read_b128 v[1:4], v47 offset:48
	s_waitcnt lgkmcnt(0)
	v_mul_u32_u24_sdwa v12, v1, s19 dst_sel:DWORD dst_unused:UNUSED_PAD src0_sel:WORD_0 src1_sel:DWORD
	v_mul_u32_u24_sdwa v1, v1, s19 dst_sel:DWORD dst_unused:UNUSED_PAD src0_sel:WORD_1 src1_sel:DWORD
	v_pk_fma_f16 v9, v7, v12, v9
	v_pk_fma_f16 v1, v7, v1, v10
	v_mul_u32_u24_sdwa v7, v2, s19 dst_sel:DWORD dst_unused:UNUSED_PAD src0_sel:WORD_0 src1_sel:DWORD
	v_mul_u32_u24_sdwa v2, v2, s19 dst_sel:DWORD dst_unused:UNUSED_PAD src0_sel:WORD_1 src1_sel:DWORD
	v_pk_fma_f16 v7, v8, v7, v9
	v_pk_fma_f16 v8, v8, v2, v1
	ds_read2_b32 v[1:2], v56 offset0:192 offset1:224
	v_mul_u32_u24_sdwa v9, v3, s19 dst_sel:DWORD dst_unused:UNUSED_PAD src0_sel:WORD_0 src1_sel:DWORD
	v_mul_u32_u24_sdwa v3, v3, s19 dst_sel:DWORD dst_unused:UNUSED_PAD src0_sel:WORD_1 src1_sel:DWORD
	s_waitcnt lgkmcnt(0)
	v_pk_fma_f16 v7, v1, v9, v7
	v_pk_fma_f16 v1, v1, v3, v8
	v_mul_u32_u24_sdwa v3, v4, s19 dst_sel:DWORD dst_unused:UNUSED_PAD src0_sel:WORD_0 src1_sel:DWORD
	v_mul_u32_u24_sdwa v4, v4, s19 dst_sel:DWORD dst_unused:UNUSED_PAD src0_sel:WORD_1 src1_sel:DWORD
	v_pk_fma_f16 v9, v2, v3, v7
	v_pk_fma_f16 v10, v2, v4, v1
	ds_read2_b32 v[7:8], v57 offset1:32
	ds_read_b128 v[1:4], v47 offset:64
	s_waitcnt lgkmcnt(0)
	v_mul_u32_u24_sdwa v12, v1, s19 dst_sel:DWORD dst_unused:UNUSED_PAD src0_sel:WORD_0 src1_sel:DWORD
	v_mul_u32_u24_sdwa v1, v1, s19 dst_sel:DWORD dst_unused:UNUSED_PAD src0_sel:WORD_1 src1_sel:DWORD
	;; [unrolled: 42-line block ×15, first 2 shown]
	v_pk_fma_f16 v9, v7, v12, v9
	v_pk_fma_f16 v1, v7, v1, v10
	v_mul_u32_u24_sdwa v7, v2, s19 dst_sel:DWORD dst_unused:UNUSED_PAD src0_sel:WORD_0 src1_sel:DWORD
	v_mul_u32_u24_sdwa v2, v2, s19 dst_sel:DWORD dst_unused:UNUSED_PAD src0_sel:WORD_1 src1_sel:DWORD
	v_pk_fma_f16 v7, v8, v7, v9
	v_pk_fma_f16 v8, v8, v2, v1
	ds_read2_b32 v[1:2], v70 offset0:64 offset1:96
	v_mul_u32_u24_sdwa v9, v3, s19 dst_sel:DWORD dst_unused:UNUSED_PAD src0_sel:WORD_0 src1_sel:DWORD
	v_mul_u32_u24_sdwa v3, v3, s19 dst_sel:DWORD dst_unused:UNUSED_PAD src0_sel:WORD_1 src1_sel:DWORD
	s_waitcnt lgkmcnt(0)
	v_pk_fma_f16 v7, v1, v9, v7
	v_pk_fma_f16 v1, v1, v3, v8
	v_mul_u32_u24_sdwa v3, v4, s19 dst_sel:DWORD dst_unused:UNUSED_PAD src0_sel:WORD_0 src1_sel:DWORD
	v_mul_u32_u24_sdwa v4, v4, s19 dst_sel:DWORD dst_unused:UNUSED_PAD src0_sel:WORD_1 src1_sel:DWORD
	v_pk_fma_f16 v9, v2, v3, v7
	v_pk_fma_f16 v10, v2, v4, v1
	ds_read2_b32 v[7:8], v70 offset0:128 offset1:160
	ds_read_b128 v[1:4], v47 offset:496
	s_waitcnt lgkmcnt(0)
	v_mul_u32_u24_sdwa v12, v1, s19 dst_sel:DWORD dst_unused:UNUSED_PAD src0_sel:WORD_0 src1_sel:DWORD
	v_mul_u32_u24_sdwa v1, v1, s19 dst_sel:DWORD dst_unused:UNUSED_PAD src0_sel:WORD_1 src1_sel:DWORD
	v_pk_fma_f16 v9, v7, v12, v9
	v_pk_fma_f16 v1, v7, v1, v10
	v_mul_u32_u24_sdwa v7, v2, s19 dst_sel:DWORD dst_unused:UNUSED_PAD src0_sel:WORD_0 src1_sel:DWORD
	v_mul_u32_u24_sdwa v2, v2, s19 dst_sel:DWORD dst_unused:UNUSED_PAD src0_sel:WORD_1 src1_sel:DWORD
	v_pk_fma_f16 v7, v8, v7, v9
	v_pk_fma_f16 v8, v8, v2, v1
	ds_read2_b32 v[1:2], v70 offset0:192 offset1:224
	s_waitcnt lgkmcnt(0)
	s_barrier
	s_load_dword s27, s[0:1], 0x4
	v_mul_u32_u24_sdwa v9, v3, s19 dst_sel:DWORD dst_unused:UNUSED_PAD src0_sel:WORD_0 src1_sel:DWORD
	v_mul_u32_u24_sdwa v3, v3, s19 dst_sel:DWORD dst_unused:UNUSED_PAD src0_sel:WORD_1 src1_sel:DWORD
	v_pk_fma_f16 v7, v1, v9, v7
	v_pk_fma_f16 v1, v1, v3, v8
	s_waitcnt lgkmcnt(0)
	s_lshl_b32 s27, s27, 7
	v_mul_u32_u24_sdwa v3, v4, s19 dst_sel:DWORD dst_unused:UNUSED_PAD src0_sel:WORD_0 src1_sel:DWORD
	v_mul_u32_u24_sdwa v4, v4, s19 dst_sel:DWORD dst_unused:UNUSED_PAD src0_sel:WORD_1 src1_sel:DWORD
	s_add_i32 s6, s27, s6
	v_pk_fma_f16 v72, v2, v3, v7
	v_pk_fma_f16 v71, v2, v4, v1
	s_cmp_ge_i32 s6, s24
	s_cbranch_scc0 .LBB9_9
.LBB9_10:
	v_cmp_lt_i32_e32 vcc, v38, v33
	v_cndmask_b32_e32 v1, v32, v38, vcc
	v_lshlrev_b32_e32 v1, 2, v1
	ds_bpermute_b32 v2, v1, v11
	ds_bpermute_b32 v1, v1, v46
	v_cmp_lt_i32_e32 vcc, v37, v33
	v_cndmask_b32_e32 v3, v32, v37, vcc
	v_lshlrev_b32_e32 v3, 2, v3
	s_waitcnt lgkmcnt(1)
	v_add_f32_e32 v2, v11, v2
	s_waitcnt lgkmcnt(0)
	v_add_f32_e32 v1, v46, v1
	ds_bpermute_b32 v4, v3, v2
	ds_bpermute_b32 v3, v3, v1
	v_cmp_lt_i32_e32 vcc, v36, v33
	v_cndmask_b32_e32 v8, v32, v36, vcc
	v_lshlrev_b32_e32 v8, 2, v8
	s_waitcnt lgkmcnt(1)
	v_add_f32_e32 v2, v2, v4
	s_waitcnt lgkmcnt(0)
	v_add_f32_e32 v1, v1, v3
	ds_bpermute_b32 v4, v8, v2
	ds_bpermute_b32 v3, v8, v1
	v_cmp_lt_i32_e32 vcc, v35, v33
	v_cndmask_b32_e32 v8, v32, v35, vcc
	v_lshlrev_b32_e32 v8, 2, v8
	s_waitcnt lgkmcnt(1)
	v_add_f32_e32 v2, v2, v4
	s_waitcnt lgkmcnt(0)
	v_add_f32_e32 v1, v1, v3
	ds_bpermute_b32 v4, v8, v2
	ds_bpermute_b32 v3, v8, v1
	v_cmp_lt_i32_e32 vcc, v34, v33
	v_cndmask_b32_e32 v8, v32, v34, vcc
	v_lshlrev_b32_e32 v8, 2, v8
	s_waitcnt lgkmcnt(1)
	v_add_f32_e32 v2, v2, v4
	s_waitcnt lgkmcnt(0)
	v_add_f32_e32 v3, v1, v3
	ds_bpermute_b32 v4, v8, v2
	ds_bpermute_b32 v8, v8, v3
	s_cmp_lg_u64 s[16:17], 0
	s_cselect_b64 s[0:1], -1, 0
	s_cmp_eq_u32 s7, 0
	s_cselect_b64 s[8:9], -1, 0
	s_and_b64 s[0:1], s[8:9], s[0:1]
	v_lshlrev_b32_e32 v7, 1, v0
	s_waitcnt lgkmcnt(1)
	v_add_f32_e32 v1, v2, v4
	s_waitcnt lgkmcnt(0)
	v_add_f32_e32 v2, v3, v8
	s_and_b64 vcc, exec, s[0:1]
	s_cbranch_vccz .LBB9_13
; %bb.11:
	v_add_u32_e32 v3, s25, v31
	v_ashrrev_i32_e32 v4, 31, v3
	v_lshlrev_b64 v[3:4], 2, v[3:4]
	v_mov_b32_e32 v8, s17
	v_add_co_u32_e32 v3, vcc, s16, v3
	v_addc_co_u32_e32 v4, vcc, v8, v4, vcc
	global_load_dwordx2 v[3:4], v[3:4], off
	v_max_f32_e32 v8, v5, v5
	v_max_f32_e32 v9, v6, v6
	s_mov_b32 s0, 0x3fb8aa3b
	s_mov_b32 s1, 0xc2ce8ed0
	;; [unrolled: 1-line block ×3, first 2 shown]
	v_mov_b32_e32 v10, 0x7f800000
	s_waitcnt vmcnt(0)
	v_max_f32_e32 v11, v3, v3
	v_max_f32_e32 v12, v4, v4
	;; [unrolled: 1-line block ×4, first 2 shown]
	v_sub_f32_e32 v11, v5, v8
	v_sub_f32_e32 v12, v6, v9
	v_mov_b32_e32 v5, v8
	v_sub_f32_e32 v3, v3, v8
	v_mov_b32_e32 v6, v9
	v_mul_f32_e32 v8, 0x3fb8aa3b, v11
	v_sub_f32_e32 v4, v4, v9
	v_mul_f32_e32 v9, 0x3fb8aa3b, v3
	v_fma_f32 v15, v11, s0, -v8
	v_rndne_f32_e32 v16, v8
	v_mul_f32_e32 v13, 0x3fb8aa3b, v12
	v_fma_f32 v17, v3, s0, -v9
	v_rndne_f32_e32 v18, v9
	v_fmac_f32_e32 v15, 0x32a5705f, v11
	v_sub_f32_e32 v8, v8, v16
	v_mul_f32_e32 v14, 0x3fb8aa3b, v4
	v_fma_f32 v19, v12, s0, -v13
	v_rndne_f32_e32 v20, v13
	v_fmac_f32_e32 v17, 0x32a5705f, v3
	v_sub_f32_e32 v9, v9, v18
	v_add_f32_e32 v8, v8, v15
	v_fma_f32 v21, v4, s0, -v14
	v_rndne_f32_e32 v22, v14
	v_cvt_i32_f32_e32 v16, v16
	v_fmac_f32_e32 v19, 0x32a5705f, v12
	v_sub_f32_e32 v13, v13, v20
	v_add_f32_e32 v9, v9, v17
	v_exp_f32_e32 v8, v8
	v_cvt_i32_f32_e32 v18, v18
	v_fmac_f32_e32 v21, 0x32a5705f, v4
	v_sub_f32_e32 v14, v14, v22
	v_add_f32_e32 v13, v13, v19
	v_exp_f32_e32 v9, v9
	v_cvt_i32_f32_e32 v20, v20
	v_add_f32_e32 v14, v14, v21
	v_exp_f32_e32 v13, v13
	v_cvt_i32_f32_e32 v22, v22
	v_exp_f32_e32 v14, v14
	v_ldexp_f32 v8, v8, v16
	v_cmp_ngt_f32_e32 vcc, s1, v11
	v_ldexp_f32 v9, v9, v18
	v_cndmask_b32_e32 v8, 0, v8, vcc
	v_cmp_ngt_f32_e32 vcc, s1, v3
	v_ldexp_f32 v13, v13, v20
	v_cndmask_b32_e32 v9, 0, v9, vcc
	;; [unrolled: 3-line block ×3, first 2 shown]
	v_cmp_ngt_f32_e32 vcc, s1, v4
	v_cndmask_b32_e32 v14, 0, v14, vcc
	v_cmp_nlt_f32_e32 vcc, s6, v11
	v_cndmask_b32_e32 v8, v10, v8, vcc
	v_cmp_nlt_f32_e32 vcc, s6, v3
	v_cndmask_b32_e32 v3, v10, v9, vcc
	v_cmp_nlt_f32_e32 vcc, s6, v12
	v_cndmask_b32_e32 v9, v10, v13, vcc
	v_cmp_nlt_f32_e32 vcc, s6, v4
	v_cndmask_b32_e32 v4, v10, v14, vcc
	v_fmac_f32_e32 v3, v1, v8
	v_cvt_f16_f32_e32 v8, v8
	v_cvt_f16_f32_e32 v10, v9
	v_fmac_f32_e32 v4, v2, v9
	v_mov_b32_e32 v1, v3
	v_mul_u32_u24_e32 v2, 0x10001, v8
	v_mul_u32_u24_e32 v8, 0x10001, v10
	v_pk_mul_f16 v72, v72, v2
	v_pk_mul_f16 v71, v71, v8
	v_mov_b32_e32 v2, v4
	v_cmp_gt_i32_e32 vcc, s2, v30
	s_and_saveexec_b64 s[0:1], vcc
	s_cbranch_execnz .LBB9_14
.LBB9_12:
	s_endpgm
.LBB9_13:
	v_mov_b32_e32 v4, v2
	v_mov_b32_e32 v3, v1
	v_cmp_gt_i32_e32 vcc, s2, v30
	s_and_saveexec_b64 s[0:1], vcc
	s_cbranch_execz .LBB9_12
.LBB9_14:
	s_load_dword s6, s[4:5], 0xd4
	v_mov_b32_e32 v8, 1.0
	s_waitcnt lgkmcnt(0)
	s_cmp_lg_u32 s6, 1
	s_cselect_b64 s[0:1], -1, 0
	s_cmp_eq_u32 s6, 1
	s_cselect_b64 s[4:5], -1, 0
	s_and_b64 vcc, exec, s[0:1]
	s_cbranch_vccnz .LBB9_16
; %bb.15:
	v_div_scale_f32 v8, s[8:9], v1, v1, 1.0
	v_div_scale_f32 v9, vcc, 1.0, v1, 1.0
	v_rcp_f32_e32 v10, v8
	v_fma_f32 v11, -v8, v10, 1.0
	v_fmac_f32_e32 v10, v11, v10
	v_mul_f32_e32 v11, v9, v10
	v_fma_f32 v12, -v8, v11, v9
	v_fmac_f32_e32 v11, v12, v10
	v_fma_f32 v8, -v8, v11, v9
	v_div_fmas_f32 v8, v8, v10, v11
	v_div_fixup_f32 v8, v8, v1, 1.0
.LBB9_16:
	s_mul_i32 s30, s30, s2
	v_add_u32_e32 v1, s30, v30
	v_mul_lo_u32 v1, v1, s3
	v_cmp_eq_u32_e32 vcc, 0, v0
	v_cvt_f32_f16_e32 v0, v72
	v_cvt_f32_f16_sdwa v10, v72 dst_sel:DWORD dst_unused:UNUSED_PAD src0_sel:WORD_1
	v_add3_u32 v1, s25, v31, v1
	v_mul_lo_u32 v1, s6, v1
	v_mul_f32_e32 v9, v8, v0
	v_mov_b32_e32 v12, 0
	s_and_b64 s[0:1], vcc, s[0:1]
	v_add_u32_e32 v0, s7, v1
	v_lshl_add_u32 v11, v0, 6, v7
	v_lshlrev_b64 v[11:12], 2, v[11:12]
	v_mov_b32_e32 v1, s21
	v_add_co_u32_e32 v11, vcc, s20, v11
	v_mul_f32_e32 v10, v8, v10
	v_addc_co_u32_e32 v12, vcc, v1, v12, vcc
	global_store_dwordx2 v[11:12], v[9:10], off
	s_and_saveexec_b64 s[2:3], s[0:1]
	s_cbranch_execz .LBB9_18
; %bb.17:
	v_ashrrev_i32_e32 v1, 31, v0
	v_lshlrev_b64 v[8:9], 3, v[0:1]
	v_mov_b32_e32 v1, s23
	v_add_co_u32_e32 v8, vcc, s22, v8
	v_addc_co_u32_e32 v9, vcc, v1, v9, vcc
	v_mov_b32_e32 v10, v5
	v_mov_b32_e32 v11, v3
	global_store_dwordx2 v[8:9], v[10:11], off
.LBB9_18:
	s_or_b64 exec, exec, s[2:3]
	s_andn2_b64 vcc, exec, s[4:5]
	v_mov_b32_e32 v1, 1.0
	s_cbranch_vccnz .LBB9_20
; %bb.19:
	v_div_scale_f32 v1, s[2:3], v2, v2, 1.0
	v_div_scale_f32 v3, vcc, 1.0, v2, 1.0
	v_rcp_f32_e32 v5, v1
	v_fma_f32 v8, -v1, v5, 1.0
	v_fmac_f32_e32 v5, v8, v5
	v_mul_f32_e32 v8, v3, v5
	v_fma_f32 v9, -v1, v8, v3
	v_fmac_f32_e32 v8, v9, v5
	v_fma_f32 v1, -v1, v8, v3
	v_div_fmas_f32 v1, v1, v5, v8
	v_div_fixup_f32 v1, v1, v2, 1.0
.LBB9_20:
	v_cvt_f32_f16_e32 v2, v71
	v_cvt_f32_f16_sdwa v3, v71 dst_sel:DWORD dst_unused:UNUSED_PAD src0_sel:WORD_1
	v_add_u32_e32 v0, s6, v0
	v_lshl_add_u32 v7, v0, 6, v7
	v_mov_b32_e32 v8, 0
	v_lshlrev_b64 v[7:8], 2, v[7:8]
	v_mul_f32_e32 v2, v1, v2
	v_mul_f32_e32 v3, v1, v3
	v_mov_b32_e32 v1, s21
	v_add_co_u32_e32 v7, vcc, s20, v7
	v_addc_co_u32_e32 v8, vcc, v1, v8, vcc
	global_store_dwordx2 v[7:8], v[2:3], off
	s_and_b64 exec, exec, s[0:1]
	s_cbranch_execz .LBB9_12
; %bb.21:
	v_ashrrev_i32_e32 v1, 31, v0
	v_lshlrev_b64 v[0:1], 3, v[0:1]
	v_mov_b32_e32 v2, s23
	v_add_co_u32_e32 v0, vcc, s22, v0
	v_addc_co_u32_e32 v1, vcc, v2, v1, vcc
	v_mov_b32_e32 v3, v6
	global_store_dwordx2 v[0:1], v[3:4], off
	s_endpgm
	.section	.rodata,"a",@progbits
	.p2align	6, 0x0
	.amdhsa_kernel _ZL15flash_attn_tileILi64ELi64ELi2ELi8ELb0EEvPKcS1_S1_S1_S1_PKiPfP15HIP_vector_typeIfLj2EEffffjfiS5_IjLj3EEiiiiiiiiiiiliiliiiiil
		.amdhsa_group_segment_fixed_size 24576
		.amdhsa_private_segment_fixed_size 0
		.amdhsa_kernarg_size 464
		.amdhsa_user_sgpr_count 6
		.amdhsa_user_sgpr_private_segment_buffer 1
		.amdhsa_user_sgpr_dispatch_ptr 0
		.amdhsa_user_sgpr_queue_ptr 0
		.amdhsa_user_sgpr_kernarg_segment_ptr 1
		.amdhsa_user_sgpr_dispatch_id 0
		.amdhsa_user_sgpr_flat_scratch_init 0
		.amdhsa_user_sgpr_private_segment_size 0
		.amdhsa_uses_dynamic_stack 0
		.amdhsa_system_sgpr_private_segment_wavefront_offset 0
		.amdhsa_system_sgpr_workgroup_id_x 1
		.amdhsa_system_sgpr_workgroup_id_y 1
		.amdhsa_system_sgpr_workgroup_id_z 1
		.amdhsa_system_sgpr_workgroup_info 0
		.amdhsa_system_vgpr_workitem_id 1
		.amdhsa_next_free_vgpr 99
		.amdhsa_next_free_sgpr 98
		.amdhsa_reserve_vcc 1
		.amdhsa_reserve_flat_scratch 0
		.amdhsa_float_round_mode_32 0
		.amdhsa_float_round_mode_16_64 0
		.amdhsa_float_denorm_mode_32 3
		.amdhsa_float_denorm_mode_16_64 3
		.amdhsa_dx10_clamp 1
		.amdhsa_ieee_mode 1
		.amdhsa_fp16_overflow 0
		.amdhsa_exception_fp_ieee_invalid_op 0
		.amdhsa_exception_fp_denorm_src 0
		.amdhsa_exception_fp_ieee_div_zero 0
		.amdhsa_exception_fp_ieee_overflow 0
		.amdhsa_exception_fp_ieee_underflow 0
		.amdhsa_exception_fp_ieee_inexact 0
		.amdhsa_exception_int_div_zero 0
	.end_amdhsa_kernel
	.section	.text._ZL15flash_attn_tileILi64ELi64ELi2ELi8ELb0EEvPKcS1_S1_S1_S1_PKiPfP15HIP_vector_typeIfLj2EEffffjfiS5_IjLj3EEiiiiiiiiiiiliiliiiiil,"axG",@progbits,_ZL15flash_attn_tileILi64ELi64ELi2ELi8ELb0EEvPKcS1_S1_S1_S1_PKiPfP15HIP_vector_typeIfLj2EEffffjfiS5_IjLj3EEiiiiiiiiiiiliiliiiiil,comdat
.Lfunc_end9:
	.size	_ZL15flash_attn_tileILi64ELi64ELi2ELi8ELb0EEvPKcS1_S1_S1_S1_PKiPfP15HIP_vector_typeIfLj2EEffffjfiS5_IjLj3EEiiiiiiiiiiiliiliiiiil, .Lfunc_end9-_ZL15flash_attn_tileILi64ELi64ELi2ELi8ELb0EEvPKcS1_S1_S1_S1_PKiPfP15HIP_vector_typeIfLj2EEffffjfiS5_IjLj3EEiiiiiiiiiiiliiliiiiil
                                        ; -- End function
	.set _ZL15flash_attn_tileILi64ELi64ELi2ELi8ELb0EEvPKcS1_S1_S1_S1_PKiPfP15HIP_vector_typeIfLj2EEffffjfiS5_IjLj3EEiiiiiiiiiiiliiliiiiil.num_vgpr, 99
	.set _ZL15flash_attn_tileILi64ELi64ELi2ELi8ELb0EEvPKcS1_S1_S1_S1_PKiPfP15HIP_vector_typeIfLj2EEffffjfiS5_IjLj3EEiiiiiiiiiiiliiliiiiil.num_agpr, 0
	.set _ZL15flash_attn_tileILi64ELi64ELi2ELi8ELb0EEvPKcS1_S1_S1_S1_PKiPfP15HIP_vector_typeIfLj2EEffffjfiS5_IjLj3EEiiiiiiiiiiiliiliiiiil.numbered_sgpr, 40
	.set _ZL15flash_attn_tileILi64ELi64ELi2ELi8ELb0EEvPKcS1_S1_S1_S1_PKiPfP15HIP_vector_typeIfLj2EEffffjfiS5_IjLj3EEiiiiiiiiiiiliiliiiiil.num_named_barrier, 0
	.set _ZL15flash_attn_tileILi64ELi64ELi2ELi8ELb0EEvPKcS1_S1_S1_S1_PKiPfP15HIP_vector_typeIfLj2EEffffjfiS5_IjLj3EEiiiiiiiiiiiliiliiiiil.private_seg_size, 0
	.set _ZL15flash_attn_tileILi64ELi64ELi2ELi8ELb0EEvPKcS1_S1_S1_S1_PKiPfP15HIP_vector_typeIfLj2EEffffjfiS5_IjLj3EEiiiiiiiiiiiliiliiiiil.uses_vcc, 1
	.set _ZL15flash_attn_tileILi64ELi64ELi2ELi8ELb0EEvPKcS1_S1_S1_S1_PKiPfP15HIP_vector_typeIfLj2EEffffjfiS5_IjLj3EEiiiiiiiiiiiliiliiiiil.uses_flat_scratch, 0
	.set _ZL15flash_attn_tileILi64ELi64ELi2ELi8ELb0EEvPKcS1_S1_S1_S1_PKiPfP15HIP_vector_typeIfLj2EEffffjfiS5_IjLj3EEiiiiiiiiiiiliiliiiiil.has_dyn_sized_stack, 0
	.set _ZL15flash_attn_tileILi64ELi64ELi2ELi8ELb0EEvPKcS1_S1_S1_S1_PKiPfP15HIP_vector_typeIfLj2EEffffjfiS5_IjLj3EEiiiiiiiiiiiliiliiiiil.has_recursion, 0
	.set _ZL15flash_attn_tileILi64ELi64ELi2ELi8ELb0EEvPKcS1_S1_S1_S1_PKiPfP15HIP_vector_typeIfLj2EEffffjfiS5_IjLj3EEiiiiiiiiiiiliiliiiiil.has_indirect_call, 0
	.section	.AMDGPU.csdata,"",@progbits
; Kernel info:
; codeLenInByte = 12384
; TotalNumSgprs: 44
; NumVgprs: 99
; ScratchSize: 0
; MemoryBound: 0
; FloatMode: 240
; IeeeMode: 1
; LDSByteSize: 24576 bytes/workgroup (compile time only)
; SGPRBlocks: 12
; VGPRBlocks: 24
; NumSGPRsForWavesPerEU: 102
; NumVGPRsForWavesPerEU: 99
; Occupancy: 2
; WaveLimiterHint : 1
; COMPUTE_PGM_RSRC2:SCRATCH_EN: 0
; COMPUTE_PGM_RSRC2:USER_SGPR: 6
; COMPUTE_PGM_RSRC2:TRAP_HANDLER: 0
; COMPUTE_PGM_RSRC2:TGID_X_EN: 1
; COMPUTE_PGM_RSRC2:TGID_Y_EN: 1
; COMPUTE_PGM_RSRC2:TGID_Z_EN: 1
; COMPUTE_PGM_RSRC2:TIDIG_COMP_CNT: 1
	.section	.text._ZL25flash_attn_mask_to_KV_maxILi2EEvPK7__half2Piiii,"axG",@progbits,_ZL25flash_attn_mask_to_KV_maxILi2EEvPK7__half2Piiii,comdat
	.globl	_ZL25flash_attn_mask_to_KV_maxILi2EEvPK7__half2Piiii ; -- Begin function _ZL25flash_attn_mask_to_KV_maxILi2EEvPK7__half2Piiii
	.p2align	8
	.type	_ZL25flash_attn_mask_to_KV_maxILi2EEvPK7__half2Piiii,@function
_ZL25flash_attn_mask_to_KV_maxILi2EEvPK7__half2Piiii: ; @_ZL25flash_attn_mask_to_KV_maxILi2EEvPK7__half2Piiii
; %bb.0:
	s_load_dwordx4 s[8:11], s[4:5], 0x0
	v_cmp_gt_u32_e32 vcc, 32, v0
	s_and_saveexec_b64 s[0:1], vcc
; %bb.1:
	v_lshlrev_b32_e32 v1, 2, v0
	v_mov_b32_e32 v2, 1
	ds_write_b32 v1, v2
; %bb.2:
	s_or_b64 exec, exec, s[0:1]
	s_load_dwordx4 s[12:15], s[4:5], 0x10
	s_waitcnt lgkmcnt(0)
	s_load_dword s15, s[4:5], 0x20
	v_and_b32_e32 v1, 31, v0
	v_lshlrev_b32_e32 v4, 2, v1
                                        ; kill: killed $sgpr4_sgpr5
	v_lshrrev_b32_e32 v3, 3, v0
	s_mul_i32 s1, s6, s13
	s_mul_i32 s0, s14, s7
	s_lshl_b32 s1, s1, 1
	s_add_i32 s0, s0, s1
	s_ashr_i32 s1, s0, 31
	s_lshl_b64 s[0:1], s[0:1], 2
	s_add_u32 s14, s8, s0
	s_addc_u32 s16, s9, s1
	v_cmp_eq_u32_e64 s[0:1], 0, v1
	v_mbcnt_lo_u32_b32 v1, -1, 0
	v_mbcnt_hi_u32_b32 v5, -1, v1
	v_and_b32_e32 v1, 0x60, v5
	s_lshl_b32 s12, s12, 8
	s_mov_b64 s[4:5], 0
	v_mov_b32_e32 v2, 0
	s_movk_i32 s17, 0x204
	v_add_u32_e32 v6, 32, v1
	v_xor_b32_e32 v7, 16, v5
	v_xor_b32_e32 v8, 8, v5
	;; [unrolled: 1-line block ×5, first 2 shown]
	s_waitcnt lgkmcnt(0)
	s_barrier
                                        ; implicit-def: $sgpr2_sgpr3
	s_branch .LBB10_5
.LBB10_3:                               ;   in Loop: Header=BB10_5 Depth=1
	s_or_b64 exec, exec, s[8:9]
	s_waitcnt lgkmcnt(0)
	s_barrier
	ds_read_b32 v16, v4
	s_waitcnt lgkmcnt(0)
	s_barrier
	ds_bpermute_b32 v1, v1, v16
	v_cmp_ne_u32_e32 vcc, 0, v16
	s_waitcnt lgkmcnt(0)
	v_cmp_ne_u32_e64 s[2:3], 0, v1
	s_and_b64 s[2:3], vcc, s[2:3]
	v_cndmask_b32_e64 v1, 0, 1, s[2:3]
	ds_bpermute_b32 v1, v12, v1
	s_waitcnt lgkmcnt(0)
	v_cmp_ne_u32_e32 vcc, 0, v1
	s_and_b64 s[2:3], vcc, s[2:3]
	v_cndmask_b32_e64 v1, 0, 1, s[2:3]
	ds_bpermute_b32 v1, v13, v1
	s_waitcnt lgkmcnt(0)
	v_cmp_ne_u32_e32 vcc, 0, v1
	;; [unrolled: 5-line block ×3, first 2 shown]
	s_and_b64 s[2:3], vcc, s[2:3]
	v_cndmask_b32_e64 v1, 0, 1, s[2:3]
	ds_bpermute_b32 v1, v15, v1
	s_xor_b64 s[2:3], s[2:3], -1
	s_waitcnt lgkmcnt(0)
	v_cmp_eq_u32_e32 vcc, 0, v1
	s_or_b64 s[2:3], vcc, s[2:3]
.LBB10_4:                               ;   in Loop: Header=BB10_5 Depth=1
	s_and_b64 s[8:9], exec, s[2:3]
	s_or_b64 s[4:5], s[8:9], s[4:5]
	v_mov_b32_e32 v1, s12
	s_mov_b32 s12, s18
	s_andn2_b64 exec, exec, s[4:5]
	s_cbranch_execz .LBB10_12
.LBB10_5:                               ; =>This Inner Loop Header: Depth=1
	s_add_i32 s18, s12, 0xffffff00
	s_or_b64 s[2:3], s[2:3], exec
	s_cmp_lt_i32 s18, 0
	s_cbranch_scc1 .LBB10_4
; %bb.6:                                ;   in Loop: Header=BB10_5 Depth=1
	s_lshr_b32 s2, s18, 1
	v_add_u32_e32 v1, s2, v0
	v_lshlrev_b64 v[12:13], 2, v[1:2]
	v_mov_b32_e32 v14, s16
	v_add_co_u32_e32 v12, vcc, s14, v12
	v_addc_co_u32_e32 v13, vcc, v14, v13, vcc
	global_load_dword v12, v[12:13], off
	s_waitcnt vmcnt(0)
	v_cmp_class_f16_e64 s[2:3], v12, s17
	v_cmp_class_f16_sdwa s[8:9], v12, s17 src0_sel:WORD_1 src1_sel:DWORD
	s_and_b64 s[8:9], s[2:3], s[8:9]
	v_mov_b32_e32 v12, 0
	s_and_saveexec_b64 s[2:3], s[8:9]
	s_cbranch_execz .LBB10_10
; %bb.7:                                ;   in Loop: Header=BB10_5 Depth=1
	v_add_u32_e32 v12, s13, v1
	v_ashrrev_i32_e32 v13, 31, v12
	v_lshlrev_b64 v[12:13], 2, v[12:13]
	v_mov_b32_e32 v1, s16
	v_add_co_u32_e32 v12, vcc, s14, v12
	v_addc_co_u32_e32 v13, vcc, v1, v13, vcc
	global_load_dword v1, v[12:13], off
	v_mov_b32_e32 v12, 0
	s_waitcnt vmcnt(0)
	v_cmp_class_f16_e64 s[20:21], v1, s17
	s_and_saveexec_b64 s[8:9], s[20:21]
; %bb.8:                                ;   in Loop: Header=BB10_5 Depth=1
	v_cmp_class_f16_sdwa s[20:21], v1, s17 src0_sel:WORD_1 src1_sel:DWORD
	v_cndmask_b32_e64 v12, 0, 1, s[20:21]
; %bb.9:                                ;   in Loop: Header=BB10_5 Depth=1
	s_or_b64 exec, exec, s[8:9]
.LBB10_10:                              ;   in Loop: Header=BB10_5 Depth=1
	s_or_b64 exec, exec, s[2:3]
	v_cmp_lt_i32_e32 vcc, v7, v6
	v_cndmask_b32_e32 v1, v5, v7, vcc
	v_lshlrev_b32_e32 v1, 2, v1
	ds_bpermute_b32 v13, v1, v12
	v_cmp_ne_u32_e32 vcc, 0, v12
	s_waitcnt lgkmcnt(0)
	v_cmp_ne_u32_e64 s[2:3], 0, v13
	s_and_b64 s[2:3], vcc, s[2:3]
	v_cmp_lt_i32_e32 vcc, v8, v6
	v_cndmask_b32_e32 v12, v5, v8, vcc
	v_cndmask_b32_e64 v13, 0, 1, s[2:3]
	v_lshlrev_b32_e32 v12, 2, v12
	ds_bpermute_b32 v13, v12, v13
	s_waitcnt lgkmcnt(0)
	v_cmp_ne_u32_e32 vcc, 0, v13
	s_and_b64 s[2:3], vcc, s[2:3]
	v_cmp_lt_i32_e32 vcc, v9, v6
	v_cndmask_b32_e32 v13, v5, v9, vcc
	v_cndmask_b32_e64 v14, 0, 1, s[2:3]
	v_lshlrev_b32_e32 v13, 2, v13
	ds_bpermute_b32 v14, v13, v14
	s_waitcnt lgkmcnt(0)
	v_cmp_ne_u32_e32 vcc, 0, v14
	;; [unrolled: 8-line block ×3, first 2 shown]
	s_and_b64 s[2:3], vcc, s[2:3]
	v_cmp_lt_i32_e32 vcc, v11, v6
	v_cndmask_b32_e32 v15, v5, v11, vcc
	v_cndmask_b32_e64 v16, 0, 1, s[2:3]
	v_lshlrev_b32_e32 v15, 2, v15
	ds_bpermute_b32 v16, v15, v16
	s_and_saveexec_b64 s[8:9], s[0:1]
	s_cbranch_execz .LBB10_3
; %bb.11:                               ;   in Loop: Header=BB10_5 Depth=1
	s_waitcnt lgkmcnt(0)
	v_cmp_ne_u32_e32 vcc, 0, v16
	s_and_b64 s[2:3], vcc, s[2:3]
	v_cndmask_b32_e64 v16, 0, 1, s[2:3]
	ds_write_b32 v3, v16
	s_branch .LBB10_3
.LBB10_12:
	s_or_b64 exec, exec, s[4:5]
	v_cmp_eq_u32_e32 vcc, 0, v0
	s_and_saveexec_b64 s[0:1], vcc
	s_cbranch_execz .LBB10_14
; %bb.13:
	s_mul_i32 s0, s15, s7
	s_add_i32 s0, s0, s6
	s_ashr_i32 s1, s0, 31
	s_lshl_b64 s[0:1], s[0:1], 2
	s_add_u32 s0, s10, s0
	s_addc_u32 s1, s11, s1
	v_mov_b32_e32 v0, 0
	global_store_dword v0, v1, s[0:1]
.LBB10_14:
	s_endpgm
	.section	.rodata,"a",@progbits
	.p2align	6, 0x0
	.amdhsa_kernel _ZL25flash_attn_mask_to_KV_maxILi2EEvPK7__half2Piiii
		.amdhsa_group_segment_fixed_size 128
		.amdhsa_private_segment_fixed_size 0
		.amdhsa_kernarg_size 288
		.amdhsa_user_sgpr_count 6
		.amdhsa_user_sgpr_private_segment_buffer 1
		.amdhsa_user_sgpr_dispatch_ptr 0
		.amdhsa_user_sgpr_queue_ptr 0
		.amdhsa_user_sgpr_kernarg_segment_ptr 1
		.amdhsa_user_sgpr_dispatch_id 0
		.amdhsa_user_sgpr_flat_scratch_init 0
		.amdhsa_user_sgpr_private_segment_size 0
		.amdhsa_uses_dynamic_stack 0
		.amdhsa_system_sgpr_private_segment_wavefront_offset 0
		.amdhsa_system_sgpr_workgroup_id_x 1
		.amdhsa_system_sgpr_workgroup_id_y 1
		.amdhsa_system_sgpr_workgroup_id_z 0
		.amdhsa_system_sgpr_workgroup_info 0
		.amdhsa_system_vgpr_workitem_id 0
		.amdhsa_next_free_vgpr 17
		.amdhsa_next_free_sgpr 22
		.amdhsa_reserve_vcc 1
		.amdhsa_reserve_flat_scratch 0
		.amdhsa_float_round_mode_32 0
		.amdhsa_float_round_mode_16_64 0
		.amdhsa_float_denorm_mode_32 3
		.amdhsa_float_denorm_mode_16_64 3
		.amdhsa_dx10_clamp 1
		.amdhsa_ieee_mode 1
		.amdhsa_fp16_overflow 0
		.amdhsa_exception_fp_ieee_invalid_op 0
		.amdhsa_exception_fp_denorm_src 0
		.amdhsa_exception_fp_ieee_div_zero 0
		.amdhsa_exception_fp_ieee_overflow 0
		.amdhsa_exception_fp_ieee_underflow 0
		.amdhsa_exception_fp_ieee_inexact 0
		.amdhsa_exception_int_div_zero 0
	.end_amdhsa_kernel
	.section	.text._ZL25flash_attn_mask_to_KV_maxILi2EEvPK7__half2Piiii,"axG",@progbits,_ZL25flash_attn_mask_to_KV_maxILi2EEvPK7__half2Piiii,comdat
.Lfunc_end10:
	.size	_ZL25flash_attn_mask_to_KV_maxILi2EEvPK7__half2Piiii, .Lfunc_end10-_ZL25flash_attn_mask_to_KV_maxILi2EEvPK7__half2Piiii
                                        ; -- End function
	.set _ZL25flash_attn_mask_to_KV_maxILi2EEvPK7__half2Piiii.num_vgpr, 17
	.set _ZL25flash_attn_mask_to_KV_maxILi2EEvPK7__half2Piiii.num_agpr, 0
	.set _ZL25flash_attn_mask_to_KV_maxILi2EEvPK7__half2Piiii.numbered_sgpr, 22
	.set _ZL25flash_attn_mask_to_KV_maxILi2EEvPK7__half2Piiii.num_named_barrier, 0
	.set _ZL25flash_attn_mask_to_KV_maxILi2EEvPK7__half2Piiii.private_seg_size, 0
	.set _ZL25flash_attn_mask_to_KV_maxILi2EEvPK7__half2Piiii.uses_vcc, 1
	.set _ZL25flash_attn_mask_to_KV_maxILi2EEvPK7__half2Piiii.uses_flat_scratch, 0
	.set _ZL25flash_attn_mask_to_KV_maxILi2EEvPK7__half2Piiii.has_dyn_sized_stack, 0
	.set _ZL25flash_attn_mask_to_KV_maxILi2EEvPK7__half2Piiii.has_recursion, 0
	.set _ZL25flash_attn_mask_to_KV_maxILi2EEvPK7__half2Piiii.has_indirect_call, 0
	.section	.AMDGPU.csdata,"",@progbits
; Kernel info:
; codeLenInByte = 836
; TotalNumSgprs: 26
; NumVgprs: 17
; ScratchSize: 0
; MemoryBound: 0
; FloatMode: 240
; IeeeMode: 1
; LDSByteSize: 128 bytes/workgroup (compile time only)
; SGPRBlocks: 3
; VGPRBlocks: 4
; NumSGPRsForWavesPerEU: 26
; NumVGPRsForWavesPerEU: 17
; Occupancy: 10
; WaveLimiterHint : 0
; COMPUTE_PGM_RSRC2:SCRATCH_EN: 0
; COMPUTE_PGM_RSRC2:USER_SGPR: 6
; COMPUTE_PGM_RSRC2:TRAP_HANDLER: 0
; COMPUTE_PGM_RSRC2:TGID_X_EN: 1
; COMPUTE_PGM_RSRC2:TGID_Y_EN: 1
; COMPUTE_PGM_RSRC2:TGID_Z_EN: 0
; COMPUTE_PGM_RSRC2:TIDIG_COMP_CNT: 0
	.section	.text._ZL33flash_attn_stream_k_fixup_uniformILi64ELi2ELi8EEvPfPK15HIP_vector_typeIfLj2EEiiiiiiS1_IjLj3EES5_S5_,"axG",@progbits,_ZL33flash_attn_stream_k_fixup_uniformILi64ELi2ELi8EEvPfPK15HIP_vector_typeIfLj2EEiiiiiiS1_IjLj3EES5_S5_,comdat
	.globl	_ZL33flash_attn_stream_k_fixup_uniformILi64ELi2ELi8EEvPfPK15HIP_vector_typeIfLj2EEiiiiiiS1_IjLj3EES5_S5_ ; -- Begin function _ZL33flash_attn_stream_k_fixup_uniformILi64ELi2ELi8EEvPfPK15HIP_vector_typeIfLj2EEiiiiiiS1_IjLj3EES5_S5_
	.p2align	8
	.type	_ZL33flash_attn_stream_k_fixup_uniformILi64ELi2ELi8EEvPfPK15HIP_vector_typeIfLj2EEiiiiiiS1_IjLj3EES5_S5_,@function
_ZL33flash_attn_stream_k_fixup_uniformILi64ELi2ELi8EEvPfPK15HIP_vector_typeIfLj2EEiiiiiiS1_IjLj3EES5_S5_: ; @_ZL33flash_attn_stream_k_fixup_uniformILi64ELi2ELi8EEvPfPK15HIP_vector_typeIfLj2EEiiiiiiS1_IjLj3EES5_S5_
; %bb.0:
	s_load_dwordx8 s[12:19], s[4:5], 0x1c
	s_load_dwordx2 s[10:11], s[4:5], 0x10
	s_load_dwordx4 s[0:3], s[4:5], 0x3c
	s_waitcnt lgkmcnt(0)
	s_mul_hi_u32 s9, s15, s6
	s_add_i32 s9, s6, s9
	s_lshr_b32 s9, s9, s16
	s_mul_i32 s15, s9, s17
	s_sub_i32 s15, s6, s15
	s_mul_hi_u32 s16, s15, s18
	s_add_i32 s16, s15, s16
	s_lshr_b32 s16, s16, s19
	s_mul_i32 s0, s16, s0
	s_sub_i32 s0, s15, s0
	;; [unrolled: 5-line block ×3, first 2 shown]
	s_lshl_b32 s0, s17, 1
	s_lshl_b32 s15, s1, 3
	s_add_i32 s0, s0, s7
	s_cmp_lt_i32 s0, s10
	s_cselect_b64 s[0:1], -1, 0
	s_add_i32 s2, s15, s8
	s_cmp_lt_i32 s2, s13
	s_cselect_b64 s[2:3], -1, 0
	s_and_b64 s[0:1], s[0:1], s[2:3]
	s_andn2_b64 vcc, exec, s[0:1]
	s_cbranch_vccnz .LBB11_6
; %bb.1:
	s_load_dwordx4 s[0:3], s[4:5], 0x0
	s_mul_i32 s4, s9, s10
	s_add_i32 s4, s4, s7
	s_mul_i32 s4, s4, s11
	s_mul_i32 s16, s16, s13
	s_add_i32 s4, s4, s8
	s_add_i32 s4, s4, s16
	s_mul_i32 s5, s11, s17
	s_add_i32 s4, s4, s15
	s_lshl_b32 s5, s5, 7
	s_lshl_b32 s4, s4, 6
	s_add_i32 s5, s5, s4
	v_or_b32_e32 v1, s5, v0
	v_ashrrev_i32_e32 v2, 31, v1
	v_lshlrev_b64 v[1:2], 2, v[1:2]
	s_waitcnt lgkmcnt(0)
	v_mov_b32_e32 v3, s1
	v_add_co_u32_e32 v1, vcc, s0, v1
	v_addc_co_u32_e32 v2, vcc, v3, v2, vcc
	global_load_dword v8, v[1:2], off
	s_mul_i32 s9, s14, s6
	s_lshl_b32 s4, s7, 3
	s_add_i32 s11, s9, s14
	s_add_i32 s0, s4, s8
	s_lshl_b32 s1, s11, 4
	s_add_i32 s0, s0, s1
	s_add_i32 s0, s0, -16
	s_ashr_i32 s1, s0, 31
	s_lshl_b64 s[0:1], s[0:1], 3
	s_add_u32 s0, s2, s0
	s_addc_u32 s1, s3, s1
	s_load_dword s5, s[0:1], 0x4
	s_add_i32 s10, s11, -2
	s_cmp_lt_i32 s10, s9
	s_cbranch_scc1 .LBB11_4
; %bb.2:
	s_lshl_b32 s16, s12, 6
	s_ashr_i32 s17, s16, 31
	s_lshl_b64 s[16:17], s[16:17], 2
	s_add_u32 s10, s2, s16
	s_addc_u32 s13, s3, s17
	s_add_i32 s6, s6, 1
	s_load_dword s0, s[0:1], 0x0
	s_mul_i32 s1, s14, s6
	s_lshl_b32 s7, s7, 9
	s_lshl_b32 s14, s8, 6
	s_lshl_b32 s6, s1, 10
	s_add_i32 s7, s14, s7
	s_lshl_b32 s1, s1, 4
	s_add_i32 s7, s7, s6
	s_add_i32 s1, s8, s1
	s_lshl_b32 s6, s12, 4
	s_add_i32 s1, s1, s6
	v_or_b32_e32 v0, s7, v0
	s_add_i32 s1, s1, s4
	s_add_i32 s11, s11, -1
	v_add_u32_e32 v3, 0xfffff800, v0
	s_sub_i32 s4, s1, 32
	s_waitcnt lgkmcnt(0)
	v_mov_b32_e32 v7, s5
	v_mov_b32_e32 v6, s0
	;; [unrolled: 1-line block ×3, first 2 shown]
	s_mov_b32 s6, 0x3fb8aa3b
	s_mov_b32 s7, 0xc2ce8ed0
	;; [unrolled: 1-line block ×3, first 2 shown]
	v_mov_b32_e32 v5, 0x7f800000
	s_mov_b32 s12, 0xc1a00000
.LBB11_3:                               ; =>This Inner Loop Header: Depth=1
	v_ashrrev_i32_e32 v4, 31, v3
	v_lshlrev_b64 v[9:10], 2, v[3:4]
	s_ashr_i32 s5, s4, 31
	v_add_co_u32_e32 v9, vcc, s10, v9
	v_addc_co_u32_e32 v10, vcc, v0, v10, vcc
	global_load_dword v4, v[9:10], off
	s_lshl_b64 s[0:1], s[4:5], 3
	s_add_u32 s0, s2, s0
	s_addc_u32 s1, s3, s1
	s_load_dwordx2 s[14:15], s[0:1], 0x0
	s_waitcnt vmcnt(1)
	v_mov_b32_e32 v9, v8
	v_max_f32_e32 v8, v6, v6
	v_mov_b32_e32 v10, v7
	s_add_i32 s11, s11, -1
	s_waitcnt lgkmcnt(0)
	v_max_f32_e64 v7, s14, s14
	v_max_f32_e32 v7, v8, v7
	v_sub_f32_e32 v11, s14, v7
	v_sub_f32_e32 v8, v6, v7
	v_mul_f32_e32 v12, 0x3fb8aa3b, v11
	v_mov_b32_e32 v6, v7
	v_mul_f32_e32 v7, 0x3fb8aa3b, v8
	v_fma_f32 v15, v11, s6, -v12
	v_rndne_f32_e32 v16, v12
	v_fma_f32 v13, v8, s6, -v7
	v_rndne_f32_e32 v14, v7
	v_fmac_f32_e32 v15, 0x32a5705f, v11
	v_sub_f32_e32 v12, v12, v16
	v_fmac_f32_e32 v13, 0x32a5705f, v8
	v_sub_f32_e32 v7, v7, v14
	v_add_f32_e32 v12, v12, v15
	v_cvt_i32_f32_e32 v16, v16
	v_add_f32_e32 v7, v7, v13
	v_exp_f32_e32 v12, v12
	v_cvt_i32_f32_e32 v14, v14
	v_exp_f32_e32 v7, v7
	v_cmp_ngt_f32_e32 vcc, s7, v11
	v_ldexp_f32 v12, v12, v16
	v_cmp_ngt_f32_e64 s[0:1], s7, v8
	v_ldexp_f32 v7, v7, v14
	v_cndmask_b32_e32 v12, 0, v12, vcc
	v_cmp_nlt_f32_e32 vcc, s8, v11
	v_cndmask_b32_e64 v7, 0, v7, s[0:1]
	v_cmp_nlt_f32_e64 s[0:1], s8, v8
	v_cndmask_b32_e32 v12, v5, v12, vcc
	v_cmp_le_f32_e32 vcc, s12, v11
	v_cndmask_b32_e64 v7, v5, v7, s[0:1]
	v_cmp_le_f32_e64 s[0:1], s12, v8
	v_cndmask_b32_e32 v8, 0, v12, vcc
	s_add_i32 s4, s4, -16
	v_cndmask_b32_e64 v11, 0, v7, s[0:1]
	v_mul_f32_e32 v7, s15, v8
	v_add_u32_e32 v3, 0xfffffc00, v3
	s_cmp_le_i32 s11, s9
	v_fmac_f32_e32 v7, v10, v11
	s_waitcnt vmcnt(0)
	v_mul_f32_e32 v8, v4, v8
	v_fmac_f32_e32 v8, v9, v11
	s_cbranch_scc0 .LBB11_3
	s_branch .LBB11_5
.LBB11_4:
	s_waitcnt lgkmcnt(0)
	v_mov_b32_e32 v7, s5
.LBB11_5:
	s_waitcnt vmcnt(0)
	v_div_scale_f32 v0, s[0:1], v7, v7, v8
	v_div_scale_f32 v3, vcc, v8, v7, v8
	v_rcp_f32_e32 v4, v0
	v_fma_f32 v5, -v0, v4, 1.0
	v_fmac_f32_e32 v4, v5, v4
	v_mul_f32_e32 v5, v3, v4
	v_fma_f32 v6, -v0, v5, v3
	v_fmac_f32_e32 v5, v6, v4
	v_fma_f32 v0, -v0, v5, v3
	v_div_fmas_f32 v0, v0, v4, v5
	v_div_fixup_f32 v0, v0, v7, v8
	global_store_dword v[1:2], v0, off
.LBB11_6:
	s_endpgm
	.section	.rodata,"a",@progbits
	.p2align	6, 0x0
	.amdhsa_kernel _ZL33flash_attn_stream_k_fixup_uniformILi64ELi2ELi8EEvPfPK15HIP_vector_typeIfLj2EEiiiiiiS1_IjLj3EES5_S5_
		.amdhsa_group_segment_fixed_size 0
		.amdhsa_private_segment_fixed_size 0
		.amdhsa_kernarg_size 76
		.amdhsa_user_sgpr_count 6
		.amdhsa_user_sgpr_private_segment_buffer 1
		.amdhsa_user_sgpr_dispatch_ptr 0
		.amdhsa_user_sgpr_queue_ptr 0
		.amdhsa_user_sgpr_kernarg_segment_ptr 1
		.amdhsa_user_sgpr_dispatch_id 0
		.amdhsa_user_sgpr_flat_scratch_init 0
		.amdhsa_user_sgpr_private_segment_size 0
		.amdhsa_uses_dynamic_stack 0
		.amdhsa_system_sgpr_private_segment_wavefront_offset 0
		.amdhsa_system_sgpr_workgroup_id_x 1
		.amdhsa_system_sgpr_workgroup_id_y 1
		.amdhsa_system_sgpr_workgroup_id_z 1
		.amdhsa_system_sgpr_workgroup_info 0
		.amdhsa_system_vgpr_workitem_id 0
		.amdhsa_next_free_vgpr 17
		.amdhsa_next_free_sgpr 20
		.amdhsa_reserve_vcc 1
		.amdhsa_reserve_flat_scratch 0
		.amdhsa_float_round_mode_32 0
		.amdhsa_float_round_mode_16_64 0
		.amdhsa_float_denorm_mode_32 3
		.amdhsa_float_denorm_mode_16_64 3
		.amdhsa_dx10_clamp 1
		.amdhsa_ieee_mode 1
		.amdhsa_fp16_overflow 0
		.amdhsa_exception_fp_ieee_invalid_op 0
		.amdhsa_exception_fp_denorm_src 0
		.amdhsa_exception_fp_ieee_div_zero 0
		.amdhsa_exception_fp_ieee_overflow 0
		.amdhsa_exception_fp_ieee_underflow 0
		.amdhsa_exception_fp_ieee_inexact 0
		.amdhsa_exception_int_div_zero 0
	.end_amdhsa_kernel
	.section	.text._ZL33flash_attn_stream_k_fixup_uniformILi64ELi2ELi8EEvPfPK15HIP_vector_typeIfLj2EEiiiiiiS1_IjLj3EES5_S5_,"axG",@progbits,_ZL33flash_attn_stream_k_fixup_uniformILi64ELi2ELi8EEvPfPK15HIP_vector_typeIfLj2EEiiiiiiS1_IjLj3EES5_S5_,comdat
.Lfunc_end11:
	.size	_ZL33flash_attn_stream_k_fixup_uniformILi64ELi2ELi8EEvPfPK15HIP_vector_typeIfLj2EEiiiiiiS1_IjLj3EES5_S5_, .Lfunc_end11-_ZL33flash_attn_stream_k_fixup_uniformILi64ELi2ELi8EEvPfPK15HIP_vector_typeIfLj2EEiiiiiiS1_IjLj3EES5_S5_
                                        ; -- End function
	.set _ZL33flash_attn_stream_k_fixup_uniformILi64ELi2ELi8EEvPfPK15HIP_vector_typeIfLj2EEiiiiiiS1_IjLj3EES5_S5_.num_vgpr, 17
	.set _ZL33flash_attn_stream_k_fixup_uniformILi64ELi2ELi8EEvPfPK15HIP_vector_typeIfLj2EEiiiiiiS1_IjLj3EES5_S5_.num_agpr, 0
	.set _ZL33flash_attn_stream_k_fixup_uniformILi64ELi2ELi8EEvPfPK15HIP_vector_typeIfLj2EEiiiiiiS1_IjLj3EES5_S5_.numbered_sgpr, 20
	.set _ZL33flash_attn_stream_k_fixup_uniformILi64ELi2ELi8EEvPfPK15HIP_vector_typeIfLj2EEiiiiiiS1_IjLj3EES5_S5_.num_named_barrier, 0
	.set _ZL33flash_attn_stream_k_fixup_uniformILi64ELi2ELi8EEvPfPK15HIP_vector_typeIfLj2EEiiiiiiS1_IjLj3EES5_S5_.private_seg_size, 0
	.set _ZL33flash_attn_stream_k_fixup_uniformILi64ELi2ELi8EEvPfPK15HIP_vector_typeIfLj2EEiiiiiiS1_IjLj3EES5_S5_.uses_vcc, 1
	.set _ZL33flash_attn_stream_k_fixup_uniformILi64ELi2ELi8EEvPfPK15HIP_vector_typeIfLj2EEiiiiiiS1_IjLj3EES5_S5_.uses_flat_scratch, 0
	.set _ZL33flash_attn_stream_k_fixup_uniformILi64ELi2ELi8EEvPfPK15HIP_vector_typeIfLj2EEiiiiiiS1_IjLj3EES5_S5_.has_dyn_sized_stack, 0
	.set _ZL33flash_attn_stream_k_fixup_uniformILi64ELi2ELi8EEvPfPK15HIP_vector_typeIfLj2EEiiiiiiS1_IjLj3EES5_S5_.has_recursion, 0
	.set _ZL33flash_attn_stream_k_fixup_uniformILi64ELi2ELi8EEvPfPK15HIP_vector_typeIfLj2EEiiiiiiS1_IjLj3EES5_S5_.has_indirect_call, 0
	.section	.AMDGPU.csdata,"",@progbits
; Kernel info:
; codeLenInByte = 856
; TotalNumSgprs: 24
; NumVgprs: 17
; ScratchSize: 0
; MemoryBound: 0
; FloatMode: 240
; IeeeMode: 1
; LDSByteSize: 0 bytes/workgroup (compile time only)
; SGPRBlocks: 2
; VGPRBlocks: 4
; NumSGPRsForWavesPerEU: 24
; NumVGPRsForWavesPerEU: 17
; Occupancy: 10
; WaveLimiterHint : 0
; COMPUTE_PGM_RSRC2:SCRATCH_EN: 0
; COMPUTE_PGM_RSRC2:USER_SGPR: 6
; COMPUTE_PGM_RSRC2:TRAP_HANDLER: 0
; COMPUTE_PGM_RSRC2:TGID_X_EN: 1
; COMPUTE_PGM_RSRC2:TGID_Y_EN: 1
; COMPUTE_PGM_RSRC2:TGID_Z_EN: 1
; COMPUTE_PGM_RSRC2:TIDIG_COMP_CNT: 0
	.section	.text._ZL33flash_attn_stream_k_fixup_generalILi64ELi2ELi8EEvPfPK15HIP_vector_typeIfLj2EEiiiiS1_IjLj3EES5_S5_S5_,"axG",@progbits,_ZL33flash_attn_stream_k_fixup_generalILi64ELi2ELi8EEvPfPK15HIP_vector_typeIfLj2EEiiiiS1_IjLj3EES5_S5_S5_,comdat
	.globl	_ZL33flash_attn_stream_k_fixup_generalILi64ELi2ELi8EEvPfPK15HIP_vector_typeIfLj2EEiiiiS1_IjLj3EES5_S5_S5_ ; -- Begin function _ZL33flash_attn_stream_k_fixup_generalILi64ELi2ELi8EEvPfPK15HIP_vector_typeIfLj2EEiiiiS1_IjLj3EES5_S5_S5_
	.p2align	8
	.type	_ZL33flash_attn_stream_k_fixup_generalILi64ELi2ELi8EEvPfPK15HIP_vector_typeIfLj2EEiiiiS1_IjLj3EES5_S5_S5_,@function
_ZL33flash_attn_stream_k_fixup_generalILi64ELi2ELi8EEvPfPK15HIP_vector_typeIfLj2EEiiiiS1_IjLj3EES5_S5_S5_: ; @_ZL33flash_attn_stream_k_fixup_generalILi64ELi2ELi8EEvPfPK15HIP_vector_typeIfLj2EEiiiiS1_IjLj3EES5_S5_S5_
; %bb.0:
	s_load_dwordx4 s[0:3], s[4:5], 0x10
	s_load_dword s22, s[4:5], 0x50
	s_mov_b32 s12, 0
	s_waitcnt lgkmcnt(0)
	s_mul_hi_i32 s13, s3, s6
	s_cmp_lg_u64 s[12:13], 0
	s_mul_i32 s9, s3, s6
	s_cbranch_scc0 .LBB12_20
; %bb.1:
	s_add_u32 s10, s22, 0
	s_addc_u32 s11, 0, 0
	s_xor_b64 s[10:11], s[10:11], 0
	v_cvt_f32_u32_e32 v1, s10
	v_cvt_f32_u32_e32 v2, s11
	s_sub_u32 s12, 0, s10
	s_subb_u32 s18, 0, s11
	v_madmk_f32 v1, v2, 0x4f800000, v1
	v_rcp_f32_e32 v1, v1
	v_mul_f32_e32 v1, 0x5f7ffffc, v1
	v_mul_f32_e32 v2, 0x2f800000, v1
	v_trunc_f32_e32 v2, v2
	v_madmk_f32 v1, v2, 0xcf800000, v1
	v_cvt_u32_f32_e32 v2, v2
	v_cvt_u32_f32_e32 v1, v1
	v_readfirstlane_b32 s19, v2
	v_readfirstlane_b32 s14, v1
	s_mul_i32 s15, s12, s19
	s_mul_hi_u32 s21, s12, s14
	s_mul_i32 s20, s18, s14
	s_add_i32 s15, s21, s15
	s_add_i32 s15, s15, s20
	s_mul_i32 s23, s12, s14
	s_mul_i32 s21, s14, s15
	s_mul_hi_u32 s24, s14, s23
	s_mul_hi_u32 s20, s14, s15
	s_add_u32 s21, s24, s21
	s_addc_u32 s20, 0, s20
	s_mul_hi_u32 s25, s19, s23
	s_mul_i32 s23, s19, s23
	s_add_u32 s21, s21, s23
	s_mul_hi_u32 s24, s19, s15
	s_addc_u32 s20, s20, s25
	s_addc_u32 s21, s24, 0
	s_mul_i32 s15, s19, s15
	s_add_u32 s15, s20, s15
	s_addc_u32 s20, 0, s21
	s_add_u32 s21, s14, s15
	s_cselect_b64 s[14:15], -1, 0
	s_cmp_lg_u64 s[14:15], 0
	s_addc_u32 s19, s19, s20
	s_mul_i32 s14, s12, s19
	s_mul_hi_u32 s15, s12, s21
	s_add_i32 s14, s15, s14
	s_mul_i32 s18, s18, s21
	s_add_i32 s14, s14, s18
	s_mul_i32 s12, s12, s21
	s_mul_hi_u32 s18, s19, s12
	s_mul_i32 s20, s19, s12
	s_mul_i32 s24, s21, s14
	s_mul_hi_u32 s12, s21, s12
	s_mul_hi_u32 s23, s21, s14
	s_add_u32 s12, s12, s24
	s_addc_u32 s23, 0, s23
	s_add_u32 s12, s12, s20
	s_mul_hi_u32 s15, s19, s14
	s_addc_u32 s12, s23, s18
	s_addc_u32 s15, s15, 0
	s_mul_i32 s14, s19, s14
	s_add_u32 s12, s12, s14
	s_addc_u32 s18, 0, s15
	s_add_u32 s20, s21, s12
	s_cselect_b64 s[14:15], -1, 0
	s_cmp_lg_u64 s[14:15], 0
	s_addc_u32 s18, s19, s18
	s_ashr_i32 s14, s13, 31
	s_add_u32 s12, s9, s14
	s_mov_b32 s15, s14
	s_addc_u32 s13, s13, s14
	s_xor_b64 s[12:13], s[12:13], s[14:15]
	s_mul_i32 s21, s12, s18
	s_mul_hi_u32 s23, s12, s20
	s_mul_hi_u32 s19, s12, s18
	s_add_u32 s21, s23, s21
	s_addc_u32 s19, 0, s19
	s_mul_hi_u32 s24, s13, s20
	s_mul_i32 s20, s13, s20
	s_add_u32 s20, s21, s20
	s_mul_hi_u32 s23, s13, s18
	s_addc_u32 s19, s19, s24
	s_addc_u32 s20, s23, 0
	s_mul_i32 s18, s13, s18
	s_add_u32 s23, s19, s18
	s_addc_u32 s24, 0, s20
	s_mul_i32 s18, s10, s24
	s_mul_hi_u32 s19, s10, s23
	s_add_i32 s18, s19, s18
	s_mul_i32 s19, s11, s23
	s_add_i32 s25, s18, s19
	s_sub_i32 s20, s13, s25
	s_mul_i32 s18, s10, s23
	s_sub_u32 s12, s12, s18
	s_cselect_b64 s[18:19], -1, 0
	s_cmp_lg_u64 s[18:19], 0
	s_subb_u32 s26, s20, s11
	s_sub_u32 s27, s12, s10
	s_cselect_b64 s[20:21], -1, 0
	s_cmp_lg_u64 s[20:21], 0
	s_subb_u32 s20, s26, 0
	s_cmp_ge_u32 s20, s11
	s_cselect_b32 s21, -1, 0
	s_cmp_ge_u32 s27, s10
	s_cselect_b32 s26, -1, 0
	s_cmp_eq_u32 s20, s11
	s_cselect_b32 s20, s26, s21
	s_add_u32 s21, s23, 1
	s_addc_u32 s26, s24, 0
	s_add_u32 s27, s23, 2
	s_addc_u32 s28, s24, 0
	s_cmp_lg_u32 s20, 0
	s_cselect_b32 s20, s27, s21
	s_cselect_b32 s21, s28, s26
	s_cmp_lg_u64 s[18:19], 0
	s_subb_u32 s13, s13, s25
	s_cmp_ge_u32 s13, s11
	s_cselect_b32 s18, -1, 0
	s_cmp_ge_u32 s12, s10
	s_cselect_b32 s10, -1, 0
	s_cmp_eq_u32 s13, s11
	s_cselect_b32 s10, s10, s18
	s_cmp_lg_u32 s10, 0
	s_cselect_b32 s11, s21, s24
	s_cselect_b32 s10, s20, s23
	s_xor_b64 s[12:13], s[14:15], 0
	s_xor_b64 s[10:11], s[10:11], s[12:13]
	s_sub_u32 s10, s10, s12
	s_load_dwordx4 s[12:15], s[4:5], 0x44
	s_cbranch_execnz .LBB12_3
.LBB12_2:
	v_cvt_f32_u32_e32 v1, s22
	s_sub_i32 s10, 0, s22
	v_rcp_iflag_f32_e32 v1, v1
	v_mul_f32_e32 v1, 0x4f7ffffe, v1
	v_cvt_u32_f32_e32 v1, v1
	v_readfirstlane_b32 s11, v1
	s_mul_i32 s10, s10, s11
	s_mul_hi_u32 s10, s11, s10
	s_add_i32 s11, s11, s10
	s_mul_hi_u32 s10, s9, s11
	s_waitcnt lgkmcnt(0)
	s_mul_i32 s15, s10, s22
	s_sub_i32 s9, s9, s15
	s_add_i32 s11, s10, 1
	s_sub_i32 s15, s9, s22
	s_cmp_ge_u32 s9, s22
	s_cselect_b32 s10, s11, s10
	s_cselect_b32 s9, s15, s9
	s_add_i32 s11, s10, 1
	s_cmp_ge_u32 s9, s22
	s_cselect_b32 s10, s11, s10
.LBB12_3:
	s_add_i32 s9, s6, 1
	s_mul_hi_i32 s21, s3, s9
	s_mov_b32 s20, 0
	s_cmp_lg_u64 s[20:21], 0
	s_mul_i32 s9, s3, s9
	s_cbranch_scc0 .LBB12_21
; %bb.4:
	s_add_u32 s16, s22, 0
	s_addc_u32 s17, 0, 0
	s_xor_b64 s[18:19], s[16:17], 0
	v_cvt_f32_u32_e32 v1, s18
	v_cvt_f32_u32_e32 v2, s19
	s_sub_u32 s11, 0, s18
	s_waitcnt lgkmcnt(0)
	s_subb_u32 s15, 0, s19
	v_madmk_f32 v1, v2, 0x4f800000, v1
	v_rcp_f32_e32 v1, v1
	v_mul_f32_e32 v1, 0x5f7ffffc, v1
	v_mul_f32_e32 v2, 0x2f800000, v1
	v_trunc_f32_e32 v2, v2
	v_madmk_f32 v1, v2, 0xcf800000, v1
	v_cvt_u32_f32_e32 v2, v2
	v_cvt_u32_f32_e32 v1, v1
	v_readfirstlane_b32 s20, v2
	v_readfirstlane_b32 s23, v1
	s_mul_i32 s24, s11, s20
	s_mul_hi_u32 s26, s11, s23
	s_mul_i32 s25, s15, s23
	s_add_i32 s24, s26, s24
	s_add_i32 s24, s24, s25
	s_mul_i32 s27, s11, s23
	s_mul_i32 s26, s23, s24
	s_mul_hi_u32 s28, s23, s27
	s_mul_hi_u32 s25, s23, s24
	s_add_u32 s26, s28, s26
	s_addc_u32 s25, 0, s25
	s_mul_hi_u32 s29, s20, s27
	s_mul_i32 s27, s20, s27
	s_add_u32 s26, s26, s27
	s_mul_hi_u32 s28, s20, s24
	s_addc_u32 s25, s25, s29
	s_addc_u32 s26, s28, 0
	s_mul_i32 s24, s20, s24
	s_add_u32 s24, s25, s24
	s_addc_u32 s26, 0, s26
	s_add_u32 s23, s23, s24
	s_cselect_b64 s[24:25], -1, 0
	s_cmp_lg_u64 s[24:25], 0
	s_addc_u32 s20, s20, s26
	s_mul_i32 s24, s11, s20
	s_mul_hi_u32 s25, s11, s23
	s_add_i32 s24, s25, s24
	s_mul_i32 s15, s15, s23
	s_add_i32 s24, s24, s15
	s_mul_i32 s11, s11, s23
	s_mul_hi_u32 s25, s20, s11
	s_mul_i32 s26, s20, s11
	s_mul_i32 s28, s23, s24
	s_mul_hi_u32 s11, s23, s11
	s_mul_hi_u32 s27, s23, s24
	s_add_u32 s11, s11, s28
	s_addc_u32 s27, 0, s27
	s_add_u32 s11, s11, s26
	s_mul_hi_u32 s15, s20, s24
	s_addc_u32 s11, s27, s25
	s_addc_u32 s15, s15, 0
	s_mul_i32 s24, s20, s24
	s_add_u32 s11, s11, s24
	s_addc_u32 s15, 0, s15
	s_add_u32 s11, s23, s11
	s_cselect_b64 s[24:25], -1, 0
	s_cmp_lg_u64 s[24:25], 0
	s_addc_u32 s15, s20, s15
	s_ashr_i32 s24, s21, 31
	s_add_u32 s20, s9, s24
	s_mov_b32 s25, s24
	s_addc_u32 s21, s21, s24
	s_xor_b64 s[20:21], s[20:21], s[24:25]
	s_mul_i32 s26, s20, s15
	s_mul_hi_u32 s27, s20, s11
	s_mul_hi_u32 s23, s20, s15
	s_add_u32 s26, s27, s26
	s_addc_u32 s23, 0, s23
	s_mul_hi_u32 s28, s21, s11
	s_mul_i32 s11, s21, s11
	s_add_u32 s11, s26, s11
	s_mul_hi_u32 s27, s21, s15
	s_addc_u32 s11, s23, s28
	s_addc_u32 s23, s27, 0
	s_mul_i32 s15, s21, s15
	s_add_u32 s11, s11, s15
	s_addc_u32 s15, 0, s23
	s_mul_i32 s23, s18, s15
	s_mul_hi_u32 s26, s18, s11
	s_add_i32 s23, s26, s23
	s_mul_i32 s26, s19, s11
	s_add_i32 s23, s23, s26
	s_sub_i32 s28, s21, s23
	s_mul_i32 s26, s18, s11
	s_sub_u32 s20, s20, s26
	s_cselect_b64 s[26:27], -1, 0
	s_cmp_lg_u64 s[26:27], 0
	s_subb_u32 s30, s28, s19
	s_sub_u32 s31, s20, s18
	s_cselect_b64 s[28:29], -1, 0
	s_cmp_lg_u64 s[28:29], 0
	s_subb_u32 s28, s30, 0
	s_cmp_ge_u32 s28, s19
	s_cselect_b32 s29, -1, 0
	s_cmp_ge_u32 s31, s18
	s_cselect_b32 s30, -1, 0
	s_cmp_eq_u32 s28, s19
	s_cselect_b32 s28, s30, s29
	s_add_u32 s29, s11, 1
	s_addc_u32 s30, s15, 0
	s_add_u32 s31, s11, 2
	s_addc_u32 s33, s15, 0
	s_cmp_lg_u32 s28, 0
	s_cselect_b32 s28, s31, s29
	s_cselect_b32 s29, s33, s30
	s_cmp_lg_u64 s[26:27], 0
	s_subb_u32 s21, s21, s23
	s_cmp_ge_u32 s21, s19
	s_cselect_b32 s23, -1, 0
	s_cmp_ge_u32 s20, s18
	s_cselect_b32 s18, -1, 0
	s_cmp_eq_u32 s21, s19
	s_cselect_b32 s18, s18, s23
	s_cmp_lg_u32 s18, 0
	s_cselect_b32 s19, s29, s15
	s_cselect_b32 s18, s28, s11
	s_xor_b64 s[20:21], s[24:25], 0
	s_xor_b64 s[18:19], s[18:19], s[20:21]
	s_sub_u32 s18, s18, s20
	s_cbranch_execnz .LBB12_6
.LBB12_5:
	v_cvt_f32_u32_e32 v1, s22
	s_sub_i32 s11, 0, s22
	v_rcp_iflag_f32_e32 v1, v1
	v_mul_f32_e32 v1, 0x4f7ffffe, v1
	v_cvt_u32_f32_e32 v1, v1
	s_waitcnt lgkmcnt(0)
	v_readfirstlane_b32 s15, v1
	s_mul_i32 s11, s11, s15
	s_mul_hi_u32 s11, s15, s11
	s_add_i32 s15, s15, s11
	s_mul_hi_u32 s11, s9, s15
	s_mul_i32 s16, s11, s22
	s_sub_i32 s9, s9, s16
	s_add_i32 s15, s11, 1
	s_sub_i32 s16, s9, s22
	s_cmp_ge_u32 s9, s22
	s_cselect_b32 s11, s15, s11
	s_cselect_b32 s9, s16, s9
	s_add_i32 s15, s11, 1
	s_cmp_ge_u32 s9, s22
	s_cselect_b32 s18, s15, s11
.LBB12_6:
	s_cmp_eq_u32 s10, s18
	s_waitcnt lgkmcnt(0)
	s_mul_hi_u32 s9, s10, s12
	s_cselect_b64 s[16:17], -1, 0
	s_add_i32 s9, s9, s10
	s_lshr_b32 s11, s9, s13
	s_mul_i32 s9, s11, s14
	s_cmp_eq_u32 s9, s10
	s_mul_hi_u32 s9, s18, s12
	s_cselect_b64 s[20:21], -1, 0
	s_add_i32 s9, s9, s18
	s_lshr_b32 s9, s9, s13
	s_cmp_eq_u32 s11, s9
	s_mul_i32 s9, s9, s14
	s_cselect_b64 s[24:25], -1, 0
	s_cmp_lg_u32 s9, s18
	s_cselect_b64 s[18:19], -1, 0
	s_and_b64 s[18:19], s[24:25], s[18:19]
	s_or_b64 s[16:17], s[16:17], s[20:21]
	s_or_b64 s[16:17], s[16:17], s[18:19]
	s_and_b64 vcc, exec, s[16:17]
	s_cbranch_vccnz .LBB12_23
; %bb.7:
	s_load_dwordx8 s[24:31], s[4:5], 0x20
	s_load_dword s15, s[4:5], 0x40
	s_waitcnt lgkmcnt(0)
	s_mul_hi_u32 s9, s10, s24
	s_add_i32 s9, s9, s10
	s_lshr_b32 s9, s9, s25
	s_mul_i32 s16, s9, s26
	s_sub_i32 s16, s10, s16
	s_mul_hi_u32 s17, s16, s27
	s_add_i32 s17, s16, s17
	s_lshr_b32 s23, s17, s28
	s_mul_i32 s17, s23, s29
	s_sub_i32 s16, s16, s17
	;; [unrolled: 5-line block ×3, first 2 shown]
	s_mul_hi_u32 s16, s15, s12
	s_add_i32 s15, s15, s16
	s_lshr_b32 s25, s15, s13
	s_lshl_b32 s15, s25, 1
	s_lshl_b32 s24, s17, 3
	s_add_i32 s15, s15, s7
	s_cmp_lt_i32 s15, s0
	s_cselect_b64 s[16:17], -1, 0
	s_add_i32 s15, s24, s8
	s_cmp_lt_i32 s15, s2
	s_cselect_b64 s[18:19], -1, 0
	s_and_b64 s[16:17], s[16:17], s[18:19]
	s_andn2_b64 vcc, exec, s[16:17]
	s_cbranch_vccnz .LBB12_23
; %bb.8:
	s_load_dwordx4 s[16:19], s[4:5], 0x0
	s_mov_b32 s4, 0
	s_lshl_b32 s15, s7, 3
	s_lshl_b32 s20, s22, 6
	s_mov_b32 s21, s4
	s_add_i32 s15, s15, s8
	s_lshl_b64 s[20:21], s[20:21], 2
	s_waitcnt lgkmcnt(0)
	s_add_u32 s20, s18, s20
	s_mul_i32 s0, s9, s0
	s_addc_u32 s21, s19, s21
	s_add_i32 s0, s0, s7
	s_mul_i32 s0, s0, s1
	s_mul_i32 s23, s23, s2
	s_add_i32 s0, s0, s8
	s_add_i32 s0, s0, s23
	s_mul_i32 s2, s1, s25
	s_add_i32 s0, s0, s24
	s_lshl_b32 s2, s2, 7
	s_lshl_b32 s0, s0, 6
	s_add_i32 s2, s2, s0
	v_or_b32_e32 v1, s2, v0
	v_ashrrev_i32_e32 v2, 31, v1
	v_lshlrev_b64 v[1:2], 2, v[1:2]
	v_mov_b32_e32 v3, s17
	v_add_co_u32_e32 v1, vcc, s16, v1
	v_addc_co_u32_e32 v2, vcc, v3, v2, vcc
	global_load_dword v3, v[1:2], off
	v_cvt_f32_u32_e32 v4, s22
	s_lshl_b32 s0, s6, 4
	s_add_i32 s0, s15, s0
	s_ashr_i32 s1, s0, 31
	s_lshl_b64 s[0:1], s[0:1], 3
	v_rcp_iflag_f32_e32 v4, v4
	s_add_u32 s0, s18, s0
	s_addc_u32 s1, s19, s1
	s_load_dwordx2 s[0:1], s[0:1], 0x0
	v_mul_f32_e32 v4, 0x4f7ffffe, v4
	v_cvt_u32_f32_e32 v4, v4
	s_add_i32 s24, s6, -1
	v_lshl_or_b32 v0, s15, 6, v0
	s_waitcnt lgkmcnt(0)
	v_mov_b32_e32 v6, s1
	v_mov_b32_e32 v7, s0
	s_mov_b32 s2, 0x3fb8aa3b
	s_mov_b32 s16, 0xc2ce8ed0
	;; [unrolled: 1-line block ×4, first 2 shown]
	v_mov_b32_e32 v5, 0x7f800000
	s_mul_hi_i32 s5, s24, s3
	s_cmp_lg_u64 s[4:5], 0
	s_mul_i32 s8, s24, s3
	s_cbranch_scc0 .LBB12_19
.LBB12_9:
	s_add_u32 s0, s22, 0
	s_addc_u32 s1, 0, 0
	s_xor_b64 s[0:1], s[0:1], 0
	v_cvt_f32_u32_e32 v8, s0
	v_cvt_f32_u32_e32 v9, s1
	s_sub_u32 s9, 0, s0
	s_subb_u32 s25, 0, s1
	v_mac_f32_e32 v8, 0x4f800000, v9
	v_rcp_f32_e32 v8, v8
	v_mul_f32_e32 v8, 0x5f7ffffc, v8
	v_mul_f32_e32 v9, 0x2f800000, v8
	v_trunc_f32_e32 v9, v9
	v_mac_f32_e32 v8, 0xcf800000, v9
	v_cvt_u32_f32_e32 v9, v9
	v_cvt_u32_f32_e32 v8, v8
	v_readfirstlane_b32 s26, v9
	v_readfirstlane_b32 s6, v8
	s_mul_i32 s7, s9, s26
	s_mul_hi_u32 s28, s9, s6
	s_mul_i32 s27, s25, s6
	s_add_i32 s7, s28, s7
	s_mul_i32 s29, s9, s6
	s_add_i32 s7, s7, s27
	s_mul_i32 s28, s6, s7
	s_mul_hi_u32 s30, s6, s29
	s_mul_hi_u32 s27, s6, s7
	s_add_u32 s28, s30, s28
	s_addc_u32 s27, 0, s27
	s_mul_hi_u32 s31, s26, s29
	s_mul_i32 s29, s26, s29
	s_add_u32 s28, s28, s29
	s_mul_hi_u32 s30, s26, s7
	s_addc_u32 s27, s27, s31
	s_addc_u32 s28, s30, 0
	s_mul_i32 s7, s26, s7
	s_add_u32 s7, s27, s7
	s_addc_u32 s27, 0, s28
	s_add_u32 s28, s6, s7
	s_cselect_b64 s[6:7], -1, 0
	s_cmp_lg_u64 s[6:7], 0
	s_addc_u32 s26, s26, s27
	s_mul_i32 s6, s9, s26
	s_mul_hi_u32 s7, s9, s28
	s_add_i32 s6, s7, s6
	s_mul_i32 s25, s25, s28
	s_add_i32 s6, s6, s25
	s_mul_i32 s9, s9, s28
	s_mul_hi_u32 s25, s26, s9
	s_mul_i32 s27, s26, s9
	s_mul_i32 s30, s28, s6
	s_mul_hi_u32 s9, s28, s9
	s_mul_hi_u32 s29, s28, s6
	s_add_u32 s9, s9, s30
	s_addc_u32 s29, 0, s29
	s_add_u32 s9, s9, s27
	s_mul_hi_u32 s7, s26, s6
	s_addc_u32 s9, s29, s25
	s_addc_u32 s7, s7, 0
	s_mul_i32 s6, s26, s6
	s_add_u32 s6, s9, s6
	s_addc_u32 s9, 0, s7
	s_add_u32 s25, s28, s6
	s_cselect_b64 s[6:7], -1, 0
	s_cmp_lg_u64 s[6:7], 0
	s_addc_u32 s9, s26, s9
	s_ashr_i32 s6, s5, 31
	s_add_u32 s26, s8, s6
	s_mov_b32 s7, s6
	s_addc_u32 s27, s5, s6
	s_xor_b64 s[26:27], s[26:27], s[6:7]
	s_mul_i32 s28, s26, s9
	s_mul_hi_u32 s29, s26, s25
	s_mul_hi_u32 s5, s26, s9
	s_add_u32 s28, s29, s28
	s_addc_u32 s5, 0, s5
	s_mul_hi_u32 s30, s27, s25
	s_mul_i32 s25, s27, s25
	s_add_u32 s25, s28, s25
	s_mul_hi_u32 s29, s27, s9
	s_addc_u32 s5, s5, s30
	s_addc_u32 s25, s29, 0
	s_mul_i32 s9, s27, s9
	s_add_u32 s5, s5, s9
	s_addc_u32 s9, 0, s25
	s_mul_i32 s25, s0, s9
	s_mul_hi_u32 s28, s0, s5
	s_add_i32 s25, s28, s25
	s_mul_i32 s28, s1, s5
	s_add_i32 s25, s25, s28
	s_sub_i32 s30, s27, s25
	s_mul_i32 s28, s0, s5
	s_sub_u32 s26, s26, s28
	s_cselect_b64 s[28:29], -1, 0
	s_cmp_lg_u64 s[28:29], 0
	s_subb_u32 s33, s30, s1
	s_sub_u32 s34, s26, s0
	s_cselect_b64 s[30:31], -1, 0
	s_cmp_lg_u64 s[30:31], 0
	s_subb_u32 s30, s33, 0
	s_cmp_ge_u32 s30, s1
	s_cselect_b32 s31, -1, 0
	s_cmp_ge_u32 s34, s0
	s_cselect_b32 s33, -1, 0
	s_cmp_eq_u32 s30, s1
	s_cselect_b32 s30, s33, s31
	s_add_u32 s31, s5, 1
	s_addc_u32 s33, s9, 0
	s_add_u32 s34, s5, 2
	s_addc_u32 s35, s9, 0
	s_cmp_lg_u32 s30, 0
	s_cselect_b32 s30, s34, s31
	s_cselect_b32 s31, s35, s33
	s_cmp_lg_u64 s[28:29], 0
	s_subb_u32 s25, s27, s25
	s_cmp_ge_u32 s25, s1
	s_cselect_b32 s27, -1, 0
	s_cmp_ge_u32 s26, s0
	s_cselect_b32 s0, -1, 0
	s_cmp_eq_u32 s25, s1
	s_cselect_b32 s0, s0, s27
	s_cmp_lg_u32 s0, 0
	s_cselect_b32 s1, s31, s9
	s_cselect_b32 s0, s30, s5
	s_xor_b64 s[6:7], s[6:7], 0
	s_xor_b64 s[0:1], s[0:1], s[6:7]
	s_sub_u32 s6, s0, s6
	s_cbranch_execnz .LBB12_11
.LBB12_10:
	s_sub_i32 s0, 0, s22
	v_readfirstlane_b32 s1, v4
	s_mul_i32 s0, s0, s1
	s_mul_hi_u32 s0, s1, s0
	s_add_i32 s1, s1, s0
	s_mul_hi_u32 s0, s8, s1
	s_mul_i32 s5, s0, s22
	s_sub_i32 s5, s8, s5
	s_add_i32 s1, s0, 1
	s_sub_i32 s6, s5, s22
	s_cmp_ge_u32 s5, s22
	s_cselect_b32 s0, s1, s0
	s_cselect_b32 s5, s6, s5
	s_add_i32 s1, s0, 1
	s_cmp_ge_u32 s5, s22
	s_cselect_b32 s6, s1, s0
.LBB12_11:
	s_cmp_lg_u32 s10, s6
	s_mov_b64 s[8:9], -1
                                        ; implicit-def: $sgpr0_sgpr1
                                        ; implicit-def: $vgpr10
                                        ; implicit-def: $vgpr8
                                        ; implicit-def: $vgpr9
                                        ; implicit-def: $sgpr5
                                        ; implicit-def: $sgpr7
	s_cbranch_scc1 .LBB12_14
; %bb.12:
	s_andn2_b64 vcc, exec, s[8:9]
	s_cbranch_vccz .LBB12_17
.LBB12_13:
	s_andn2_b64 vcc, exec, s[0:1]
	s_cbranch_vccnz .LBB12_18
	s_branch .LBB12_22
.LBB12_14:
	s_add_i32 s0, s24, s22
	s_lshl_b32 s0, s0, 4
	s_add_i32 s0, s0, s15
	s_mov_b32 s1, s4
	s_lshl_b64 s[0:1], s[0:1], 3
	s_add_u32 s8, s18, s0
	s_mul_hi_u32 s0, s6, s12
	s_addc_u32 s9, s19, s1
	s_add_i32 s0, s0, s6
	s_lshr_b32 s5, s0, s13
	s_mul_i32 s0, s5, s14
	s_cmp_eq_u32 s0, s6
	s_cselect_b64 s[0:1], -1, 0
	s_cmp_lt_u32 s5, s11
	s_cselect_b64 s[26:27], -1, 0
	s_or_b64 s[26:27], s[26:27], s[0:1]
	s_mov_b64 s[0:1], -1
	s_and_b64 vcc, exec, s[26:27]
	s_mov_b32 s5, s24
	s_mov_b32 s7, s10
	s_cbranch_vccnz .LBB12_16
; %bb.15:
	s_add_i32 s5, s24, -1
	s_mov_b64 s[0:1], 0
	s_mov_b32 s7, s6
.LBB12_16:
	v_lshl_add_u32 v8, s24, 10, v0
	v_ashrrev_i32_e32 v9, 31, v8
	v_lshlrev_b64 v[8:9], 2, v[8:9]
	v_mov_b32_e32 v10, s21
	v_add_co_u32_e32 v8, vcc, s20, v8
	v_addc_co_u32_e32 v9, vcc, v10, v9, vcc
	global_load_dword v10, v[8:9], off
	s_load_dwordx2 s[8:9], s[8:9], 0x0
	v_max_f32_e32 v8, v7, v7
	s_waitcnt lgkmcnt(0)
	v_max_f32_e64 v9, s8, s8
	v_max_f32_e32 v8, v8, v9
	v_sub_f32_e32 v9, v7, v8
	v_sub_f32_e32 v11, s8, v8
	v_mul_f32_e32 v12, 0x3fb8aa3b, v9
	v_mul_f32_e32 v13, 0x3fb8aa3b, v11
	v_fma_f32 v14, v9, s2, -v12
	v_rndne_f32_e32 v15, v12
	v_fma_f32 v16, v11, s2, -v13
	v_rndne_f32_e32 v17, v13
	v_fmac_f32_e32 v14, 0x32a5705f, v9
	v_sub_f32_e32 v12, v12, v15
	v_fmac_f32_e32 v16, 0x32a5705f, v11
	v_sub_f32_e32 v13, v13, v17
	v_add_f32_e32 v12, v12, v14
	v_cvt_i32_f32_e32 v15, v15
	v_add_f32_e32 v13, v13, v16
	v_exp_f32_e32 v12, v12
	v_cvt_i32_f32_e32 v17, v17
	v_exp_f32_e32 v13, v13
	v_cmp_ngt_f32_e32 vcc, s16, v9
	v_ldexp_f32 v12, v12, v15
	v_cndmask_b32_e32 v12, 0, v12, vcc
	v_ldexp_f32 v13, v13, v17
	v_cmp_ngt_f32_e32 vcc, s16, v11
	v_cndmask_b32_e32 v13, 0, v13, vcc
	v_cmp_nlt_f32_e32 vcc, s17, v9
	v_cndmask_b32_e32 v12, v5, v12, vcc
	v_cmp_nlt_f32_e32 vcc, s17, v11
	v_cndmask_b32_e32 v13, v5, v13, vcc
	v_cmp_le_f32_e32 vcc, s23, v9
	v_cndmask_b32_e32 v12, 0, v12, vcc
	v_cmp_le_f32_e32 vcc, s23, v11
	v_cndmask_b32_e32 v11, 0, v13, vcc
	v_mul_f32_e32 v9, s9, v11
	v_fmac_f32_e32 v9, v6, v12
	s_waitcnt vmcnt(0)
	v_mul_f32_e32 v10, v10, v11
	v_fmac_f32_e32 v10, v3, v12
	s_cbranch_execnz .LBB12_13
.LBB12_17:
	s_add_i32 s5, s24, -1
	s_mov_b32 s7, s10
	v_mov_b32_e32 v9, v6
	v_mov_b32_e32 v8, v7
	s_waitcnt vmcnt(0)
	v_mov_b32_e32 v10, v3
	s_cbranch_execz .LBB12_22
.LBB12_18:
	s_mov_b32 s10, s7
	s_mov_b32 s24, s5
	v_mov_b32_e32 v6, v9
	v_mov_b32_e32 v7, v8
	s_waitcnt vmcnt(0)
	v_mov_b32_e32 v3, v10
	s_mul_hi_i32 s5, s24, s3
	s_cmp_lg_u64 s[4:5], 0
	s_mul_i32 s8, s24, s3
	s_cbranch_scc1 .LBB12_9
.LBB12_19:
                                        ; implicit-def: $sgpr6_sgpr7
	s_branch .LBB12_10
.LBB12_20:
                                        ; implicit-def: $sgpr10_sgpr11
	s_load_dwordx4 s[12:15], s[4:5], 0x44
	s_branch .LBB12_2
.LBB12_21:
                                        ; implicit-def: $sgpr18_sgpr19
	s_branch .LBB12_5
.LBB12_22:
	v_div_scale_f32 v0, s[0:1], v9, v9, v10
	s_waitcnt vmcnt(0)
	v_div_scale_f32 v3, vcc, v10, v9, v10
	v_rcp_f32_e32 v4, v0
	v_fma_f32 v5, -v0, v4, 1.0
	v_fmac_f32_e32 v4, v5, v4
	v_mul_f32_e32 v5, v3, v4
	v_fma_f32 v6, -v0, v5, v3
	v_fmac_f32_e32 v5, v6, v4
	v_fma_f32 v0, -v0, v5, v3
	v_div_fmas_f32 v0, v0, v4, v5
	v_div_fixup_f32 v0, v0, v9, v10
	global_store_dword v[1:2], v0, off
.LBB12_23:
	s_endpgm
	.section	.rodata,"a",@progbits
	.p2align	6, 0x0
	.amdhsa_kernel _ZL33flash_attn_stream_k_fixup_generalILi64ELi2ELi8EEvPfPK15HIP_vector_typeIfLj2EEiiiiS1_IjLj3EES5_S5_S5_
		.amdhsa_group_segment_fixed_size 0
		.amdhsa_private_segment_fixed_size 0
		.amdhsa_kernarg_size 336
		.amdhsa_user_sgpr_count 6
		.amdhsa_user_sgpr_private_segment_buffer 1
		.amdhsa_user_sgpr_dispatch_ptr 0
		.amdhsa_user_sgpr_queue_ptr 0
		.amdhsa_user_sgpr_kernarg_segment_ptr 1
		.amdhsa_user_sgpr_dispatch_id 0
		.amdhsa_user_sgpr_flat_scratch_init 0
		.amdhsa_user_sgpr_private_segment_size 0
		.amdhsa_uses_dynamic_stack 0
		.amdhsa_system_sgpr_private_segment_wavefront_offset 0
		.amdhsa_system_sgpr_workgroup_id_x 1
		.amdhsa_system_sgpr_workgroup_id_y 1
		.amdhsa_system_sgpr_workgroup_id_z 1
		.amdhsa_system_sgpr_workgroup_info 0
		.amdhsa_system_vgpr_workitem_id 0
		.amdhsa_next_free_vgpr 18
		.amdhsa_next_free_sgpr 36
		.amdhsa_reserve_vcc 1
		.amdhsa_reserve_flat_scratch 0
		.amdhsa_float_round_mode_32 0
		.amdhsa_float_round_mode_16_64 0
		.amdhsa_float_denorm_mode_32 3
		.amdhsa_float_denorm_mode_16_64 3
		.amdhsa_dx10_clamp 1
		.amdhsa_ieee_mode 1
		.amdhsa_fp16_overflow 0
		.amdhsa_exception_fp_ieee_invalid_op 0
		.amdhsa_exception_fp_denorm_src 0
		.amdhsa_exception_fp_ieee_div_zero 0
		.amdhsa_exception_fp_ieee_overflow 0
		.amdhsa_exception_fp_ieee_underflow 0
		.amdhsa_exception_fp_ieee_inexact 0
		.amdhsa_exception_int_div_zero 0
	.end_amdhsa_kernel
	.section	.text._ZL33flash_attn_stream_k_fixup_generalILi64ELi2ELi8EEvPfPK15HIP_vector_typeIfLj2EEiiiiS1_IjLj3EES5_S5_S5_,"axG",@progbits,_ZL33flash_attn_stream_k_fixup_generalILi64ELi2ELi8EEvPfPK15HIP_vector_typeIfLj2EEiiiiS1_IjLj3EES5_S5_S5_,comdat
.Lfunc_end12:
	.size	_ZL33flash_attn_stream_k_fixup_generalILi64ELi2ELi8EEvPfPK15HIP_vector_typeIfLj2EEiiiiS1_IjLj3EES5_S5_S5_, .Lfunc_end12-_ZL33flash_attn_stream_k_fixup_generalILi64ELi2ELi8EEvPfPK15HIP_vector_typeIfLj2EEiiiiS1_IjLj3EES5_S5_S5_
                                        ; -- End function
	.set _ZL33flash_attn_stream_k_fixup_generalILi64ELi2ELi8EEvPfPK15HIP_vector_typeIfLj2EEiiiiS1_IjLj3EES5_S5_S5_.num_vgpr, 18
	.set _ZL33flash_attn_stream_k_fixup_generalILi64ELi2ELi8EEvPfPK15HIP_vector_typeIfLj2EEiiiiS1_IjLj3EES5_S5_S5_.num_agpr, 0
	.set _ZL33flash_attn_stream_k_fixup_generalILi64ELi2ELi8EEvPfPK15HIP_vector_typeIfLj2EEiiiiS1_IjLj3EES5_S5_S5_.numbered_sgpr, 36
	.set _ZL33flash_attn_stream_k_fixup_generalILi64ELi2ELi8EEvPfPK15HIP_vector_typeIfLj2EEiiiiS1_IjLj3EES5_S5_S5_.num_named_barrier, 0
	.set _ZL33flash_attn_stream_k_fixup_generalILi64ELi2ELi8EEvPfPK15HIP_vector_typeIfLj2EEiiiiS1_IjLj3EES5_S5_S5_.private_seg_size, 0
	.set _ZL33flash_attn_stream_k_fixup_generalILi64ELi2ELi8EEvPfPK15HIP_vector_typeIfLj2EEiiiiS1_IjLj3EES5_S5_S5_.uses_vcc, 1
	.set _ZL33flash_attn_stream_k_fixup_generalILi64ELi2ELi8EEvPfPK15HIP_vector_typeIfLj2EEiiiiS1_IjLj3EES5_S5_S5_.uses_flat_scratch, 0
	.set _ZL33flash_attn_stream_k_fixup_generalILi64ELi2ELi8EEvPfPK15HIP_vector_typeIfLj2EEiiiiS1_IjLj3EES5_S5_S5_.has_dyn_sized_stack, 0
	.set _ZL33flash_attn_stream_k_fixup_generalILi64ELi2ELi8EEvPfPK15HIP_vector_typeIfLj2EEiiiiS1_IjLj3EES5_S5_S5_.has_recursion, 0
	.set _ZL33flash_attn_stream_k_fixup_generalILi64ELi2ELi8EEvPfPK15HIP_vector_typeIfLj2EEiiiiS1_IjLj3EES5_S5_S5_.has_indirect_call, 0
	.section	.AMDGPU.csdata,"",@progbits
; Kernel info:
; codeLenInByte = 2940
; TotalNumSgprs: 40
; NumVgprs: 18
; ScratchSize: 0
; MemoryBound: 0
; FloatMode: 240
; IeeeMode: 1
; LDSByteSize: 0 bytes/workgroup (compile time only)
; SGPRBlocks: 4
; VGPRBlocks: 4
; NumSGPRsForWavesPerEU: 40
; NumVGPRsForWavesPerEU: 18
; Occupancy: 10
; WaveLimiterHint : 0
; COMPUTE_PGM_RSRC2:SCRATCH_EN: 0
; COMPUTE_PGM_RSRC2:USER_SGPR: 6
; COMPUTE_PGM_RSRC2:TRAP_HANDLER: 0
; COMPUTE_PGM_RSRC2:TGID_X_EN: 1
; COMPUTE_PGM_RSRC2:TGID_Y_EN: 1
; COMPUTE_PGM_RSRC2:TGID_Z_EN: 1
; COMPUTE_PGM_RSRC2:TIDIG_COMP_CNT: 0
	.section	.text._ZL15flash_attn_tileILi64ELi64ELi1ELi8ELb0EEvPKcS1_S1_S1_S1_PKiPfP15HIP_vector_typeIfLj2EEffffjfiS5_IjLj3EEiiiiiiiiiiiliiliiiiil,"axG",@progbits,_ZL15flash_attn_tileILi64ELi64ELi1ELi8ELb0EEvPKcS1_S1_S1_S1_PKiPfP15HIP_vector_typeIfLj2EEffffjfiS5_IjLj3EEiiiiiiiiiiiliiliiiiil,comdat
	.globl	_ZL15flash_attn_tileILi64ELi64ELi1ELi8ELb0EEvPKcS1_S1_S1_S1_PKiPfP15HIP_vector_typeIfLj2EEffffjfiS5_IjLj3EEiiiiiiiiiiiliiliiiiil ; -- Begin function _ZL15flash_attn_tileILi64ELi64ELi1ELi8ELb0EEvPKcS1_S1_S1_S1_PKiPfP15HIP_vector_typeIfLj2EEffffjfiS5_IjLj3EEiiiiiiiiiiiliiliiiiil
	.p2align	8
	.type	_ZL15flash_attn_tileILi64ELi64ELi1ELi8ELb0EEvPKcS1_S1_S1_S1_PKiPfP15HIP_vector_typeIfLj2EEffffjfiS5_IjLj3EEiiiiiiiiiiiliiliiiiil,@function
_ZL15flash_attn_tileILi64ELi64ELi1ELi8ELb0EEvPKcS1_S1_S1_S1_PKiPfP15HIP_vector_typeIfLj2EEffffjfiS5_IjLj3EEiiiiiiiiiiiliiliiiiil: ; @_ZL15flash_attn_tileILi64ELi64ELi1ELi8ELb0EEvPKcS1_S1_S1_S1_PKiPfP15HIP_vector_typeIfLj2EEffffjfiS5_IjLj3EEiiiiiiiiiiiliiliiiiil
; %bb.0:
	s_load_dwordx4 s[0:3], s[4:5], 0x5c
	s_load_dwordx2 s[24:25], s[4:5], 0x80
	s_load_dwordx2 s[28:29], s[4:5], 0xb8
	s_mov_b64 s[26:27], 0
	s_waitcnt lgkmcnt(0)
	s_ashr_i32 s9, s3, 31
	s_lshr_b32 s9, s9, 29
	s_add_i32 s9, s3, s9
	s_ashr_i32 s9, s9, 3
	v_cvt_f32_u32_e32 v2, s9
	s_sub_i32 s10, 0, s9
	v_rcp_iflag_f32_e32 v2, v2
	v_mul_f32_e32 v2, 0x4f7ffffe, v2
	v_cvt_u32_f32_e32 v2, v2
	v_readfirstlane_b32 s11, v2
	s_mul_i32 s10, s10, s11
	s_mul_hi_u32 s10, s11, s10
	s_add_i32 s11, s11, s10
	s_mul_hi_u32 s10, s8, s11
	s_mul_i32 s11, s10, s9
	s_sub_i32 s11, s8, s11
	s_add_i32 s12, s10, 1
	s_sub_i32 s13, s11, s9
	s_cmp_ge_u32 s11, s9
	s_cselect_b32 s10, s12, s10
	s_cselect_b32 s11, s13, s11
	s_add_i32 s12, s10, 1
	s_cmp_ge_u32 s11, s9
	s_cselect_b32 s30, s12, s10
	s_abs_i32 s9, s25
	v_cvt_f32_u32_e32 v2, s9
	s_lshl_b32 s8, s8, 3
	s_mul_i32 s12, s30, s3
	s_xor_b32 s10, s3, s25
	v_rcp_iflag_f32_e32 v2, v2
	s_sub_i32 s13, 0, s9
	s_sub_i32 s25, s8, s12
	s_abs_i32 s11, s3
	v_mul_f32_e32 v2, 0x4f7ffffe, v2
	v_cvt_u32_f32_e32 v2, v2
	s_ashr_i32 s10, s10, 31
	v_readfirstlane_b32 s8, v2
	s_mul_i32 s13, s13, s8
	s_mul_hi_u32 s12, s8, s13
	s_add_i32 s8, s8, s12
	s_mul_hi_u32 s8, s11, s8
	s_mul_i32 s12, s8, s9
	s_sub_i32 s11, s11, s12
	s_add_i32 s13, s8, 1
	s_sub_i32 s12, s11, s9
	s_cmp_ge_u32 s11, s9
	s_cselect_b32 s8, s13, s8
	s_cselect_b32 s11, s12, s11
	s_add_i32 s12, s8, 1
	s_cmp_ge_u32 s11, s9
	s_cselect_b32 s8, s12, s8
	s_xor_b32 s8, s8, s10
	s_sub_i32 s33, s8, s10
	s_abs_i32 s31, s33
	v_cvt_f32_u32_e32 v2, s31
	s_load_dwordx16 s[8:23], s[4:5], 0x0
	v_rcp_iflag_f32_e32 v2, v2
	s_waitcnt lgkmcnt(0)
	s_cmp_eq_u64 s[14:15], 0
	v_mul_f32_e32 v2, 0x4f7ffffe, v2
	v_cvt_u32_f32_e32 v2, v2
	v_readfirstlane_b32 s34, v2
	s_cbranch_scc1 .LBB13_2
; %bb.1:
	s_abs_i32 s28, s28
	v_cvt_f32_u32_e32 v2, s28
	s_sub_i32 s37, 0, s28
	s_abs_i32 s36, s30
	s_ashr_i32 s35, s30, 31
	v_rcp_iflag_f32_e32 v2, v2
	s_load_dwordx2 s[26:27], s[4:5], 0xc8
	v_mul_f32_e32 v2, 0x4f7ffffe, v2
	v_cvt_u32_f32_e32 v2, v2
	v_readfirstlane_b32 s38, v2
	s_mul_i32 s37, s37, s38
	s_mul_hi_u32 s37, s38, s37
	s_add_i32 s38, s38, s37
	s_mul_hi_u32 s37, s36, s38
	s_mul_i32 s37, s37, s28
	s_sub_i32 s36, s36, s37
	s_sub_i32 s37, s36, s28
	s_cmp_ge_u32 s36, s28
	s_cselect_b32 s36, s37, s36
	s_sub_i32 s37, s36, s28
	s_cmp_ge_u32 s36, s28
	s_cselect_b32 s28, s37, s36
	s_xor_b32 s28, s28, s35
	s_sub_i32 s28, s28, s35
	s_ashr_i32 s35, s28, 31
	s_waitcnt lgkmcnt(0)
	s_mul_hi_u32 s36, s26, s28
	s_mul_i32 s35, s26, s35
	s_mul_i32 s27, s27, s28
	s_add_i32 s35, s36, s35
	s_add_i32 s35, s35, s27
	s_mul_i32 s26, s26, s28
	s_add_u32 s26, s14, s26
	s_addc_u32 s27, s15, s35
.LBB13_2:
	v_lshrrev_b32_e32 v2, 2, v1
	s_load_dwordx4 s[36:39], s[4:5], 0x70
	v_add_u32_e32 v13, s6, v2
	v_mul_hi_u32 v2, s0, v13
	v_lshlrev_b32_e32 v7, 1, v1
	v_and_b32_e32 v14, 6, v7
	s_waitcnt lgkmcnt(0)
	s_mul_i32 s0, s30, s38
	v_add_u32_e32 v2, v13, v2
	s_ashr_i32 s15, s0, 31
	v_lshrrev_b32_e32 v2, s1, v2
	s_mul_i32 s14, s25, s37
	s_add_u32 s0, s8, s0
	v_mul_lo_u32 v2, v2, s2
	s_addc_u32 s8, s9, s15
	s_ashr_i32 s9, s14, 31
	s_add_u32 s28, s0, s14
	s_addc_u32 s14, s8, s9
	s_ashr_i32 s1, s37, 31
	s_mov_b32 s0, s37
	s_ashr_i32 s37, s36, 31
	v_sub_u32_e32 v2, v13, v2
	s_lshr_b64 s[8:9], s[36:37], 2
	v_mad_u64_u32 v[3:4], s[8:9], s8, v2, 0
	s_lshr_b32 s8, s37, 2
	v_mov_b32_e32 v8, s14
	v_mad_u64_u32 v[4:5], s[8:9], s8, v2, v[4:5]
	s_lshr_b64 s[8:9], s[0:1], 2
	v_mad_u64_u32 v[5:6], s[14:15], s8, v14, 0
	v_lshlrev_b64 v[3:4], 2, v[3:4]
	s_lshr_b32 s9, s1, 2
	v_add_co_u32_e32 v9, vcc, s28, v3
	v_mov_b32_e32 v3, v6
	v_or_b32_e32 v12, 1, v7
	v_addc_co_u32_e32 v10, vcc, v8, v4, vcc
	v_mad_u64_u32 v[3:4], s[0:1], s9, v14, v[3:4]
	v_and_b32_e32 v15, 7, v12
	v_mad_u64_u32 v[7:8], s[0:1], s8, v15, 0
	v_mov_b32_e32 v6, v3
	v_lshlrev_b64 v[3:4], 2, v[5:6]
	v_mov_b32_e32 v5, v8
	v_lshlrev_b32_e32 v11, 3, v0
	v_mad_u64_u32 v[5:6], s[0:1], s9, v15, v[5:6]
	v_add_co_u32_e32 v11, vcc, v9, v11
	v_addc_co_u32_e32 v16, vcc, 0, v10, vcc
	v_add_co_u32_e32 v3, vcc, v11, v3
	v_addc_co_u32_e32 v4, vcc, v16, v4, vcc
	v_mov_b32_e32 v8, v5
	global_load_dwordx2 v[9:10], v[3:4], off
	v_lshlrev_b64 v[3:4], 2, v[7:8]
	s_load_dword s0, s[4:5], 0x40
	v_add_co_u32_e32 v3, vcc, v11, v3
	v_addc_co_u32_e32 v4, vcc, v16, v4, vcc
	global_load_dwordx2 v[4:5], v[3:4], off
	v_mov_b32_e32 v6, 0x1200
	v_lshlrev_b32_e32 v3, 8, v1
	v_lshl_or_b32 v6, v0, 2, v6
	v_add_u32_e32 v7, v6, v3
	s_cmp_eq_u64 s[18:19], 0
	v_lshl_add_u32 v6, v12, 7, v6
	s_waitcnt vmcnt(1) lgkmcnt(0)
	v_fma_mixlo_f16 v8, s0, v9, 0
	v_fma_mixlo_f16 v9, s0, v10, 0
	v_lshlrev_b32_e32 v9, 16, v9
	v_or_b32_sdwa v8, v9, v8 dst_sel:DWORD dst_unused:UNUSED_PAD src0_sel:DWORD src1_sel:WORD_0
	s_waitcnt vmcnt(0)
	v_fma_mixlo_f16 v5, s0, v5, 0
	v_fma_mixlo_f16 v4, s0, v4, 0
	v_lshlrev_b32_e32 v5, 16, v5
	v_or_b32_sdwa v4, v5, v4 dst_sel:DWORD dst_unused:UNUSED_PAD src0_sel:DWORD src1_sel:WORD_0
	ds_write_b32 v7, v8
	ds_write_b32 v6, v4
	s_waitcnt lgkmcnt(0)
	s_barrier
	s_cbranch_scc1 .LBB13_4
; %bb.3:
	s_load_dword s0, s[4:5], 0xd0
	s_mov_b32 s1, 0
	s_waitcnt lgkmcnt(0)
	s_mul_i32 s0, s0, s30
	s_add_i32 s0, s0, s6
	s_lshl_b64 s[0:1], s[0:1], 2
	s_add_u32 s0, s18, s0
	s_addc_u32 s1, s19, s1
	s_load_dword s24, s[0:1], 0x0
.LBB13_4:
	s_lshl_b32 s6, s7, 5
	s_waitcnt lgkmcnt(0)
	s_cmp_lt_i32 s6, s24
	v_mbcnt_lo_u32_b32 v7, -1, 0
	s_cbranch_scc1 .LBB13_7
; %bb.5:
	v_mbcnt_hi_u32_b32 v15, -1, v7
	v_and_b32_e32 v4, 0x60, v15
	v_add_u32_e32 v16, 32, v4
	v_xor_b32_e32 v21, 16, v15
	v_xor_b32_e32 v20, 8, v15
	;; [unrolled: 1-line block ×5, first 2 shown]
	s_cbranch_execz .LBB13_8
; %bb.6:
	v_mov_b32_e32 v38, 0
	v_mov_b32_e32 v1, 0
	;; [unrolled: 1-line block ×6, first 2 shown]
	s_branch .LBB13_10
.LBB13_7:
                                        ; implicit-def: $vgpr15
                                        ; implicit-def: $vgpr16
                                        ; implicit-def: $vgpr21
                                        ; implicit-def: $vgpr20
                                        ; implicit-def: $vgpr19
                                        ; implicit-def: $vgpr18
                                        ; implicit-def: $vgpr17
.LBB13_8:
	s_sub_i32 s0, 0, s31
	s_mul_i32 s0, s0, s34
	s_mul_hi_u32 s0, s34, s0
	s_add_i32 s34, s34, s0
	s_load_dwordx2 s[0:1], s[4:5], 0x8c
	s_load_dwordx4 s[36:39], s[4:5], 0x98
	s_abs_i32 s18, s25
	s_mul_hi_u32 s19, s18, s34
	s_ashr_i32 s28, s25, 31
	s_waitcnt lgkmcnt(0)
	s_ashr_i32 s15, s0, 2
	s_ashr_i32 s0, s30, 31
	s_mul_hi_u32 s34, s36, s30
	s_mul_i32 s35, s36, s0
	s_add_i32 s34, s34, s35
	s_mul_i32 s35, s37, s30
	s_ashr_i32 s33, s33, 31
	s_ashr_i32 s14, s38, 2
	;; [unrolled: 1-line block ×3, first 2 shown]
	s_add_i32 s34, s34, s35
	s_mul_i32 s35, s36, s30
	s_add_u32 s10, s10, s35
	s_addc_u32 s11, s11, s34
	s_xor_b32 s28, s28, s33
	s_mul_i32 s33, s19, s31
	s_sub_i32 s18, s18, s33
	s_add_i32 s33, s19, 1
	s_sub_i32 s34, s18, s31
	s_cmp_ge_u32 s18, s31
	s_cselect_b32 s19, s33, s19
	s_cselect_b32 s18, s34, s18
	s_add_i32 s33, s19, 1
	s_cmp_ge_u32 s18, s31
	s_load_dwordx2 s[8:9], s[4:5], 0xa8
	s_cselect_b32 s18, s33, s19
	s_xor_b32 s18, s18, s28
	s_sub_i32 s18, s18, s28
	s_mul_i32 s1, s18, s1
	s_ashr_i32 s19, s1, 31
	s_add_u32 s10, s10, s1
	s_waitcnt lgkmcnt(0)
	s_mul_hi_u32 s1, s8, s30
	s_mul_i32 s0, s8, s0
	s_addc_u32 s11, s11, s19
	s_add_i32 s0, s1, s0
	s_mul_i32 s1, s9, s30
	v_lshrrev_b32_e32 v4, 3, v0
	s_add_i32 s0, s0, s1
	s_mul_i32 s1, s8, s30
	v_lshl_add_u32 v6, v1, 2, v4
	s_add_u32 s1, s12, s1
	s_mul_i32 s18, s18, s39
	v_mul_lo_u32 v4, s15, v6
	v_mul_lo_u32 v35, s14, v6
	s_addc_u32 s0, s13, s0
	s_ashr_i32 s8, s18, 31
	v_lshlrev_b32_e32 v22, 2, v0
	s_add_u32 s12, s1, s18
	v_and_b32_e32 v10, 28, v22
	s_addc_u32 s13, s0, s8
	v_lshlrev_b32_e32 v11, 2, v10
	s_movk_i32 s0, 0x90
	v_mad_u32_u24 v24, v6, s0, v11
	v_lshl_add_u32 v8, s15, 4, v4
	v_add_u32_e32 v27, 0x1200, v3
	v_mad_u64_u32 v[2:3], s[0:1], v2, s29, v[0:1]
	v_lshl_add_u32 v37, s14, 4, v35
	v_ashrrev_i32_e32 v5, 31, v4
	v_ashrrev_i32_e32 v9, 31, v8
	v_mov_b32_e32 v3, 0x1600
	v_ashrrev_i32_e32 v36, 31, v35
	v_ashrrev_i32_e32 v38, 31, v37
	v_mbcnt_hi_u32_b32 v15, -1, v7
	v_lshl_add_u32 v28, v1, 7, v3
	v_lshl_or_b32 v29, v6, 7, v11
	s_add_u32 s0, s4, 0xd0
	v_lshlrev_b64 v[3:4], 2, v[4:5]
	v_lshlrev_b32_e32 v31, 2, v10
	v_lshlrev_b64 v[5:6], 2, v[8:9]
	v_and_b32_e32 v1, 0x60, v15
	v_lshlrev_b64 v[7:8], 2, v[35:36]
	v_lshlrev_b64 v[9:10], 2, v[37:38]
	v_mov_b32_e32 v23, 0
	v_add_u32_e32 v25, 0x900, v24
	v_mul_u32_u24_e32 v26, 0x90, v0
	v_add_u32_e32 v30, 0x800, v29
	s_addc_u32 s1, s5, 0
	v_mov_b32_e32 v11, 0xfeffffff
	v_mov_b32_e32 v32, s27
	v_add_u32_e32 v16, 32, v1
	v_xor_b32_e32 v21, 16, v15
	v_xor_b32_e32 v20, 8, v15
	;; [unrolled: 1-line block ×5, first 2 shown]
	s_mov_b32 s18, 0x3fb8aa3b
	s_mov_b32 s19, 0xc2ce8ed0
	;; [unrolled: 1-line block ×3, first 2 shown]
	v_mov_b32_e32 v33, 0x7f800000
	s_mov_b32 s28, 0x10001
	v_add_u32_e32 v34, v28, v22
	v_add_u32_e32 v35, 0x400, v22
	;; [unrolled: 1-line block ×4, first 2 shown]
	v_mov_b32_e32 v38, 0
	v_mov_b32_e32 v12, 0xfeffffff
	;; [unrolled: 1-line block ×4, first 2 shown]
.LBB13_9:                               ; =>This Inner Loop Header: Depth=1
	s_mul_hi_i32 s9, s6, s15
	s_mul_i32 s8, s6, s15
	s_lshl_b64 s[8:9], s[8:9], 2
	s_add_u32 s8, s10, s8
	s_addc_u32 s9, s11, s9
	v_mov_b32_e32 v40, v39
	v_mov_b32_e32 v41, v12
	;; [unrolled: 1-line block ×3, first 2 shown]
	v_add_co_u32_e32 v11, vcc, s8, v3
	v_mov_b32_e32 v12, s9
	v_addc_co_u32_e32 v12, vcc, v12, v4, vcc
	v_add_co_u32_e32 v11, vcc, v11, v31
	v_addc_co_u32_e32 v12, vcc, 0, v12, vcc
	global_load_dwordx4 v[42:45], v[11:12], off
	v_add_co_u32_e32 v11, vcc, s8, v5
	v_mov_b32_e32 v12, s9
	v_addc_co_u32_e32 v12, vcc, v12, v6, vcc
	v_add_co_u32_e32 v11, vcc, v11, v31
	v_addc_co_u32_e32 v12, vcc, 0, v12, vcc
	s_mul_hi_i32 s9, s6, s14
	s_mul_i32 s8, s6, s14
	s_lshl_b64 s[8:9], s[8:9], 2
	s_add_u32 s8, s12, s8
	s_addc_u32 s9, s13, s9
	s_waitcnt vmcnt(0)
	ds_write_b128 v24, v[42:45]
	global_load_dwordx4 v[42:45], v[11:12], off
	v_mov_b32_e32 v11, 0
	v_mov_b32_e32 v12, 0
	s_waitcnt vmcnt(0)
	ds_write_b128 v25, v[42:45]
	s_waitcnt lgkmcnt(0)
	s_barrier
	ds_read_b128 v[42:45], v26
	ds_read_b128 v[46:49], v27
	ds_read_b128 v[50:53], v27 offset:128
	s_waitcnt lgkmcnt(1)
	;;#ASMSTART
	v_dot2_f32_f16 v11, v42, v46, v11
	;;#ASMEND
	;;#ASMSTART
	v_dot2_f32_f16 v11, v43, v47, v11
	;;#ASMEND
	;;#ASMSTART
	v_dot2_f32_f16 v11, v44, v48, v11
	;;#ASMEND
	;;#ASMSTART
	v_dot2_f32_f16 v11, v45, v49, v11
	;;#ASMEND
	s_waitcnt lgkmcnt(0)
	;;#ASMSTART
	v_dot2_f32_f16 v12, v42, v50, v12
	;;#ASMEND
	;;#ASMSTART
	v_dot2_f32_f16 v12, v43, v51, v12
	;;#ASMEND
	;;#ASMSTART
	v_dot2_f32_f16 v12, v44, v52, v12
	;;#ASMEND
	;;#ASMSTART
	v_dot2_f32_f16 v12, v45, v53, v12
	;;#ASMEND
	ds_read_b128 v[42:45], v26 offset:16
	ds_read_b128 v[46:49], v27 offset:16
	ds_read_b128 v[50:53], v27 offset:144
	s_waitcnt lgkmcnt(1)
	;;#ASMSTART
	v_dot2_f32_f16 v11, v42, v46, v11
	;;#ASMEND
	;;#ASMSTART
	v_dot2_f32_f16 v11, v43, v47, v11
	;;#ASMEND
	;;#ASMSTART
	v_dot2_f32_f16 v11, v44, v48, v11
	;;#ASMEND
	;;#ASMSTART
	v_dot2_f32_f16 v11, v45, v49, v11
	;;#ASMEND
	s_waitcnt lgkmcnt(0)
	;;#ASMSTART
	v_dot2_f32_f16 v12, v42, v50, v12
	;;#ASMEND
	;;#ASMSTART
	v_dot2_f32_f16 v12, v43, v51, v12
	;;#ASMEND
	;;#ASMSTART
	v_dot2_f32_f16 v12, v44, v52, v12
	;;#ASMEND
	;;#ASMSTART
	v_dot2_f32_f16 v12, v45, v53, v12
	;;#ASMEND
	ds_read_b128 v[42:45], v26 offset:32
	ds_read_b128 v[46:49], v27 offset:32
	;; [unrolled: 29-line block ×7, first 2 shown]
	ds_read_b128 v[50:53], v27 offset:240
	s_waitcnt lgkmcnt(1)
	;;#ASMSTART
	v_dot2_f32_f16 v11, v42, v46, v11
	;;#ASMEND
	;;#ASMSTART
	v_dot2_f32_f16 v11, v43, v47, v11
	;;#ASMEND
	;; [unrolled: 3-line block ×4, first 2 shown]
	s_waitcnt lgkmcnt(0)
	;;#ASMSTART
	v_dot2_f32_f16 v12, v42, v50, v12
	;;#ASMEND
	v_add_u32_e32 v42, s6, v2
	;;#ASMSTART
	v_dot2_f32_f16 v12, v43, v51, v12
	;;#ASMEND
	v_ashrrev_i32_e32 v43, 31, v42
	v_lshlrev_b64 v[42:43], 1, v[42:43]
	;;#ASMSTART
	v_dot2_f32_f16 v12, v44, v52, v12
	;;#ASMEND
	v_add_co_u32_e32 v42, vcc, s26, v42
	v_addc_co_u32_e32 v43, vcc, v32, v43, vcc
	;;#ASMSTART
	v_dot2_f32_f16 v12, v45, v53, v12
	;;#ASMEND
	global_load_ushort v42, v[42:43], off
	v_cmp_lt_i32_e32 vcc, v21, v16
	v_cndmask_b32_e32 v43, v15, v21, vcc
	v_max_f32_e32 v49, v39, v39
	v_lshlrev_b32_e32 v43, 2, v43
	v_cmp_lt_i32_e32 vcc, v20, v16
	v_cndmask_b32_e32 v44, v15, v20, vcc
	v_lshlrev_b32_e32 v44, 2, v44
	v_cmp_lt_i32_e32 vcc, v19, v16
	v_cndmask_b32_e32 v45, v15, v19, vcc
	;; [unrolled: 3-line block ×4, first 2 shown]
	v_lshlrev_b32_e32 v47, 2, v47
	s_waitcnt vmcnt(0)
	s_barrier
	v_cvt_f32_f16_e32 v42, v42
	v_add_f32_e32 v48, v11, v42
	v_add_f32_e32 v11, 0x40051340, v48
	v_max_f32_e32 v11, v49, v11
	ds_bpermute_b32 v49, v43, v11
	v_add_f32_e32 v42, v12, v42
	v_add_f32_e32 v12, 0x40051340, v42
	s_waitcnt lgkmcnt(0)
	v_max_f32_e32 v49, v49, v49
	v_max_f32_e32 v11, v11, v49
	ds_bpermute_b32 v49, v44, v11
	s_waitcnt lgkmcnt(0)
	v_max_f32_e32 v49, v49, v49
	v_max_f32_e32 v11, v11, v49
	ds_bpermute_b32 v49, v45, v11
	;; [unrolled: 4-line block ×4, first 2 shown]
	s_waitcnt lgkmcnt(0)
	v_max_f32_e32 v49, v49, v49
	v_max_f32_e32 v11, v11, v49
	v_max_f32_e32 v49, v41, v41
	v_max_f32_e32 v12, v49, v12
	ds_bpermute_b32 v43, v43, v12
	v_sub_f32_e32 v39, v39, v11
	v_cmp_ngt_f32_e32 vcc, s19, v39
	s_waitcnt lgkmcnt(0)
	v_max_f32_e32 v43, v43, v43
	v_max_f32_e32 v12, v12, v43
	ds_bpermute_b32 v43, v44, v12
	s_waitcnt lgkmcnt(0)
	v_max_f32_e32 v43, v43, v43
	v_max_f32_e32 v12, v12, v43
	ds_bpermute_b32 v43, v45, v12
	;; [unrolled: 4-line block ×4, first 2 shown]
	s_waitcnt lgkmcnt(0)
	v_max_f32_e32 v43, v43, v43
	v_max_f32_e32 v12, v12, v43
	v_mul_f32_e32 v43, 0x3fb8aa3b, v39
	v_fma_f32 v44, v39, s18, -v43
	v_rndne_f32_e32 v45, v43
	v_fmac_f32_e32 v44, 0x32a5705f, v39
	v_sub_f32_e32 v43, v43, v45
	v_add_f32_e32 v43, v43, v44
	v_exp_f32_e32 v43, v43
	v_cvt_i32_f32_e32 v44, v45
	v_sub_f32_e32 v41, v41, v12
	v_sub_f32_e32 v42, v42, v12
	v_ldexp_f32 v43, v43, v44
	v_cndmask_b32_e32 v43, 0, v43, vcc
	v_cmp_nlt_f32_e32 vcc, s27, v39
	v_sub_f32_e32 v39, v48, v11
	v_mul_f32_e32 v44, 0x3fb8aa3b, v39
	v_fma_f32 v45, v39, s18, -v44
	v_rndne_f32_e32 v46, v44
	v_fmac_f32_e32 v45, 0x32a5705f, v39
	v_sub_f32_e32 v44, v44, v46
	v_add_f32_e32 v44, v44, v45
	v_exp_f32_e32 v44, v44
	v_cvt_i32_f32_e32 v45, v46
	v_cndmask_b32_e32 v43, v33, v43, vcc
	v_cmp_ngt_f32_e32 vcc, s19, v39
	v_ldexp_f32 v44, v44, v45
	v_cndmask_b32_e32 v44, 0, v44, vcc
	v_cmp_nlt_f32_e32 vcc, s27, v39
	v_cndmask_b32_e32 v39, v33, v44, vcc
	v_cvt_f16_f32_e32 v44, v39
	v_fmac_f32_e32 v39, v40, v43
	v_cvt_f16_f32_e32 v40, v43
	v_mul_f32_e32 v43, 0x3fb8aa3b, v41
	v_fma_f32 v45, v41, s18, -v43
	v_rndne_f32_e32 v46, v43
	v_fmac_f32_e32 v45, 0x32a5705f, v41
	v_sub_f32_e32 v43, v43, v46
	v_add_f32_e32 v43, v43, v45
	v_exp_f32_e32 v43, v43
	v_cvt_i32_f32_e32 v45, v46
	v_cmp_ngt_f32_e32 vcc, s19, v41
	v_mul_u32_u24_e32 v40, 0x10001, v40
	v_ldexp_f32 v43, v43, v45
	v_cndmask_b32_e32 v43, 0, v43, vcc
	v_cmp_nlt_f32_e32 vcc, s27, v41
	v_cndmask_b32_e32 v41, v33, v43, vcc
	v_mul_f32_e32 v43, 0x3fb8aa3b, v42
	v_fma_f32 v45, v42, s18, -v43
	v_rndne_f32_e32 v46, v43
	v_fmac_f32_e32 v45, 0x32a5705f, v42
	v_sub_f32_e32 v43, v43, v46
	v_add_f32_e32 v43, v43, v45
	v_exp_f32_e32 v43, v43
	v_cvt_i32_f32_e32 v45, v46
	v_cmp_ngt_f32_e32 vcc, s19, v42
	v_ldexp_f32 v43, v43, v45
	v_cndmask_b32_e32 v43, 0, v43, vcc
	v_cmp_nlt_f32_e32 vcc, s27, v42
	v_cndmask_b32_e32 v42, v33, v43, vcc
	v_cvt_f16_f32_e32 v43, v42
	v_mov_b32_e32 v45, v1
	v_mov_b32_e32 v1, v42
	v_fmac_f32_e32 v1, v45, v41
	v_pack_b32_f16 v42, v44, v43
	ds_write_b32 v34, v42
	v_add_co_u32_e32 v42, vcc, s8, v7
	v_mov_b32_e32 v43, s9
	v_addc_co_u32_e32 v43, vcc, v43, v8, vcc
	v_add_co_u32_e32 v42, vcc, v42, v31
	v_addc_co_u32_e32 v43, vcc, 0, v43, vcc
	v_add_co_u32_e32 v44, vcc, s8, v9
	v_mov_b32_e32 v45, s9
	v_addc_co_u32_e32 v45, vcc, v45, v10, vcc
	v_add_co_u32_e32 v46, vcc, v44, v31
	v_addc_co_u32_e32 v47, vcc, 0, v45, vcc
	global_load_dwordx4 v[42:45], v[42:43], off
	v_cvt_f16_f32_e32 v41, v41
	v_mul_u32_u24_e32 v41, 0x10001, v41
	s_waitcnt vmcnt(0)
	ds_write_b128 v29, v[42:45]
	global_load_dwordx4 v[42:45], v[46:47], off
	s_waitcnt vmcnt(0)
	ds_write_b128 v30, v[42:45]
	s_waitcnt lgkmcnt(0)
	s_barrier
	ds_read2_b32 v[58:59], v22 offset1:32
	ds_read_b128 v[42:45], v28
	ds_read_b128 v[46:49], v28 offset:16
	ds_read_b128 v[50:53], v28 offset:32
	;; [unrolled: 1-line block ×3, first 2 shown]
	s_waitcnt lgkmcnt(3)
	v_mul_u32_u24_sdwa v60, v42, s28 dst_sel:DWORD dst_unused:UNUSED_PAD src0_sel:WORD_0 src1_sel:DWORD
	v_mul_u32_u24_sdwa v42, v42, s28 dst_sel:DWORD dst_unused:UNUSED_PAD src0_sel:WORD_1 src1_sel:DWORD
	v_pk_mul_f16 v60, v58, v60
	v_pk_fma_f16 v38, v38, v40, v60
	v_pk_mul_f16 v40, v58, v42
	v_pk_fma_f16 v23, v23, v41, v40
	v_mul_u32_u24_sdwa v40, v43, s28 dst_sel:DWORD dst_unused:UNUSED_PAD src0_sel:WORD_0 src1_sel:DWORD
	v_mul_u32_u24_sdwa v41, v43, s28 dst_sel:DWORD dst_unused:UNUSED_PAD src0_sel:WORD_1 src1_sel:DWORD
	v_pk_fma_f16 v38, v59, v40, v38
	v_pk_fma_f16 v23, v59, v41, v23
	ds_read2_b32 v[40:41], v22 offset0:64 offset1:96
	v_mul_u32_u24_sdwa v42, v44, s28 dst_sel:DWORD dst_unused:UNUSED_PAD src0_sel:WORD_0 src1_sel:DWORD
	v_mul_u32_u24_sdwa v43, v44, s28 dst_sel:DWORD dst_unused:UNUSED_PAD src0_sel:WORD_1 src1_sel:DWORD
	s_waitcnt lgkmcnt(0)
	v_pk_fma_f16 v38, v40, v42, v38
	v_pk_fma_f16 v23, v40, v43, v23
	v_mul_u32_u24_sdwa v40, v45, s28 dst_sel:DWORD dst_unused:UNUSED_PAD src0_sel:WORD_0 src1_sel:DWORD
	v_mul_u32_u24_sdwa v42, v45, s28 dst_sel:DWORD dst_unused:UNUSED_PAD src0_sel:WORD_1 src1_sel:DWORD
	v_pk_fma_f16 v38, v41, v40, v38
	v_pk_fma_f16 v23, v41, v42, v23
	ds_read2_b32 v[40:41], v22 offset0:128 offset1:160
	v_mul_u32_u24_sdwa v42, v46, s28 dst_sel:DWORD dst_unused:UNUSED_PAD src0_sel:WORD_0 src1_sel:DWORD
	v_mul_u32_u24_sdwa v43, v46, s28 dst_sel:DWORD dst_unused:UNUSED_PAD src0_sel:WORD_1 src1_sel:DWORD
	s_waitcnt lgkmcnt(0)
	v_pk_fma_f16 v38, v40, v42, v38
	;; [unrolled: 10-line block ×3, first 2 shown]
	v_pk_fma_f16 v23, v40, v43, v23
	v_mul_u32_u24_sdwa v40, v49, s28 dst_sel:DWORD dst_unused:UNUSED_PAD src0_sel:WORD_0 src1_sel:DWORD
	v_mul_u32_u24_sdwa v42, v49, s28 dst_sel:DWORD dst_unused:UNUSED_PAD src0_sel:WORD_1 src1_sel:DWORD
	v_pk_fma_f16 v38, v41, v40, v38
	v_pk_fma_f16 v23, v41, v42, v23
	ds_read2_b32 v[40:41], v35 offset1:32
	v_mul_u32_u24_sdwa v42, v50, s28 dst_sel:DWORD dst_unused:UNUSED_PAD src0_sel:WORD_0 src1_sel:DWORD
	v_mul_u32_u24_sdwa v43, v50, s28 dst_sel:DWORD dst_unused:UNUSED_PAD src0_sel:WORD_1 src1_sel:DWORD
	s_waitcnt lgkmcnt(0)
	v_pk_fma_f16 v38, v40, v42, v38
	v_pk_fma_f16 v23, v40, v43, v23
	v_mul_u32_u24_sdwa v40, v51, s28 dst_sel:DWORD dst_unused:UNUSED_PAD src0_sel:WORD_0 src1_sel:DWORD
	v_mul_u32_u24_sdwa v42, v51, s28 dst_sel:DWORD dst_unused:UNUSED_PAD src0_sel:WORD_1 src1_sel:DWORD
	v_pk_fma_f16 v38, v41, v40, v38
	v_pk_fma_f16 v23, v41, v42, v23
	ds_read2_b32 v[40:41], v35 offset0:64 offset1:96
	v_mul_u32_u24_sdwa v42, v52, s28 dst_sel:DWORD dst_unused:UNUSED_PAD src0_sel:WORD_0 src1_sel:DWORD
	v_mul_u32_u24_sdwa v43, v52, s28 dst_sel:DWORD dst_unused:UNUSED_PAD src0_sel:WORD_1 src1_sel:DWORD
	s_waitcnt lgkmcnt(0)
	v_pk_fma_f16 v38, v40, v42, v38
	v_pk_fma_f16 v23, v40, v43, v23
	v_mul_u32_u24_sdwa v40, v53, s28 dst_sel:DWORD dst_unused:UNUSED_PAD src0_sel:WORD_0 src1_sel:DWORD
	v_mul_u32_u24_sdwa v42, v53, s28 dst_sel:DWORD dst_unused:UNUSED_PAD src0_sel:WORD_1 src1_sel:DWORD
	v_pk_fma_f16 v38, v41, v40, v38
	v_pk_fma_f16 v23, v41, v42, v23
	ds_read2_b32 v[40:41], v35 offset0:128 offset1:160
	v_mul_u32_u24_sdwa v42, v54, s28 dst_sel:DWORD dst_unused:UNUSED_PAD src0_sel:WORD_0 src1_sel:DWORD
	v_mul_u32_u24_sdwa v43, v54, s28 dst_sel:DWORD dst_unused:UNUSED_PAD src0_sel:WORD_1 src1_sel:DWORD
	s_waitcnt lgkmcnt(0)
	v_pk_fma_f16 v38, v40, v42, v38
	v_pk_fma_f16 v23, v40, v43, v23
	v_mul_u32_u24_sdwa v40, v55, s28 dst_sel:DWORD dst_unused:UNUSED_PAD src0_sel:WORD_0 src1_sel:DWORD
	v_mul_u32_u24_sdwa v42, v55, s28 dst_sel:DWORD dst_unused:UNUSED_PAD src0_sel:WORD_1 src1_sel:DWORD
	v_pk_fma_f16 v38, v41, v40, v38
	v_pk_fma_f16 v23, v41, v42, v23
	ds_read2_b32 v[40:41], v35 offset0:192 offset1:224
	v_mul_u32_u24_sdwa v42, v56, s28 dst_sel:DWORD dst_unused:UNUSED_PAD src0_sel:WORD_0 src1_sel:DWORD
	v_mul_u32_u24_sdwa v43, v56, s28 dst_sel:DWORD dst_unused:UNUSED_PAD src0_sel:WORD_1 src1_sel:DWORD
	s_waitcnt lgkmcnt(0)
	v_pk_fma_f16 v38, v40, v42, v38
	v_pk_fma_f16 v23, v40, v43, v23
	v_mul_u32_u24_sdwa v40, v57, s28 dst_sel:DWORD dst_unused:UNUSED_PAD src0_sel:WORD_0 src1_sel:DWORD
	v_mul_u32_u24_sdwa v42, v57, s28 dst_sel:DWORD dst_unused:UNUSED_PAD src0_sel:WORD_1 src1_sel:DWORD
	v_pk_fma_f16 v38, v41, v40, v38
	v_pk_fma_f16 v23, v41, v42, v23
	ds_read2_b32 v[44:45], v36 offset1:32
	ds_read_b128 v[40:43], v28 offset:64
	s_waitcnt lgkmcnt(0)
	v_mul_u32_u24_sdwa v46, v40, s28 dst_sel:DWORD dst_unused:UNUSED_PAD src0_sel:WORD_0 src1_sel:DWORD
	v_mul_u32_u24_sdwa v40, v40, s28 dst_sel:DWORD dst_unused:UNUSED_PAD src0_sel:WORD_1 src1_sel:DWORD
	v_pk_fma_f16 v38, v44, v46, v38
	v_pk_fma_f16 v23, v44, v40, v23
	v_mul_u32_u24_sdwa v40, v41, s28 dst_sel:DWORD dst_unused:UNUSED_PAD src0_sel:WORD_0 src1_sel:DWORD
	v_mul_u32_u24_sdwa v41, v41, s28 dst_sel:DWORD dst_unused:UNUSED_PAD src0_sel:WORD_1 src1_sel:DWORD
	v_pk_fma_f16 v38, v45, v40, v38
	v_pk_fma_f16 v23, v45, v41, v23
	ds_read2_b32 v[40:41], v36 offset0:64 offset1:96
	v_mul_u32_u24_sdwa v44, v42, s28 dst_sel:DWORD dst_unused:UNUSED_PAD src0_sel:WORD_0 src1_sel:DWORD
	v_mul_u32_u24_sdwa v42, v42, s28 dst_sel:DWORD dst_unused:UNUSED_PAD src0_sel:WORD_1 src1_sel:DWORD
	s_waitcnt lgkmcnt(0)
	v_pk_fma_f16 v38, v40, v44, v38
	v_pk_fma_f16 v23, v40, v42, v23
	v_mul_u32_u24_sdwa v40, v43, s28 dst_sel:DWORD dst_unused:UNUSED_PAD src0_sel:WORD_0 src1_sel:DWORD
	v_mul_u32_u24_sdwa v42, v43, s28 dst_sel:DWORD dst_unused:UNUSED_PAD src0_sel:WORD_1 src1_sel:DWORD
	v_pk_fma_f16 v38, v41, v40, v38
	v_pk_fma_f16 v23, v41, v42, v23
	ds_read2_b32 v[44:45], v36 offset0:128 offset1:160
	ds_read_b128 v[40:43], v28 offset:80
	s_waitcnt lgkmcnt(0)
	v_mul_u32_u24_sdwa v46, v40, s28 dst_sel:DWORD dst_unused:UNUSED_PAD src0_sel:WORD_0 src1_sel:DWORD
	v_mul_u32_u24_sdwa v40, v40, s28 dst_sel:DWORD dst_unused:UNUSED_PAD src0_sel:WORD_1 src1_sel:DWORD
	v_pk_fma_f16 v38, v44, v46, v38
	v_pk_fma_f16 v23, v44, v40, v23
	v_mul_u32_u24_sdwa v40, v41, s28 dst_sel:DWORD dst_unused:UNUSED_PAD src0_sel:WORD_0 src1_sel:DWORD
	v_mul_u32_u24_sdwa v41, v41, s28 dst_sel:DWORD dst_unused:UNUSED_PAD src0_sel:WORD_1 src1_sel:DWORD
	v_pk_fma_f16 v38, v45, v40, v38
	v_pk_fma_f16 v23, v45, v41, v23
	ds_read2_b32 v[40:41], v36 offset0:192 offset1:224
	v_mul_u32_u24_sdwa v44, v42, s28 dst_sel:DWORD dst_unused:UNUSED_PAD src0_sel:WORD_0 src1_sel:DWORD
	v_mul_u32_u24_sdwa v42, v42, s28 dst_sel:DWORD dst_unused:UNUSED_PAD src0_sel:WORD_1 src1_sel:DWORD
	s_waitcnt lgkmcnt(0)
	v_pk_fma_f16 v38, v40, v44, v38
	v_pk_fma_f16 v23, v40, v42, v23
	v_mul_u32_u24_sdwa v40, v43, s28 dst_sel:DWORD dst_unused:UNUSED_PAD src0_sel:WORD_0 src1_sel:DWORD
	v_mul_u32_u24_sdwa v42, v43, s28 dst_sel:DWORD dst_unused:UNUSED_PAD src0_sel:WORD_1 src1_sel:DWORD
	v_pk_fma_f16 v38, v41, v40, v38
	v_pk_fma_f16 v23, v41, v42, v23
	ds_read2_b32 v[44:45], v37 offset1:32
	ds_read_b128 v[40:43], v28 offset:96
	s_waitcnt lgkmcnt(0)
	v_mul_u32_u24_sdwa v46, v40, s28 dst_sel:DWORD dst_unused:UNUSED_PAD src0_sel:WORD_0 src1_sel:DWORD
	v_mul_u32_u24_sdwa v40, v40, s28 dst_sel:DWORD dst_unused:UNUSED_PAD src0_sel:WORD_1 src1_sel:DWORD
	v_pk_fma_f16 v38, v44, v46, v38
	v_pk_fma_f16 v23, v44, v40, v23
	v_mul_u32_u24_sdwa v40, v41, s28 dst_sel:DWORD dst_unused:UNUSED_PAD src0_sel:WORD_0 src1_sel:DWORD
	v_mul_u32_u24_sdwa v41, v41, s28 dst_sel:DWORD dst_unused:UNUSED_PAD src0_sel:WORD_1 src1_sel:DWORD
	v_pk_fma_f16 v38, v45, v40, v38
	v_pk_fma_f16 v23, v45, v41, v23
	ds_read2_b32 v[40:41], v37 offset0:64 offset1:96
	v_mul_u32_u24_sdwa v44, v42, s28 dst_sel:DWORD dst_unused:UNUSED_PAD src0_sel:WORD_0 src1_sel:DWORD
	v_mul_u32_u24_sdwa v42, v42, s28 dst_sel:DWORD dst_unused:UNUSED_PAD src0_sel:WORD_1 src1_sel:DWORD
	s_waitcnt lgkmcnt(0)
	v_pk_fma_f16 v38, v40, v44, v38
	v_pk_fma_f16 v23, v40, v42, v23
	v_mul_u32_u24_sdwa v40, v43, s28 dst_sel:DWORD dst_unused:UNUSED_PAD src0_sel:WORD_0 src1_sel:DWORD
	v_mul_u32_u24_sdwa v42, v43, s28 dst_sel:DWORD dst_unused:UNUSED_PAD src0_sel:WORD_1 src1_sel:DWORD
	v_pk_fma_f16 v38, v41, v40, v38
	v_pk_fma_f16 v23, v41, v42, v23
	ds_read2_b32 v[44:45], v37 offset0:128 offset1:160
	ds_read_b128 v[40:43], v28 offset:112
	s_waitcnt lgkmcnt(0)
	v_mul_u32_u24_sdwa v46, v40, s28 dst_sel:DWORD dst_unused:UNUSED_PAD src0_sel:WORD_0 src1_sel:DWORD
	v_mul_u32_u24_sdwa v40, v40, s28 dst_sel:DWORD dst_unused:UNUSED_PAD src0_sel:WORD_1 src1_sel:DWORD
	v_pk_fma_f16 v38, v44, v46, v38
	v_pk_fma_f16 v23, v44, v40, v23
	v_mul_u32_u24_sdwa v40, v41, s28 dst_sel:DWORD dst_unused:UNUSED_PAD src0_sel:WORD_0 src1_sel:DWORD
	v_mul_u32_u24_sdwa v41, v41, s28 dst_sel:DWORD dst_unused:UNUSED_PAD src0_sel:WORD_1 src1_sel:DWORD
	v_pk_fma_f16 v38, v45, v40, v38
	v_pk_fma_f16 v23, v45, v41, v23
	ds_read2_b32 v[40:41], v37 offset0:192 offset1:224
	s_waitcnt lgkmcnt(0)
	s_barrier
	s_load_dword s8, s[0:1], 0x4
	v_mul_u32_u24_sdwa v44, v42, s28 dst_sel:DWORD dst_unused:UNUSED_PAD src0_sel:WORD_0 src1_sel:DWORD
	v_mul_u32_u24_sdwa v42, v42, s28 dst_sel:DWORD dst_unused:UNUSED_PAD src0_sel:WORD_1 src1_sel:DWORD
	v_pk_fma_f16 v38, v40, v44, v38
	v_pk_fma_f16 v23, v40, v42, v23
	s_waitcnt lgkmcnt(0)
	s_lshl_b32 s8, s8, 5
	v_mul_u32_u24_sdwa v40, v43, s28 dst_sel:DWORD dst_unused:UNUSED_PAD src0_sel:WORD_0 src1_sel:DWORD
	v_mul_u32_u24_sdwa v42, v43, s28 dst_sel:DWORD dst_unused:UNUSED_PAD src0_sel:WORD_1 src1_sel:DWORD
	s_add_i32 s6, s8, s6
	v_pk_fma_f16 v38, v41, v40, v38
	v_pk_fma_f16 v23, v41, v42, v23
	s_cmp_ge_i32 s6, s24
	s_cbranch_scc0 .LBB13_9
.LBB13_10:
	v_cmp_lt_i32_e32 vcc, v21, v16
	v_cndmask_b32_e32 v2, v15, v21, vcc
	v_lshlrev_b32_e32 v2, 2, v2
	ds_bpermute_b32 v3, v2, v39
	ds_bpermute_b32 v2, v2, v1
	v_cmp_lt_i32_e32 vcc, v20, v16
	v_cndmask_b32_e32 v4, v15, v20, vcc
	v_lshlrev_b32_e32 v4, 2, v4
	s_waitcnt lgkmcnt(1)
	v_add_f32_e32 v3, v39, v3
	s_waitcnt lgkmcnt(0)
	v_add_f32_e32 v1, v1, v2
	ds_bpermute_b32 v5, v4, v3
	ds_bpermute_b32 v2, v4, v1
	v_cmp_lt_i32_e32 vcc, v19, v16
	v_cndmask_b32_e32 v4, v15, v19, vcc
	v_lshlrev_b32_e32 v4, 2, v4
	s_waitcnt lgkmcnt(1)
	v_add_f32_e32 v3, v3, v5
	s_waitcnt lgkmcnt(0)
	v_add_f32_e32 v1, v1, v2
	;; [unrolled: 9-line block ×4, first 2 shown]
	ds_bpermute_b32 v5, v4, v3
	ds_bpermute_b32 v4, v4, v2
	s_cmp_lg_u64 s[16:17], 0
	s_cselect_b64 s[8:9], -1, 0
	s_cmp_eq_u32 s7, 0
	s_cselect_b64 s[10:11], -1, 0
	s_and_b64 s[8:9], s[10:11], s[8:9]
	v_lshlrev_b32_e32 v6, 1, v0
	s_waitcnt lgkmcnt(1)
	v_add_f32_e32 v1, v3, v5
	s_waitcnt lgkmcnt(0)
	v_add_f32_e32 v2, v2, v4
	s_mov_b64 s[0:1], 0
	s_and_b64 vcc, exec, s[8:9]
	v_add_u32_e32 v3, s25, v14
	s_cbranch_vccnz .LBB13_13
; %bb.11:
	v_mov_b32_e32 v5, v2
	v_add_u32_e32 v7, s25, v14
	v_mov_b32_e32 v4, v1
	s_andn2_b64 vcc, exec, s[0:1]
	s_cbranch_vccz .LBB13_14
; %bb.12:
	v_mov_b32_e32 v3, v7
	s_branch .LBB13_15
.LBB13_13:
                                        ; implicit-def: $vgpr7
                                        ; implicit-def: $vgpr4_vgpr5
.LBB13_14:
	v_ashrrev_i32_e32 v4, 31, v3
	v_lshlrev_b64 v[4:5], 2, v[3:4]
	v_mov_b32_e32 v7, s17
	v_add_co_u32_e32 v4, vcc, s16, v4
	v_addc_co_u32_e32 v5, vcc, v7, v5, vcc
	global_load_dwordx2 v[4:5], v[4:5], off
	v_max_f32_e32 v7, v11, v11
	v_max_f32_e32 v8, v12, v12
	s_mov_b32 s0, 0x3fb8aa3b
	s_mov_b32 s1, 0xc2ce8ed0
	s_mov_b32 s6, 0x42b17218
	v_mov_b32_e32 v9, 0x7f800000
	s_waitcnt vmcnt(0)
	v_max_f32_e32 v10, v4, v4
	v_max_f32_e32 v14, v5, v5
	;; [unrolled: 1-line block ×4, first 2 shown]
	v_sub_f32_e32 v10, v11, v7
	v_sub_f32_e32 v14, v12, v8
	v_mov_b32_e32 v12, v8
	v_sub_f32_e32 v4, v4, v7
	v_mov_b32_e32 v11, v7
	v_mul_f32_e32 v7, 0x3fb8aa3b, v10
	v_sub_f32_e32 v5, v5, v8
	v_mul_f32_e32 v8, 0x3fb8aa3b, v4
	v_fma_f32 v17, v10, s0, -v7
	v_rndne_f32_e32 v18, v7
	v_mul_f32_e32 v15, 0x3fb8aa3b, v14
	v_fma_f32 v19, v4, s0, -v8
	v_rndne_f32_e32 v20, v8
	v_fmac_f32_e32 v17, 0x32a5705f, v10
	v_sub_f32_e32 v7, v7, v18
	v_mul_f32_e32 v16, 0x3fb8aa3b, v5
	v_fma_f32 v21, v14, s0, -v15
	v_rndne_f32_e32 v22, v15
	v_fmac_f32_e32 v19, 0x32a5705f, v4
	v_sub_f32_e32 v8, v8, v20
	v_add_f32_e32 v7, v7, v17
	v_fma_f32 v24, v5, s0, -v16
	v_rndne_f32_e32 v25, v16
	v_cvt_i32_f32_e32 v18, v18
	v_fmac_f32_e32 v21, 0x32a5705f, v14
	v_sub_f32_e32 v15, v15, v22
	v_add_f32_e32 v8, v8, v19
	v_exp_f32_e32 v7, v7
	v_cvt_i32_f32_e32 v20, v20
	v_fmac_f32_e32 v24, 0x32a5705f, v5
	v_sub_f32_e32 v16, v16, v25
	v_add_f32_e32 v15, v15, v21
	v_exp_f32_e32 v8, v8
	v_cvt_i32_f32_e32 v22, v22
	v_add_f32_e32 v16, v16, v24
	v_exp_f32_e32 v15, v15
	v_cvt_i32_f32_e32 v25, v25
	v_exp_f32_e32 v16, v16
	v_ldexp_f32 v7, v7, v18
	v_cmp_ngt_f32_e32 vcc, s1, v10
	v_ldexp_f32 v8, v8, v20
	v_cndmask_b32_e32 v7, 0, v7, vcc
	v_cmp_ngt_f32_e32 vcc, s1, v4
	v_ldexp_f32 v15, v15, v22
	v_cndmask_b32_e32 v8, 0, v8, vcc
	;; [unrolled: 3-line block ×3, first 2 shown]
	v_cmp_ngt_f32_e32 vcc, s1, v5
	v_cndmask_b32_e32 v16, 0, v16, vcc
	v_cmp_nlt_f32_e32 vcc, s6, v10
	v_cndmask_b32_e32 v7, v9, v7, vcc
	v_cmp_nlt_f32_e32 vcc, s6, v4
	;; [unrolled: 2-line block ×4, first 2 shown]
	v_cndmask_b32_e32 v5, v9, v16, vcc
	v_fmac_f32_e32 v4, v1, v7
	v_cvt_f16_f32_e32 v7, v7
	v_cvt_f16_f32_e32 v9, v8
	v_fmac_f32_e32 v5, v2, v8
	v_mov_b32_e32 v1, v4
	v_mul_u32_u24_e32 v2, 0x10001, v7
	v_mul_u32_u24_e32 v7, 0x10001, v9
	v_pk_mul_f16 v38, v38, v2
	v_pk_mul_f16 v23, v23, v7
	v_mov_b32_e32 v2, v5
.LBB13_15:
	s_load_dword s6, s[4:5], 0xd4
	v_mov_b32_e32 v7, 1.0
	s_waitcnt lgkmcnt(0)
	s_cmp_lg_u32 s6, 1
	s_cselect_b64 s[0:1], -1, 0
	s_cmp_eq_u32 s6, 1
	s_cselect_b64 s[4:5], -1, 0
	s_and_b64 vcc, exec, s[0:1]
	s_cbranch_vccnz .LBB13_17
; %bb.16:
	v_div_scale_f32 v7, s[8:9], v1, v1, 1.0
	v_div_scale_f32 v8, vcc, 1.0, v1, 1.0
	v_rcp_f32_e32 v9, v7
	v_fma_f32 v10, -v7, v9, 1.0
	v_fmac_f32_e32 v9, v10, v9
	v_mul_f32_e32 v10, v8, v9
	v_fma_f32 v14, -v7, v10, v8
	v_fmac_f32_e32 v10, v14, v9
	v_fma_f32 v7, -v7, v10, v8
	v_div_fmas_f32 v7, v7, v9, v10
	v_div_fixup_f32 v7, v7, v1, 1.0
.LBB13_17:
	s_mul_i32 s30, s30, s2
	v_add_u32_e32 v1, s30, v13
	v_mad_u64_u32 v[8:9], s[2:3], v1, s3, v[3:4]
	v_cmp_eq_u32_e32 vcc, 0, v0
	v_cvt_f32_f16_e32 v0, v38
	v_mul_lo_u32 v1, s6, v8
	v_cvt_f32_f16_sdwa v3, v38 dst_sel:DWORD dst_unused:UNUSED_PAD src0_sel:WORD_1
	v_mov_b32_e32 v14, 0
	v_mul_f32_e32 v8, v7, v0
	v_add_u32_e32 v0, s7, v1
	v_lshl_add_u32 v13, v0, 6, v6
	v_lshlrev_b64 v[13:14], 2, v[13:14]
	s_and_b64 s[0:1], vcc, s[0:1]
	v_mov_b32_e32 v1, s21
	v_add_co_u32_e32 v13, vcc, s20, v13
	v_mul_f32_e32 v9, v7, v3
	v_addc_co_u32_e32 v14, vcc, v1, v14, vcc
	global_store_dwordx2 v[13:14], v[8:9], off
	s_and_saveexec_b64 s[2:3], s[0:1]
	s_cbranch_execz .LBB13_19
; %bb.18:
	v_ashrrev_i32_e32 v1, 31, v0
	v_lshlrev_b64 v[7:8], 3, v[0:1]
	v_mov_b32_e32 v1, s23
	v_add_co_u32_e32 v7, vcc, s22, v7
	v_addc_co_u32_e32 v8, vcc, v1, v8, vcc
	v_mov_b32_e32 v3, v11
	global_store_dwordx2 v[7:8], v[3:4], off
.LBB13_19:
	s_or_b64 exec, exec, s[2:3]
	s_andn2_b64 vcc, exec, s[4:5]
	v_mov_b32_e32 v1, 1.0
	s_cbranch_vccnz .LBB13_21
; %bb.20:
	v_div_scale_f32 v1, s[2:3], v2, v2, 1.0
	v_div_scale_f32 v3, vcc, 1.0, v2, 1.0
	v_rcp_f32_e32 v4, v1
	v_fma_f32 v7, -v1, v4, 1.0
	v_fmac_f32_e32 v4, v7, v4
	v_mul_f32_e32 v7, v3, v4
	v_fma_f32 v8, -v1, v7, v3
	v_fmac_f32_e32 v7, v8, v4
	v_fma_f32 v1, -v1, v7, v3
	v_div_fmas_f32 v1, v1, v4, v7
	v_div_fixup_f32 v1, v1, v2, 1.0
.LBB13_21:
	v_cvt_f32_f16_e32 v2, v23
	v_cvt_f32_f16_sdwa v3, v23 dst_sel:DWORD dst_unused:UNUSED_PAD src0_sel:WORD_1
	v_add_u32_e32 v0, s6, v0
	v_lshl_add_u32 v6, v0, 6, v6
	v_mov_b32_e32 v7, 0
	v_lshlrev_b64 v[6:7], 2, v[6:7]
	v_mul_f32_e32 v2, v1, v2
	v_mul_f32_e32 v3, v1, v3
	v_mov_b32_e32 v1, s21
	v_add_co_u32_e32 v6, vcc, s20, v6
	v_addc_co_u32_e32 v7, vcc, v1, v7, vcc
	global_store_dwordx2 v[6:7], v[2:3], off
	s_and_saveexec_b64 s[2:3], s[0:1]
	s_cbranch_execz .LBB13_23
; %bb.22:
	v_ashrrev_i32_e32 v1, 31, v0
	v_lshlrev_b64 v[0:1], 3, v[0:1]
	v_mov_b32_e32 v2, s23
	v_add_co_u32_e32 v0, vcc, s22, v0
	v_addc_co_u32_e32 v1, vcc, v2, v1, vcc
	v_mov_b32_e32 v4, v12
	global_store_dwordx2 v[0:1], v[4:5], off
.LBB13_23:
	s_endpgm
	.section	.rodata,"a",@progbits
	.p2align	6, 0x0
	.amdhsa_kernel _ZL15flash_attn_tileILi64ELi64ELi1ELi8ELb0EEvPKcS1_S1_S1_S1_PKiPfP15HIP_vector_typeIfLj2EEffffjfiS5_IjLj3EEiiiiiiiiiiiliiliiiiil
		.amdhsa_group_segment_fixed_size 6144
		.amdhsa_private_segment_fixed_size 0
		.amdhsa_kernarg_size 464
		.amdhsa_user_sgpr_count 6
		.amdhsa_user_sgpr_private_segment_buffer 1
		.amdhsa_user_sgpr_dispatch_ptr 0
		.amdhsa_user_sgpr_queue_ptr 0
		.amdhsa_user_sgpr_kernarg_segment_ptr 1
		.amdhsa_user_sgpr_dispatch_id 0
		.amdhsa_user_sgpr_flat_scratch_init 0
		.amdhsa_user_sgpr_private_segment_size 0
		.amdhsa_uses_dynamic_stack 0
		.amdhsa_system_sgpr_private_segment_wavefront_offset 0
		.amdhsa_system_sgpr_workgroup_id_x 1
		.amdhsa_system_sgpr_workgroup_id_y 1
		.amdhsa_system_sgpr_workgroup_id_z 1
		.amdhsa_system_sgpr_workgroup_info 0
		.amdhsa_system_vgpr_workitem_id 1
		.amdhsa_next_free_vgpr 61
		.amdhsa_next_free_sgpr 98
		.amdhsa_reserve_vcc 1
		.amdhsa_reserve_flat_scratch 0
		.amdhsa_float_round_mode_32 0
		.amdhsa_float_round_mode_16_64 0
		.amdhsa_float_denorm_mode_32 3
		.amdhsa_float_denorm_mode_16_64 3
		.amdhsa_dx10_clamp 1
		.amdhsa_ieee_mode 1
		.amdhsa_fp16_overflow 0
		.amdhsa_exception_fp_ieee_invalid_op 0
		.amdhsa_exception_fp_denorm_src 0
		.amdhsa_exception_fp_ieee_div_zero 0
		.amdhsa_exception_fp_ieee_overflow 0
		.amdhsa_exception_fp_ieee_underflow 0
		.amdhsa_exception_fp_ieee_inexact 0
		.amdhsa_exception_int_div_zero 0
	.end_amdhsa_kernel
	.section	.text._ZL15flash_attn_tileILi64ELi64ELi1ELi8ELb0EEvPKcS1_S1_S1_S1_PKiPfP15HIP_vector_typeIfLj2EEffffjfiS5_IjLj3EEiiiiiiiiiiiliiliiiiil,"axG",@progbits,_ZL15flash_attn_tileILi64ELi64ELi1ELi8ELb0EEvPKcS1_S1_S1_S1_PKiPfP15HIP_vector_typeIfLj2EEffffjfiS5_IjLj3EEiiiiiiiiiiiliiliiiiil,comdat
.Lfunc_end13:
	.size	_ZL15flash_attn_tileILi64ELi64ELi1ELi8ELb0EEvPKcS1_S1_S1_S1_PKiPfP15HIP_vector_typeIfLj2EEffffjfiS5_IjLj3EEiiiiiiiiiiiliiliiiiil, .Lfunc_end13-_ZL15flash_attn_tileILi64ELi64ELi1ELi8ELb0EEvPKcS1_S1_S1_S1_PKiPfP15HIP_vector_typeIfLj2EEffffjfiS5_IjLj3EEiiiiiiiiiiiliiliiiiil
                                        ; -- End function
	.set _ZL15flash_attn_tileILi64ELi64ELi1ELi8ELb0EEvPKcS1_S1_S1_S1_PKiPfP15HIP_vector_typeIfLj2EEffffjfiS5_IjLj3EEiiiiiiiiiiiliiliiiiil.num_vgpr, 61
	.set _ZL15flash_attn_tileILi64ELi64ELi1ELi8ELb0EEvPKcS1_S1_S1_S1_PKiPfP15HIP_vector_typeIfLj2EEffffjfiS5_IjLj3EEiiiiiiiiiiiliiliiiiil.num_agpr, 0
	.set _ZL15flash_attn_tileILi64ELi64ELi1ELi8ELb0EEvPKcS1_S1_S1_S1_PKiPfP15HIP_vector_typeIfLj2EEffffjfiS5_IjLj3EEiiiiiiiiiiiliiliiiiil.numbered_sgpr, 40
	.set _ZL15flash_attn_tileILi64ELi64ELi1ELi8ELb0EEvPKcS1_S1_S1_S1_PKiPfP15HIP_vector_typeIfLj2EEffffjfiS5_IjLj3EEiiiiiiiiiiiliiliiiiil.num_named_barrier, 0
	.set _ZL15flash_attn_tileILi64ELi64ELi1ELi8ELb0EEvPKcS1_S1_S1_S1_PKiPfP15HIP_vector_typeIfLj2EEffffjfiS5_IjLj3EEiiiiiiiiiiiliiliiiiil.private_seg_size, 0
	.set _ZL15flash_attn_tileILi64ELi64ELi1ELi8ELb0EEvPKcS1_S1_S1_S1_PKiPfP15HIP_vector_typeIfLj2EEffffjfiS5_IjLj3EEiiiiiiiiiiiliiliiiiil.uses_vcc, 1
	.set _ZL15flash_attn_tileILi64ELi64ELi1ELi8ELb0EEvPKcS1_S1_S1_S1_PKiPfP15HIP_vector_typeIfLj2EEffffjfiS5_IjLj3EEiiiiiiiiiiiliiliiiiil.uses_flat_scratch, 0
	.set _ZL15flash_attn_tileILi64ELi64ELi1ELi8ELb0EEvPKcS1_S1_S1_S1_PKiPfP15HIP_vector_typeIfLj2EEffffjfiS5_IjLj3EEiiiiiiiiiiiliiliiiiil.has_dyn_sized_stack, 0
	.set _ZL15flash_attn_tileILi64ELi64ELi1ELi8ELb0EEvPKcS1_S1_S1_S1_PKiPfP15HIP_vector_typeIfLj2EEffffjfiS5_IjLj3EEiiiiiiiiiiiliiliiiiil.has_recursion, 0
	.set _ZL15flash_attn_tileILi64ELi64ELi1ELi8ELb0EEvPKcS1_S1_S1_S1_PKiPfP15HIP_vector_typeIfLj2EEffffjfiS5_IjLj3EEiiiiiiiiiiiliiliiiiil.has_indirect_call, 0
	.section	.AMDGPU.csdata,"",@progbits
; Kernel info:
; codeLenInByte = 5776
; TotalNumSgprs: 44
; NumVgprs: 61
; ScratchSize: 0
; MemoryBound: 0
; FloatMode: 240
; IeeeMode: 1
; LDSByteSize: 6144 bytes/workgroup (compile time only)
; SGPRBlocks: 12
; VGPRBlocks: 15
; NumSGPRsForWavesPerEU: 102
; NumVGPRsForWavesPerEU: 61
; Occupancy: 4
; WaveLimiterHint : 1
; COMPUTE_PGM_RSRC2:SCRATCH_EN: 0
; COMPUTE_PGM_RSRC2:USER_SGPR: 6
; COMPUTE_PGM_RSRC2:TRAP_HANDLER: 0
; COMPUTE_PGM_RSRC2:TGID_X_EN: 1
; COMPUTE_PGM_RSRC2:TGID_Y_EN: 1
; COMPUTE_PGM_RSRC2:TGID_Z_EN: 1
; COMPUTE_PGM_RSRC2:TIDIG_COMP_CNT: 1
	.section	.text._ZL25flash_attn_mask_to_KV_maxILi1EEvPK7__half2Piiii,"axG",@progbits,_ZL25flash_attn_mask_to_KV_maxILi1EEvPK7__half2Piiii,comdat
	.globl	_ZL25flash_attn_mask_to_KV_maxILi1EEvPK7__half2Piiii ; -- Begin function _ZL25flash_attn_mask_to_KV_maxILi1EEvPK7__half2Piiii
	.p2align	8
	.type	_ZL25flash_attn_mask_to_KV_maxILi1EEvPK7__half2Piiii,@function
_ZL25flash_attn_mask_to_KV_maxILi1EEvPK7__half2Piiii: ; @_ZL25flash_attn_mask_to_KV_maxILi1EEvPK7__half2Piiii
; %bb.0:
	s_load_dwordx4 s[8:11], s[4:5], 0x0
	v_cmp_gt_u32_e32 vcc, 32, v0
	s_and_saveexec_b64 s[0:1], vcc
; %bb.1:
	v_lshlrev_b32_e32 v1, 2, v0
	v_mov_b32_e32 v2, 1
	ds_write_b32 v1, v2
; %bb.2:
	s_or_b64 exec, exec, s[0:1]
	s_load_dwordx4 s[0:3], s[4:5], 0x10
	s_load_dword s12, s[4:5], 0x20
	v_and_b32_e32 v1, 31, v0
	v_lshlrev_b32_e32 v4, 2, v1
	v_lshrrev_b32_e32 v3, 3, v0
	s_waitcnt lgkmcnt(0)
	s_mul_i32 s2, s2, s7
	s_mul_i32 s1, s1, s6
	s_add_i32 s2, s2, s1
	s_ashr_i32 s3, s2, 31
	s_lshl_b64 s[2:3], s[2:3], 2
	s_add_u32 s13, s8, s2
	s_addc_u32 s14, s9, s3
	s_lshl_b32 s15, s0, 8
	v_cmp_eq_u32_e64 s[0:1], 0, v1
	v_mbcnt_lo_u32_b32 v1, -1, 0
	v_mbcnt_hi_u32_b32 v5, -1, v1
	v_and_b32_e32 v1, 0x60, v5
	s_mov_b64 s[4:5], 0
	v_mov_b32_e32 v2, 0
	s_movk_i32 s16, 0x204
	v_add_u32_e32 v6, 32, v1
	v_xor_b32_e32 v7, 16, v5
	v_xor_b32_e32 v8, 8, v5
	;; [unrolled: 1-line block ×5, first 2 shown]
	s_barrier
                                        ; implicit-def: $sgpr2_sgpr3
	s_branch .LBB14_5
.LBB14_3:                               ;   in Loop: Header=BB14_5 Depth=1
	s_or_b64 exec, exec, s[8:9]
	s_waitcnt lgkmcnt(0)
	s_barrier
	ds_read_b32 v16, v4
	s_waitcnt lgkmcnt(0)
	s_barrier
	ds_bpermute_b32 v1, v1, v16
	v_cmp_ne_u32_e32 vcc, 0, v16
	s_waitcnt lgkmcnt(0)
	v_cmp_ne_u32_e64 s[2:3], 0, v1
	s_and_b64 s[2:3], vcc, s[2:3]
	v_cndmask_b32_e64 v1, 0, 1, s[2:3]
	ds_bpermute_b32 v1, v12, v1
	s_waitcnt lgkmcnt(0)
	v_cmp_ne_u32_e32 vcc, 0, v1
	s_and_b64 s[2:3], vcc, s[2:3]
	v_cndmask_b32_e64 v1, 0, 1, s[2:3]
	ds_bpermute_b32 v1, v13, v1
	s_waitcnt lgkmcnt(0)
	v_cmp_ne_u32_e32 vcc, 0, v1
	;; [unrolled: 5-line block ×3, first 2 shown]
	s_and_b64 s[2:3], vcc, s[2:3]
	v_cndmask_b32_e64 v1, 0, 1, s[2:3]
	ds_bpermute_b32 v1, v15, v1
	s_xor_b64 s[2:3], s[2:3], -1
	s_waitcnt lgkmcnt(0)
	v_cmp_eq_u32_e32 vcc, 0, v1
	s_or_b64 s[2:3], vcc, s[2:3]
.LBB14_4:                               ;   in Loop: Header=BB14_5 Depth=1
	s_and_b64 s[8:9], exec, s[2:3]
	s_or_b64 s[4:5], s[8:9], s[4:5]
	v_mov_b32_e32 v1, s15
	s_mov_b32 s15, s17
	s_andn2_b64 exec, exec, s[4:5]
	s_cbranch_execz .LBB14_10
.LBB14_5:                               ; =>This Inner Loop Header: Depth=1
	s_add_i32 s17, s15, 0xffffff00
	s_or_b64 s[2:3], s[2:3], exec
	s_cmp_lt_i32 s17, 0
	s_cbranch_scc1 .LBB14_4
; %bb.6:                                ;   in Loop: Header=BB14_5 Depth=1
	s_lshr_b32 s2, s17, 1
	v_add_u32_e32 v1, s2, v0
	v_lshlrev_b64 v[12:13], 2, v[1:2]
	v_mov_b32_e32 v1, s14
	v_add_co_u32_e32 v12, vcc, s13, v12
	v_addc_co_u32_e32 v13, vcc, v1, v13, vcc
	global_load_dword v1, v[12:13], off
	v_mov_b32_e32 v12, 0
	s_waitcnt vmcnt(0)
	v_cmp_class_f16_e64 s[8:9], v1, s16
	s_and_saveexec_b64 s[2:3], s[8:9]
; %bb.7:                                ;   in Loop: Header=BB14_5 Depth=1
	v_cmp_class_f16_sdwa s[8:9], v1, s16 src0_sel:WORD_1 src1_sel:DWORD
	v_cndmask_b32_e64 v12, 0, 1, s[8:9]
; %bb.8:                                ;   in Loop: Header=BB14_5 Depth=1
	s_or_b64 exec, exec, s[2:3]
	v_cmp_lt_i32_e32 vcc, v7, v6
	v_cndmask_b32_e32 v1, v5, v7, vcc
	v_lshlrev_b32_e32 v1, 2, v1
	ds_bpermute_b32 v13, v1, v12
	v_cmp_ne_u32_e32 vcc, 0, v12
	s_waitcnt lgkmcnt(0)
	v_cmp_ne_u32_e64 s[2:3], 0, v13
	s_and_b64 s[2:3], vcc, s[2:3]
	v_cmp_lt_i32_e32 vcc, v8, v6
	v_cndmask_b32_e32 v12, v5, v8, vcc
	v_cndmask_b32_e64 v13, 0, 1, s[2:3]
	v_lshlrev_b32_e32 v12, 2, v12
	ds_bpermute_b32 v13, v12, v13
	s_waitcnt lgkmcnt(0)
	v_cmp_ne_u32_e32 vcc, 0, v13
	s_and_b64 s[2:3], vcc, s[2:3]
	v_cmp_lt_i32_e32 vcc, v9, v6
	v_cndmask_b32_e32 v13, v5, v9, vcc
	v_cndmask_b32_e64 v14, 0, 1, s[2:3]
	v_lshlrev_b32_e32 v13, 2, v13
	ds_bpermute_b32 v14, v13, v14
	s_waitcnt lgkmcnt(0)
	v_cmp_ne_u32_e32 vcc, 0, v14
	;; [unrolled: 8-line block ×3, first 2 shown]
	s_and_b64 s[2:3], vcc, s[2:3]
	v_cmp_lt_i32_e32 vcc, v11, v6
	v_cndmask_b32_e32 v15, v5, v11, vcc
	v_cndmask_b32_e64 v16, 0, 1, s[2:3]
	v_lshlrev_b32_e32 v15, 2, v15
	ds_bpermute_b32 v16, v15, v16
	s_and_saveexec_b64 s[8:9], s[0:1]
	s_cbranch_execz .LBB14_3
; %bb.9:                                ;   in Loop: Header=BB14_5 Depth=1
	s_waitcnt lgkmcnt(0)
	v_cmp_ne_u32_e32 vcc, 0, v16
	s_and_b64 s[2:3], vcc, s[2:3]
	v_cndmask_b32_e64 v16, 0, 1, s[2:3]
	ds_write_b32 v3, v16
	s_branch .LBB14_3
.LBB14_10:
	s_or_b64 exec, exec, s[4:5]
	v_cmp_eq_u32_e32 vcc, 0, v0
	s_and_saveexec_b64 s[0:1], vcc
	s_cbranch_execz .LBB14_12
; %bb.11:
	s_mul_i32 s0, s12, s7
	s_add_i32 s0, s0, s6
	s_ashr_i32 s1, s0, 31
	s_lshl_b64 s[0:1], s[0:1], 2
	s_add_u32 s0, s10, s0
	s_addc_u32 s1, s11, s1
	v_mov_b32_e32 v0, 0
	global_store_dword v0, v1, s[0:1]
.LBB14_12:
	s_endpgm
	.section	.rodata,"a",@progbits
	.p2align	6, 0x0
	.amdhsa_kernel _ZL25flash_attn_mask_to_KV_maxILi1EEvPK7__half2Piiii
		.amdhsa_group_segment_fixed_size 128
		.amdhsa_private_segment_fixed_size 0
		.amdhsa_kernarg_size 288
		.amdhsa_user_sgpr_count 6
		.amdhsa_user_sgpr_private_segment_buffer 1
		.amdhsa_user_sgpr_dispatch_ptr 0
		.amdhsa_user_sgpr_queue_ptr 0
		.amdhsa_user_sgpr_kernarg_segment_ptr 1
		.amdhsa_user_sgpr_dispatch_id 0
		.amdhsa_user_sgpr_flat_scratch_init 0
		.amdhsa_user_sgpr_private_segment_size 0
		.amdhsa_uses_dynamic_stack 0
		.amdhsa_system_sgpr_private_segment_wavefront_offset 0
		.amdhsa_system_sgpr_workgroup_id_x 1
		.amdhsa_system_sgpr_workgroup_id_y 1
		.amdhsa_system_sgpr_workgroup_id_z 0
		.amdhsa_system_sgpr_workgroup_info 0
		.amdhsa_system_vgpr_workitem_id 0
		.amdhsa_next_free_vgpr 17
		.amdhsa_next_free_sgpr 18
		.amdhsa_reserve_vcc 1
		.amdhsa_reserve_flat_scratch 0
		.amdhsa_float_round_mode_32 0
		.amdhsa_float_round_mode_16_64 0
		.amdhsa_float_denorm_mode_32 3
		.amdhsa_float_denorm_mode_16_64 3
		.amdhsa_dx10_clamp 1
		.amdhsa_ieee_mode 1
		.amdhsa_fp16_overflow 0
		.amdhsa_exception_fp_ieee_invalid_op 0
		.amdhsa_exception_fp_denorm_src 0
		.amdhsa_exception_fp_ieee_div_zero 0
		.amdhsa_exception_fp_ieee_overflow 0
		.amdhsa_exception_fp_ieee_underflow 0
		.amdhsa_exception_fp_ieee_inexact 0
		.amdhsa_exception_int_div_zero 0
	.end_amdhsa_kernel
	.section	.text._ZL25flash_attn_mask_to_KV_maxILi1EEvPK7__half2Piiii,"axG",@progbits,_ZL25flash_attn_mask_to_KV_maxILi1EEvPK7__half2Piiii,comdat
.Lfunc_end14:
	.size	_ZL25flash_attn_mask_to_KV_maxILi1EEvPK7__half2Piiii, .Lfunc_end14-_ZL25flash_attn_mask_to_KV_maxILi1EEvPK7__half2Piiii
                                        ; -- End function
	.set _ZL25flash_attn_mask_to_KV_maxILi1EEvPK7__half2Piiii.num_vgpr, 17
	.set _ZL25flash_attn_mask_to_KV_maxILi1EEvPK7__half2Piiii.num_agpr, 0
	.set _ZL25flash_attn_mask_to_KV_maxILi1EEvPK7__half2Piiii.numbered_sgpr, 18
	.set _ZL25flash_attn_mask_to_KV_maxILi1EEvPK7__half2Piiii.num_named_barrier, 0
	.set _ZL25flash_attn_mask_to_KV_maxILi1EEvPK7__half2Piiii.private_seg_size, 0
	.set _ZL25flash_attn_mask_to_KV_maxILi1EEvPK7__half2Piiii.uses_vcc, 1
	.set _ZL25flash_attn_mask_to_KV_maxILi1EEvPK7__half2Piiii.uses_flat_scratch, 0
	.set _ZL25flash_attn_mask_to_KV_maxILi1EEvPK7__half2Piiii.has_dyn_sized_stack, 0
	.set _ZL25flash_attn_mask_to_KV_maxILi1EEvPK7__half2Piiii.has_recursion, 0
	.set _ZL25flash_attn_mask_to_KV_maxILi1EEvPK7__half2Piiii.has_indirect_call, 0
	.section	.AMDGPU.csdata,"",@progbits
; Kernel info:
; codeLenInByte = 752
; TotalNumSgprs: 22
; NumVgprs: 17
; ScratchSize: 0
; MemoryBound: 0
; FloatMode: 240
; IeeeMode: 1
; LDSByteSize: 128 bytes/workgroup (compile time only)
; SGPRBlocks: 2
; VGPRBlocks: 4
; NumSGPRsForWavesPerEU: 22
; NumVGPRsForWavesPerEU: 17
; Occupancy: 10
; WaveLimiterHint : 0
; COMPUTE_PGM_RSRC2:SCRATCH_EN: 0
; COMPUTE_PGM_RSRC2:USER_SGPR: 6
; COMPUTE_PGM_RSRC2:TRAP_HANDLER: 0
; COMPUTE_PGM_RSRC2:TGID_X_EN: 1
; COMPUTE_PGM_RSRC2:TGID_Y_EN: 1
; COMPUTE_PGM_RSRC2:TGID_Z_EN: 0
; COMPUTE_PGM_RSRC2:TIDIG_COMP_CNT: 0
	.section	.text._ZL33flash_attn_stream_k_fixup_uniformILi64ELi1ELi8EEvPfPK15HIP_vector_typeIfLj2EEiiiiiiS1_IjLj3EES5_S5_,"axG",@progbits,_ZL33flash_attn_stream_k_fixup_uniformILi64ELi1ELi8EEvPfPK15HIP_vector_typeIfLj2EEiiiiiiS1_IjLj3EES5_S5_,comdat
	.globl	_ZL33flash_attn_stream_k_fixup_uniformILi64ELi1ELi8EEvPfPK15HIP_vector_typeIfLj2EEiiiiiiS1_IjLj3EES5_S5_ ; -- Begin function _ZL33flash_attn_stream_k_fixup_uniformILi64ELi1ELi8EEvPfPK15HIP_vector_typeIfLj2EEiiiiiiS1_IjLj3EES5_S5_
	.p2align	8
	.type	_ZL33flash_attn_stream_k_fixup_uniformILi64ELi1ELi8EEvPfPK15HIP_vector_typeIfLj2EEiiiiiiS1_IjLj3EES5_S5_,@function
_ZL33flash_attn_stream_k_fixup_uniformILi64ELi1ELi8EEvPfPK15HIP_vector_typeIfLj2EEiiiiiiS1_IjLj3EES5_S5_: ; @_ZL33flash_attn_stream_k_fixup_uniformILi64ELi1ELi8EEvPfPK15HIP_vector_typeIfLj2EEiiiiiiS1_IjLj3EES5_S5_
; %bb.0:
	s_load_dwordx8 s[12:19], s[4:5], 0x1c
	s_load_dwordx2 s[10:11], s[4:5], 0x10
	s_load_dwordx4 s[0:3], s[4:5], 0x3c
	s_waitcnt lgkmcnt(0)
	s_mul_hi_u32 s9, s15, s6
	s_add_i32 s9, s6, s9
	s_lshr_b32 s9, s9, s16
	s_mul_i32 s15, s9, s17
	s_sub_i32 s16, s6, s15
	s_mul_hi_u32 s15, s16, s18
	s_add_i32 s15, s16, s15
	s_lshr_b32 s15, s15, s19
	s_mul_i32 s0, s15, s0
	s_sub_i32 s0, s16, s0
	;; [unrolled: 5-line block ×3, first 2 shown]
	s_lshl_b32 s17, s1, 3
	s_add_i32 s16, s16, s7
	s_cmp_lt_i32 s16, s10
	s_cselect_b64 s[0:1], -1, 0
	s_add_i32 s17, s17, s8
	s_cmp_lt_i32 s17, s13
	s_cselect_b64 s[2:3], -1, 0
	s_and_b64 s[0:1], s[0:1], s[2:3]
	s_andn2_b64 vcc, exec, s[0:1]
	s_cbranch_vccnz .LBB15_6
; %bb.1:
	s_mul_i32 s9, s9, s10
	s_load_dwordx4 s[0:3], s[4:5], 0x0
	s_mul_i32 s15, s15, s13
	s_add_i32 s4, s16, s9
	s_mul_i32 s4, s4, s11
	s_add_i32 s5, s17, s15
	s_add_i32 s5, s5, s4
	v_lshl_or_b32 v1, s5, 6, v0
	v_ashrrev_i32_e32 v2, 31, v1
	v_lshlrev_b64 v[1:2], 2, v[1:2]
	s_waitcnt lgkmcnt(0)
	v_mov_b32_e32 v3, s1
	v_add_co_u32_e32 v1, vcc, s0, v1
	v_addc_co_u32_e32 v2, vcc, v3, v2, vcc
	global_load_dword v8, v[1:2], off
	s_mul_i32 s9, s14, s6
	s_add_i32 s4, s9, s14
	s_add_i32 s0, s7, s4
	s_lshl_b32 s0, s0, 3
	s_add_i32 s0, s0, s8
	s_add_i32 s0, s0, -8
	s_ashr_i32 s1, s0, 31
	s_lshl_b64 s[0:1], s[0:1], 3
	s_add_u32 s0, s2, s0
	s_addc_u32 s1, s3, s1
	s_load_dword s5, s[0:1], 0x4
	s_add_i32 s10, s4, -2
	s_cmp_lt_i32 s10, s9
	s_cbranch_scc1 .LBB15_4
; %bb.2:
	s_lshl_b32 s10, s12, 5
	s_ashr_i32 s11, s10, 31
	s_lshl_b64 s[10:11], s[10:11], 2
	s_add_u32 s10, s2, s10
	s_addc_u32 s13, s3, s11
	s_load_dword s0, s[0:1], 0x0
	s_add_i32 s6, s6, 1
	s_lshl_b32 s1, s8, 6
	s_add_i32 s12, s7, s12
	s_mul_i32 s6, s14, s6
	s_lshl_b32 s7, s7, 9
	s_add_i32 s12, s12, s4
	s_lshl_b32 s6, s6, 9
	s_add_i32 s1, s1, s7
	s_add_i32 s11, s4, -1
	s_lshl_b32 s4, s12, 3
	s_add_i32 s1, s1, s6
	s_add_i32 s4, s8, s4
	v_or_b32_e32 v0, s1, v0
	s_add_i32 s4, s4, -16
	v_add_u32_e32 v3, 0xfffffc00, v0
	s_waitcnt lgkmcnt(0)
	v_mov_b32_e32 v7, s5
	v_mov_b32_e32 v6, s0
	;; [unrolled: 1-line block ×3, first 2 shown]
	s_mov_b32 s6, 0x3fb8aa3b
	s_mov_b32 s7, 0xc2ce8ed0
	;; [unrolled: 1-line block ×3, first 2 shown]
	v_mov_b32_e32 v5, 0x7f800000
	s_mov_b32 s12, 0xc1a00000
.LBB15_3:                               ; =>This Inner Loop Header: Depth=1
	v_ashrrev_i32_e32 v4, 31, v3
	v_lshlrev_b64 v[9:10], 2, v[3:4]
	s_ashr_i32 s5, s4, 31
	v_add_co_u32_e32 v9, vcc, s10, v9
	v_addc_co_u32_e32 v10, vcc, v0, v10, vcc
	global_load_dword v4, v[9:10], off
	s_lshl_b64 s[0:1], s[4:5], 3
	s_add_u32 s0, s2, s0
	s_addc_u32 s1, s3, s1
	s_load_dwordx2 s[14:15], s[0:1], 0x0
	s_waitcnt vmcnt(1)
	v_mov_b32_e32 v9, v8
	v_max_f32_e32 v8, v6, v6
	v_mov_b32_e32 v10, v7
	s_add_i32 s11, s11, -1
	s_waitcnt lgkmcnt(0)
	v_max_f32_e64 v7, s14, s14
	v_max_f32_e32 v7, v8, v7
	v_sub_f32_e32 v11, s14, v7
	v_sub_f32_e32 v8, v6, v7
	v_mul_f32_e32 v12, 0x3fb8aa3b, v11
	v_mov_b32_e32 v6, v7
	v_mul_f32_e32 v7, 0x3fb8aa3b, v8
	v_fma_f32 v15, v11, s6, -v12
	v_rndne_f32_e32 v16, v12
	v_fma_f32 v13, v8, s6, -v7
	v_rndne_f32_e32 v14, v7
	v_fmac_f32_e32 v15, 0x32a5705f, v11
	v_sub_f32_e32 v12, v12, v16
	v_fmac_f32_e32 v13, 0x32a5705f, v8
	v_sub_f32_e32 v7, v7, v14
	v_add_f32_e32 v12, v12, v15
	v_cvt_i32_f32_e32 v16, v16
	v_add_f32_e32 v7, v7, v13
	v_exp_f32_e32 v12, v12
	v_cvt_i32_f32_e32 v14, v14
	v_exp_f32_e32 v7, v7
	v_cmp_ngt_f32_e32 vcc, s7, v11
	v_ldexp_f32 v12, v12, v16
	v_cmp_ngt_f32_e64 s[0:1], s7, v8
	v_ldexp_f32 v7, v7, v14
	v_cndmask_b32_e32 v12, 0, v12, vcc
	v_cmp_nlt_f32_e32 vcc, s8, v11
	v_cndmask_b32_e64 v7, 0, v7, s[0:1]
	v_cmp_nlt_f32_e64 s[0:1], s8, v8
	v_cndmask_b32_e32 v12, v5, v12, vcc
	v_cmp_le_f32_e32 vcc, s12, v11
	v_cndmask_b32_e64 v7, v5, v7, s[0:1]
	v_cmp_le_f32_e64 s[0:1], s12, v8
	v_cndmask_b32_e32 v8, 0, v12, vcc
	s_add_i32 s4, s4, -8
	v_cndmask_b32_e64 v11, 0, v7, s[0:1]
	v_mul_f32_e32 v7, s15, v8
	v_add_u32_e32 v3, 0xfffffe00, v3
	s_cmp_le_i32 s11, s9
	v_fmac_f32_e32 v7, v10, v11
	s_waitcnt vmcnt(0)
	v_mul_f32_e32 v8, v4, v8
	v_fmac_f32_e32 v8, v9, v11
	s_cbranch_scc0 .LBB15_3
	s_branch .LBB15_5
.LBB15_4:
	s_waitcnt lgkmcnt(0)
	v_mov_b32_e32 v7, s5
.LBB15_5:
	s_waitcnt vmcnt(0)
	v_div_scale_f32 v0, s[0:1], v7, v7, v8
	v_div_scale_f32 v3, vcc, v8, v7, v8
	v_rcp_f32_e32 v4, v0
	v_fma_f32 v5, -v0, v4, 1.0
	v_fmac_f32_e32 v4, v5, v4
	v_mul_f32_e32 v5, v3, v4
	v_fma_f32 v6, -v0, v5, v3
	v_fmac_f32_e32 v5, v6, v4
	v_fma_f32 v0, -v0, v5, v3
	v_div_fmas_f32 v0, v0, v4, v5
	v_div_fixup_f32 v0, v0, v7, v8
	global_store_dword v[1:2], v0, off
.LBB15_6:
	s_endpgm
	.section	.rodata,"a",@progbits
	.p2align	6, 0x0
	.amdhsa_kernel _ZL33flash_attn_stream_k_fixup_uniformILi64ELi1ELi8EEvPfPK15HIP_vector_typeIfLj2EEiiiiiiS1_IjLj3EES5_S5_
		.amdhsa_group_segment_fixed_size 0
		.amdhsa_private_segment_fixed_size 0
		.amdhsa_kernarg_size 76
		.amdhsa_user_sgpr_count 6
		.amdhsa_user_sgpr_private_segment_buffer 1
		.amdhsa_user_sgpr_dispatch_ptr 0
		.amdhsa_user_sgpr_queue_ptr 0
		.amdhsa_user_sgpr_kernarg_segment_ptr 1
		.amdhsa_user_sgpr_dispatch_id 0
		.amdhsa_user_sgpr_flat_scratch_init 0
		.amdhsa_user_sgpr_private_segment_size 0
		.amdhsa_uses_dynamic_stack 0
		.amdhsa_system_sgpr_private_segment_wavefront_offset 0
		.amdhsa_system_sgpr_workgroup_id_x 1
		.amdhsa_system_sgpr_workgroup_id_y 1
		.amdhsa_system_sgpr_workgroup_id_z 1
		.amdhsa_system_sgpr_workgroup_info 0
		.amdhsa_system_vgpr_workitem_id 0
		.amdhsa_next_free_vgpr 17
		.amdhsa_next_free_sgpr 20
		.amdhsa_reserve_vcc 1
		.amdhsa_reserve_flat_scratch 0
		.amdhsa_float_round_mode_32 0
		.amdhsa_float_round_mode_16_64 0
		.amdhsa_float_denorm_mode_32 3
		.amdhsa_float_denorm_mode_16_64 3
		.amdhsa_dx10_clamp 1
		.amdhsa_ieee_mode 1
		.amdhsa_fp16_overflow 0
		.amdhsa_exception_fp_ieee_invalid_op 0
		.amdhsa_exception_fp_denorm_src 0
		.amdhsa_exception_fp_ieee_div_zero 0
		.amdhsa_exception_fp_ieee_overflow 0
		.amdhsa_exception_fp_ieee_underflow 0
		.amdhsa_exception_fp_ieee_inexact 0
		.amdhsa_exception_int_div_zero 0
	.end_amdhsa_kernel
	.section	.text._ZL33flash_attn_stream_k_fixup_uniformILi64ELi1ELi8EEvPfPK15HIP_vector_typeIfLj2EEiiiiiiS1_IjLj3EES5_S5_,"axG",@progbits,_ZL33flash_attn_stream_k_fixup_uniformILi64ELi1ELi8EEvPfPK15HIP_vector_typeIfLj2EEiiiiiiS1_IjLj3EES5_S5_,comdat
.Lfunc_end15:
	.size	_ZL33flash_attn_stream_k_fixup_uniformILi64ELi1ELi8EEvPfPK15HIP_vector_typeIfLj2EEiiiiiiS1_IjLj3EES5_S5_, .Lfunc_end15-_ZL33flash_attn_stream_k_fixup_uniformILi64ELi1ELi8EEvPfPK15HIP_vector_typeIfLj2EEiiiiiiS1_IjLj3EES5_S5_
                                        ; -- End function
	.set _ZL33flash_attn_stream_k_fixup_uniformILi64ELi1ELi8EEvPfPK15HIP_vector_typeIfLj2EEiiiiiiS1_IjLj3EES5_S5_.num_vgpr, 17
	.set _ZL33flash_attn_stream_k_fixup_uniformILi64ELi1ELi8EEvPfPK15HIP_vector_typeIfLj2EEiiiiiiS1_IjLj3EES5_S5_.num_agpr, 0
	.set _ZL33flash_attn_stream_k_fixup_uniformILi64ELi1ELi8EEvPfPK15HIP_vector_typeIfLj2EEiiiiiiS1_IjLj3EES5_S5_.numbered_sgpr, 20
	.set _ZL33flash_attn_stream_k_fixup_uniformILi64ELi1ELi8EEvPfPK15HIP_vector_typeIfLj2EEiiiiiiS1_IjLj3EES5_S5_.num_named_barrier, 0
	.set _ZL33flash_attn_stream_k_fixup_uniformILi64ELi1ELi8EEvPfPK15HIP_vector_typeIfLj2EEiiiiiiS1_IjLj3EES5_S5_.private_seg_size, 0
	.set _ZL33flash_attn_stream_k_fixup_uniformILi64ELi1ELi8EEvPfPK15HIP_vector_typeIfLj2EEiiiiiiS1_IjLj3EES5_S5_.uses_vcc, 1
	.set _ZL33flash_attn_stream_k_fixup_uniformILi64ELi1ELi8EEvPfPK15HIP_vector_typeIfLj2EEiiiiiiS1_IjLj3EES5_S5_.uses_flat_scratch, 0
	.set _ZL33flash_attn_stream_k_fixup_uniformILi64ELi1ELi8EEvPfPK15HIP_vector_typeIfLj2EEiiiiiiS1_IjLj3EES5_S5_.has_dyn_sized_stack, 0
	.set _ZL33flash_attn_stream_k_fixup_uniformILi64ELi1ELi8EEvPfPK15HIP_vector_typeIfLj2EEiiiiiiS1_IjLj3EES5_S5_.has_recursion, 0
	.set _ZL33flash_attn_stream_k_fixup_uniformILi64ELi1ELi8EEvPfPK15HIP_vector_typeIfLj2EEiiiiiiS1_IjLj3EES5_S5_.has_indirect_call, 0
	.section	.AMDGPU.csdata,"",@progbits
; Kernel info:
; codeLenInByte = 828
; TotalNumSgprs: 24
; NumVgprs: 17
; ScratchSize: 0
; MemoryBound: 0
; FloatMode: 240
; IeeeMode: 1
; LDSByteSize: 0 bytes/workgroup (compile time only)
; SGPRBlocks: 2
; VGPRBlocks: 4
; NumSGPRsForWavesPerEU: 24
; NumVGPRsForWavesPerEU: 17
; Occupancy: 10
; WaveLimiterHint : 0
; COMPUTE_PGM_RSRC2:SCRATCH_EN: 0
; COMPUTE_PGM_RSRC2:USER_SGPR: 6
; COMPUTE_PGM_RSRC2:TRAP_HANDLER: 0
; COMPUTE_PGM_RSRC2:TGID_X_EN: 1
; COMPUTE_PGM_RSRC2:TGID_Y_EN: 1
; COMPUTE_PGM_RSRC2:TGID_Z_EN: 1
; COMPUTE_PGM_RSRC2:TIDIG_COMP_CNT: 0
	.section	.text._ZL33flash_attn_stream_k_fixup_generalILi64ELi1ELi8EEvPfPK15HIP_vector_typeIfLj2EEiiiiS1_IjLj3EES5_S5_S5_,"axG",@progbits,_ZL33flash_attn_stream_k_fixup_generalILi64ELi1ELi8EEvPfPK15HIP_vector_typeIfLj2EEiiiiS1_IjLj3EES5_S5_S5_,comdat
	.globl	_ZL33flash_attn_stream_k_fixup_generalILi64ELi1ELi8EEvPfPK15HIP_vector_typeIfLj2EEiiiiS1_IjLj3EES5_S5_S5_ ; -- Begin function _ZL33flash_attn_stream_k_fixup_generalILi64ELi1ELi8EEvPfPK15HIP_vector_typeIfLj2EEiiiiS1_IjLj3EES5_S5_S5_
	.p2align	8
	.type	_ZL33flash_attn_stream_k_fixup_generalILi64ELi1ELi8EEvPfPK15HIP_vector_typeIfLj2EEiiiiS1_IjLj3EES5_S5_S5_,@function
_ZL33flash_attn_stream_k_fixup_generalILi64ELi1ELi8EEvPfPK15HIP_vector_typeIfLj2EEiiiiS1_IjLj3EES5_S5_S5_: ; @_ZL33flash_attn_stream_k_fixup_generalILi64ELi1ELi8EEvPfPK15HIP_vector_typeIfLj2EEiiiiS1_IjLj3EES5_S5_S5_
; %bb.0:
	s_load_dwordx4 s[0:3], s[4:5], 0x10
	s_load_dword s9, s[4:5], 0x50
	s_mov_b32 s12, 0
	s_waitcnt lgkmcnt(0)
	s_mul_hi_i32 s13, s3, s6
	s_cmp_lg_u64 s[12:13], 0
	s_mul_i32 s18, s3, s6
	s_cbranch_scc0 .LBB16_20
; %bb.1:
	s_add_u32 s10, s9, 0
	s_addc_u32 s11, 0, 0
	s_xor_b64 s[10:11], s[10:11], 0
	v_cvt_f32_u32_e32 v1, s10
	v_cvt_f32_u32_e32 v2, s11
	s_sub_u32 s12, 0, s10
	s_subb_u32 s19, 0, s11
	v_madmk_f32 v1, v2, 0x4f800000, v1
	v_rcp_f32_e32 v1, v1
	v_mul_f32_e32 v1, 0x5f7ffffc, v1
	v_mul_f32_e32 v2, 0x2f800000, v1
	v_trunc_f32_e32 v2, v2
	v_madmk_f32 v1, v2, 0xcf800000, v1
	v_cvt_u32_f32_e32 v2, v2
	v_cvt_u32_f32_e32 v1, v1
	v_readfirstlane_b32 s20, v2
	v_readfirstlane_b32 s14, v1
	s_mul_i32 s15, s12, s20
	s_mul_hi_u32 s22, s12, s14
	s_mul_i32 s21, s19, s14
	s_add_i32 s15, s22, s15
	s_add_i32 s15, s15, s21
	s_mul_i32 s23, s12, s14
	s_mul_i32 s22, s14, s15
	s_mul_hi_u32 s24, s14, s23
	s_mul_hi_u32 s21, s14, s15
	s_add_u32 s22, s24, s22
	s_addc_u32 s21, 0, s21
	s_mul_hi_u32 s25, s20, s23
	s_mul_i32 s23, s20, s23
	s_add_u32 s22, s22, s23
	s_mul_hi_u32 s24, s20, s15
	s_addc_u32 s21, s21, s25
	s_addc_u32 s22, s24, 0
	s_mul_i32 s15, s20, s15
	s_add_u32 s15, s21, s15
	s_addc_u32 s21, 0, s22
	s_add_u32 s22, s14, s15
	s_cselect_b64 s[14:15], -1, 0
	s_cmp_lg_u64 s[14:15], 0
	s_addc_u32 s20, s20, s21
	s_mul_i32 s14, s12, s20
	s_mul_hi_u32 s15, s12, s22
	s_add_i32 s14, s15, s14
	s_mul_i32 s19, s19, s22
	s_add_i32 s14, s14, s19
	s_mul_i32 s12, s12, s22
	s_mul_hi_u32 s19, s20, s12
	s_mul_i32 s21, s20, s12
	s_mul_i32 s24, s22, s14
	s_mul_hi_u32 s12, s22, s12
	s_mul_hi_u32 s23, s22, s14
	s_add_u32 s12, s12, s24
	s_addc_u32 s23, 0, s23
	s_add_u32 s12, s12, s21
	s_mul_hi_u32 s15, s20, s14
	s_addc_u32 s12, s23, s19
	s_addc_u32 s15, s15, 0
	s_mul_i32 s14, s20, s14
	s_add_u32 s12, s12, s14
	s_addc_u32 s19, 0, s15
	s_add_u32 s21, s22, s12
	s_cselect_b64 s[14:15], -1, 0
	s_cmp_lg_u64 s[14:15], 0
	s_addc_u32 s19, s20, s19
	s_ashr_i32 s14, s13, 31
	s_add_u32 s12, s18, s14
	s_mov_b32 s15, s14
	s_addc_u32 s13, s13, s14
	s_xor_b64 s[12:13], s[12:13], s[14:15]
	s_mul_i32 s22, s12, s19
	s_mul_hi_u32 s23, s12, s21
	s_mul_hi_u32 s20, s12, s19
	s_add_u32 s22, s23, s22
	s_addc_u32 s20, 0, s20
	s_mul_hi_u32 s24, s13, s21
	s_mul_i32 s21, s13, s21
	s_add_u32 s21, s22, s21
	s_mul_hi_u32 s23, s13, s19
	s_addc_u32 s20, s20, s24
	s_addc_u32 s21, s23, 0
	s_mul_i32 s19, s13, s19
	s_add_u32 s19, s20, s19
	s_addc_u32 s24, 0, s21
	s_mul_i32 s20, s10, s24
	s_mul_hi_u32 s21, s10, s19
	s_add_i32 s20, s21, s20
	s_mul_i32 s21, s11, s19
	s_add_i32 s25, s20, s21
	s_sub_i32 s22, s13, s25
	s_mul_i32 s20, s10, s19
	s_sub_u32 s12, s12, s20
	s_cselect_b64 s[20:21], -1, 0
	s_cmp_lg_u64 s[20:21], 0
	s_subb_u32 s26, s22, s11
	s_sub_u32 s27, s12, s10
	s_cselect_b64 s[22:23], -1, 0
	s_cmp_lg_u64 s[22:23], 0
	s_subb_u32 s22, s26, 0
	s_cmp_ge_u32 s22, s11
	s_cselect_b32 s23, -1, 0
	s_cmp_ge_u32 s27, s10
	s_cselect_b32 s26, -1, 0
	s_cmp_eq_u32 s22, s11
	s_cselect_b32 s22, s26, s23
	s_add_u32 s23, s19, 1
	s_addc_u32 s26, s24, 0
	s_add_u32 s27, s19, 2
	s_addc_u32 s28, s24, 0
	s_cmp_lg_u32 s22, 0
	s_cselect_b32 s22, s27, s23
	s_cselect_b32 s23, s28, s26
	s_cmp_lg_u64 s[20:21], 0
	s_subb_u32 s13, s13, s25
	s_cmp_ge_u32 s13, s11
	s_cselect_b32 s20, -1, 0
	s_cmp_ge_u32 s12, s10
	s_cselect_b32 s10, -1, 0
	s_cmp_eq_u32 s13, s11
	s_cselect_b32 s10, s10, s20
	s_cmp_lg_u32 s10, 0
	s_cselect_b32 s11, s23, s24
	s_cselect_b32 s10, s22, s19
	s_xor_b64 s[12:13], s[14:15], 0
	s_xor_b64 s[10:11], s[10:11], s[12:13]
	s_sub_u32 s10, s10, s12
	s_load_dwordx4 s[12:15], s[4:5], 0x44
	s_cbranch_execnz .LBB16_3
.LBB16_2:
	v_cvt_f32_u32_e32 v1, s9
	s_sub_i32 s10, 0, s9
	v_rcp_iflag_f32_e32 v1, v1
	v_mul_f32_e32 v1, 0x4f7ffffe, v1
	v_cvt_u32_f32_e32 v1, v1
	v_readfirstlane_b32 s11, v1
	s_mul_i32 s10, s10, s11
	s_mul_hi_u32 s10, s11, s10
	s_add_i32 s11, s11, s10
	s_mul_hi_u32 s10, s18, s11
	s_waitcnt lgkmcnt(0)
	s_mul_i32 s15, s10, s9
	s_sub_i32 s15, s18, s15
	s_add_i32 s11, s10, 1
	s_sub_i32 s16, s15, s9
	s_cmp_ge_u32 s15, s9
	s_cselect_b32 s10, s11, s10
	s_cselect_b32 s15, s16, s15
	s_add_i32 s11, s10, 1
	s_cmp_ge_u32 s15, s9
	s_cselect_b32 s10, s11, s10
.LBB16_3:
	s_add_i32 s11, s6, 1
	s_mul_hi_i32 s21, s3, s11
	s_mov_b32 s20, 0
	s_cmp_lg_u64 s[20:21], 0
	s_mul_i32 s11, s3, s11
	s_cbranch_scc0 .LBB16_21
; %bb.4:
	s_add_u32 s16, s9, 0
	s_addc_u32 s17, 0, 0
	s_xor_b64 s[18:19], s[16:17], 0
	v_cvt_f32_u32_e32 v1, s18
	v_cvt_f32_u32_e32 v2, s19
	s_waitcnt lgkmcnt(0)
	s_sub_u32 s15, 0, s18
	s_subb_u32 s20, 0, s19
	v_madmk_f32 v1, v2, 0x4f800000, v1
	v_rcp_f32_e32 v1, v1
	v_mul_f32_e32 v1, 0x5f7ffffc, v1
	v_mul_f32_e32 v2, 0x2f800000, v1
	v_trunc_f32_e32 v2, v2
	v_madmk_f32 v1, v2, 0xcf800000, v1
	v_cvt_u32_f32_e32 v2, v2
	v_cvt_u32_f32_e32 v1, v1
	v_readfirstlane_b32 s24, v2
	v_readfirstlane_b32 s22, v1
	s_mul_i32 s23, s15, s24
	s_mul_hi_u32 s26, s15, s22
	s_mul_i32 s25, s20, s22
	s_add_i32 s23, s26, s23
	s_add_i32 s23, s23, s25
	s_mul_i32 s27, s15, s22
	s_mul_i32 s26, s22, s23
	s_mul_hi_u32 s28, s22, s27
	s_mul_hi_u32 s25, s22, s23
	s_add_u32 s26, s28, s26
	s_addc_u32 s25, 0, s25
	s_mul_hi_u32 s29, s24, s27
	s_mul_i32 s27, s24, s27
	s_add_u32 s26, s26, s27
	s_mul_hi_u32 s28, s24, s23
	s_addc_u32 s25, s25, s29
	s_addc_u32 s26, s28, 0
	s_mul_i32 s23, s24, s23
	s_add_u32 s23, s25, s23
	s_addc_u32 s25, 0, s26
	s_add_u32 s26, s22, s23
	s_cselect_b64 s[22:23], -1, 0
	s_cmp_lg_u64 s[22:23], 0
	s_addc_u32 s24, s24, s25
	s_mul_i32 s22, s15, s24
	s_mul_hi_u32 s23, s15, s26
	s_add_i32 s22, s23, s22
	s_mul_i32 s20, s20, s26
	s_add_i32 s22, s22, s20
	s_mul_i32 s15, s15, s26
	s_mul_hi_u32 s23, s24, s15
	s_mul_i32 s25, s24, s15
	s_mul_i32 s28, s26, s22
	s_mul_hi_u32 s15, s26, s15
	s_mul_hi_u32 s27, s26, s22
	s_add_u32 s15, s15, s28
	s_addc_u32 s27, 0, s27
	s_add_u32 s15, s15, s25
	s_mul_hi_u32 s20, s24, s22
	s_addc_u32 s15, s27, s23
	s_addc_u32 s20, s20, 0
	s_mul_i32 s22, s24, s22
	s_add_u32 s15, s15, s22
	s_addc_u32 s20, 0, s20
	s_add_u32 s15, s26, s15
	s_cselect_b64 s[22:23], -1, 0
	s_cmp_lg_u64 s[22:23], 0
	s_addc_u32 s24, s24, s20
	s_ashr_i32 s22, s21, 31
	s_add_u32 s20, s11, s22
	s_mov_b32 s23, s22
	s_addc_u32 s21, s21, s22
	s_xor_b64 s[20:21], s[20:21], s[22:23]
	s_mul_i32 s26, s20, s24
	s_mul_hi_u32 s27, s20, s15
	s_mul_hi_u32 s25, s20, s24
	s_add_u32 s26, s27, s26
	s_addc_u32 s25, 0, s25
	s_mul_hi_u32 s28, s21, s15
	s_mul_i32 s15, s21, s15
	s_add_u32 s15, s26, s15
	s_mul_hi_u32 s27, s21, s24
	s_addc_u32 s15, s25, s28
	s_addc_u32 s25, s27, 0
	s_mul_i32 s24, s21, s24
	s_add_u32 s15, s15, s24
	s_addc_u32 s28, 0, s25
	s_mul_i32 s24, s18, s28
	s_mul_hi_u32 s25, s18, s15
	s_add_i32 s24, s25, s24
	s_mul_i32 s25, s19, s15
	s_add_i32 s29, s24, s25
	s_sub_i32 s26, s21, s29
	s_mul_i32 s24, s18, s15
	s_sub_u32 s20, s20, s24
	s_cselect_b64 s[24:25], -1, 0
	s_cmp_lg_u64 s[24:25], 0
	s_subb_u32 s30, s26, s19
	s_sub_u32 s31, s20, s18
	s_cselect_b64 s[26:27], -1, 0
	s_cmp_lg_u64 s[26:27], 0
	s_subb_u32 s26, s30, 0
	s_cmp_ge_u32 s26, s19
	s_cselect_b32 s27, -1, 0
	s_cmp_ge_u32 s31, s18
	s_cselect_b32 s30, -1, 0
	s_cmp_eq_u32 s26, s19
	s_cselect_b32 s26, s30, s27
	s_add_u32 s27, s15, 1
	s_addc_u32 s30, s28, 0
	s_add_u32 s31, s15, 2
	s_addc_u32 s33, s28, 0
	s_cmp_lg_u32 s26, 0
	s_cselect_b32 s26, s31, s27
	s_cselect_b32 s27, s33, s30
	s_cmp_lg_u64 s[24:25], 0
	s_subb_u32 s21, s21, s29
	s_cmp_ge_u32 s21, s19
	s_cselect_b32 s24, -1, 0
	s_cmp_ge_u32 s20, s18
	s_cselect_b32 s18, -1, 0
	s_cmp_eq_u32 s21, s19
	s_cselect_b32 s18, s18, s24
	s_cmp_lg_u32 s18, 0
	s_cselect_b32 s19, s27, s28
	s_cselect_b32 s18, s26, s15
	s_xor_b64 s[20:21], s[22:23], 0
	s_xor_b64 s[18:19], s[18:19], s[20:21]
	s_sub_u32 s18, s18, s20
	s_cbranch_execnz .LBB16_6
.LBB16_5:
	v_cvt_f32_u32_e32 v1, s9
	s_waitcnt lgkmcnt(0)
	s_sub_i32 s15, 0, s9
	v_rcp_iflag_f32_e32 v1, v1
	v_mul_f32_e32 v1, 0x4f7ffffe, v1
	v_cvt_u32_f32_e32 v1, v1
	v_readfirstlane_b32 s16, v1
	s_mul_i32 s15, s15, s16
	s_mul_hi_u32 s15, s16, s15
	s_add_i32 s16, s16, s15
	s_mul_hi_u32 s15, s11, s16
	s_mul_i32 s17, s15, s9
	s_sub_i32 s11, s11, s17
	s_add_i32 s16, s15, 1
	s_sub_i32 s17, s11, s9
	s_cmp_ge_u32 s11, s9
	s_cselect_b32 s15, s16, s15
	s_cselect_b32 s11, s17, s11
	s_add_i32 s16, s15, 1
	s_cmp_ge_u32 s11, s9
	s_cselect_b32 s18, s16, s15
.LBB16_6:
	s_cmp_eq_u32 s10, s18
	s_waitcnt lgkmcnt(0)
	s_mul_hi_u32 s11, s10, s12
	s_cselect_b64 s[16:17], -1, 0
	s_add_i32 s11, s11, s10
	s_lshr_b32 s11, s11, s13
	s_mul_i32 s15, s11, s14
	s_cmp_eq_u32 s15, s10
	s_mul_hi_u32 s15, s18, s12
	s_cselect_b64 s[20:21], -1, 0
	s_add_i32 s15, s15, s18
	s_lshr_b32 s15, s15, s13
	s_cmp_eq_u32 s11, s15
	s_mul_i32 s15, s15, s14
	s_cselect_b64 s[22:23], -1, 0
	s_cmp_lg_u32 s15, s18
	s_cselect_b64 s[18:19], -1, 0
	s_and_b64 s[18:19], s[22:23], s[18:19]
	s_or_b64 s[16:17], s[16:17], s[20:21]
	s_or_b64 s[16:17], s[16:17], s[18:19]
	s_and_b64 vcc, exec, s[16:17]
	s_cbranch_vccnz .LBB16_23
; %bb.7:
	s_load_dwordx8 s[20:27], s[4:5], 0x20
	s_load_dword s15, s[4:5], 0x40
	s_waitcnt lgkmcnt(0)
	s_mul_hi_u32 s16, s10, s20
	s_add_i32 s16, s16, s10
	s_lshr_b32 s20, s16, s21
	s_mul_i32 s16, s20, s22
	s_sub_i32 s16, s10, s16
	s_mul_hi_u32 s17, s16, s23
	s_add_i32 s17, s16, s17
	s_lshr_b32 s21, s17, s24
	s_mul_i32 s17, s21, s25
	s_sub_i32 s16, s16, s17
	;; [unrolled: 5-line block ×3, first 2 shown]
	s_mul_hi_u32 s16, s15, s12
	s_add_i32 s15, s15, s16
	s_lshr_b32 s23, s15, s13
	s_lshl_b32 s24, s17, 3
	s_add_i32 s23, s23, s7
	s_cmp_lt_i32 s23, s0
	s_cselect_b64 s[16:17], -1, 0
	s_add_i32 s24, s24, s8
	s_cmp_lt_i32 s24, s2
	s_cselect_b64 s[18:19], -1, 0
	s_and_b64 s[16:17], s[16:17], s[18:19]
	s_andn2_b64 vcc, exec, s[16:17]
	s_cbranch_vccnz .LBB16_23
; %bb.8:
	s_load_dwordx4 s[16:19], s[4:5], 0x0
	s_mov_b32 s4, 0
	s_lshl_b32 s26, s9, 5
	s_mov_b32 s27, s4
	s_lshl_b64 s[26:27], s[26:27], 2
	s_waitcnt lgkmcnt(0)
	s_add_u32 s15, s18, s26
	s_mul_i32 s20, s20, s0
	s_addc_u32 s22, s19, s27
	s_mul_i32 s21, s21, s2
	s_add_i32 s0, s23, s20
	s_mul_i32 s0, s0, s1
	s_add_i32 s1, s24, s21
	s_add_i32 s1, s1, s0
	v_lshl_or_b32 v1, s1, 6, v0
	v_ashrrev_i32_e32 v2, 31, v1
	v_lshlrev_b64 v[1:2], 2, v[1:2]
	v_mov_b32_e32 v3, s17
	v_add_co_u32_e32 v1, vcc, s16, v1
	v_addc_co_u32_e32 v2, vcc, v3, v2, vcc
	global_load_dword v3, v[1:2], off
	s_add_i32 s0, s7, s6
	v_cvt_f32_u32_e32 v4, s9
	s_lshl_b32 s0, s0, 3
	s_add_i32 s0, s0, s8
	s_ashr_i32 s1, s0, 31
	s_lshl_b64 s[0:1], s[0:1], 3
	v_rcp_iflag_f32_e32 v4, v4
	s_add_u32 s0, s18, s0
	s_addc_u32 s1, s19, s1
	s_load_dwordx2 s[0:1], s[0:1], 0x0
	v_mul_f32_e32 v4, 0x4f7ffffe, v4
	v_cvt_u32_f32_e32 v4, v4
	s_add_i32 s25, s6, -1
	v_lshl_or_b32 v0, s8, 6, v0
	s_waitcnt lgkmcnt(0)
	v_mov_b32_e32 v6, s1
	v_mov_b32_e32 v7, s0
	s_mov_b32 s2, 0x3fb8aa3b
	s_mov_b32 s6, 0xc2ce8ed0
	;; [unrolled: 1-line block ×4, first 2 shown]
	v_mov_b32_e32 v5, 0x7f800000
	s_mul_hi_i32 s5, s25, s3
	s_cmp_lg_u64 s[4:5], 0
	s_mul_i32 s20, s25, s3
	s_cbranch_scc0 .LBB16_19
.LBB16_9:
	s_add_u32 s0, s9, 0
	s_addc_u32 s1, 0, 0
	s_xor_b64 s[0:1], s[0:1], 0
	v_cvt_f32_u32_e32 v8, s0
	v_cvt_f32_u32_e32 v9, s1
	s_sub_u32 s21, 0, s0
	s_subb_u32 s26, 0, s1
	v_mac_f32_e32 v8, 0x4f800000, v9
	v_rcp_f32_e32 v8, v8
	v_mul_f32_e32 v8, 0x5f7ffffc, v8
	v_mul_f32_e32 v9, 0x2f800000, v8
	v_trunc_f32_e32 v9, v9
	v_mac_f32_e32 v8, 0xcf800000, v9
	v_cvt_u32_f32_e32 v9, v9
	v_cvt_u32_f32_e32 v8, v8
	v_readfirstlane_b32 s27, v9
	v_readfirstlane_b32 s16, v8
	s_mul_i32 s17, s21, s27
	s_mul_hi_u32 s29, s21, s16
	s_mul_i32 s28, s26, s16
	s_add_i32 s17, s29, s17
	s_mul_i32 s30, s21, s16
	s_add_i32 s17, s17, s28
	s_mul_i32 s29, s16, s17
	s_mul_hi_u32 s31, s16, s30
	s_mul_hi_u32 s28, s16, s17
	s_add_u32 s29, s31, s29
	s_addc_u32 s28, 0, s28
	s_mul_hi_u32 s33, s27, s30
	s_mul_i32 s30, s27, s30
	s_add_u32 s29, s29, s30
	s_mul_hi_u32 s31, s27, s17
	s_addc_u32 s28, s28, s33
	s_addc_u32 s29, s31, 0
	s_mul_i32 s17, s27, s17
	s_add_u32 s17, s28, s17
	s_addc_u32 s28, 0, s29
	s_add_u32 s29, s16, s17
	s_cselect_b64 s[16:17], -1, 0
	s_cmp_lg_u64 s[16:17], 0
	s_addc_u32 s27, s27, s28
	s_mul_i32 s16, s21, s27
	s_mul_hi_u32 s17, s21, s29
	s_add_i32 s16, s17, s16
	s_mul_i32 s26, s26, s29
	s_add_i32 s16, s16, s26
	s_mul_i32 s21, s21, s29
	s_mul_hi_u32 s26, s27, s21
	s_mul_i32 s28, s27, s21
	s_mul_i32 s31, s29, s16
	s_mul_hi_u32 s21, s29, s21
	s_mul_hi_u32 s30, s29, s16
	s_add_u32 s21, s21, s31
	s_addc_u32 s30, 0, s30
	s_add_u32 s21, s21, s28
	s_mul_hi_u32 s17, s27, s16
	s_addc_u32 s21, s30, s26
	s_addc_u32 s17, s17, 0
	s_mul_i32 s16, s27, s16
	s_add_u32 s16, s21, s16
	s_addc_u32 s21, 0, s17
	s_add_u32 s28, s29, s16
	s_cselect_b64 s[16:17], -1, 0
	s_cmp_lg_u64 s[16:17], 0
	s_addc_u32 s21, s27, s21
	s_ashr_i32 s16, s5, 31
	s_add_u32 s26, s20, s16
	s_mov_b32 s17, s16
	s_addc_u32 s27, s5, s16
	s_xor_b64 s[26:27], s[26:27], s[16:17]
	s_mul_i32 s29, s26, s21
	s_mul_hi_u32 s30, s26, s28
	s_mul_hi_u32 s5, s26, s21
	s_add_u32 s29, s30, s29
	s_addc_u32 s5, 0, s5
	s_mul_hi_u32 s31, s27, s28
	s_mul_i32 s28, s27, s28
	s_add_u32 s28, s29, s28
	s_mul_hi_u32 s30, s27, s21
	s_addc_u32 s5, s5, s31
	s_addc_u32 s28, s30, 0
	s_mul_i32 s21, s27, s21
	s_add_u32 s5, s5, s21
	s_addc_u32 s21, 0, s28
	s_mul_i32 s28, s0, s21
	s_mul_hi_u32 s29, s0, s5
	s_add_i32 s28, s29, s28
	s_mul_i32 s29, s1, s5
	s_add_i32 s33, s28, s29
	s_sub_i32 s30, s27, s33
	s_mul_i32 s28, s0, s5
	s_sub_u32 s26, s26, s28
	s_cselect_b64 s[28:29], -1, 0
	s_cmp_lg_u64 s[28:29], 0
	s_subb_u32 s34, s30, s1
	s_sub_u32 s35, s26, s0
	s_cselect_b64 s[30:31], -1, 0
	s_cmp_lg_u64 s[30:31], 0
	s_subb_u32 s30, s34, 0
	s_cmp_ge_u32 s30, s1
	s_cselect_b32 s31, -1, 0
	s_cmp_ge_u32 s35, s0
	s_cselect_b32 s34, -1, 0
	s_cmp_eq_u32 s30, s1
	s_cselect_b32 s30, s34, s31
	s_add_u32 s31, s5, 1
	s_addc_u32 s34, s21, 0
	s_add_u32 s35, s5, 2
	s_addc_u32 s36, s21, 0
	s_cmp_lg_u32 s30, 0
	s_cselect_b32 s30, s35, s31
	s_cselect_b32 s31, s36, s34
	s_cmp_lg_u64 s[28:29], 0
	s_subb_u32 s27, s27, s33
	s_cmp_ge_u32 s27, s1
	s_cselect_b32 s28, -1, 0
	s_cmp_ge_u32 s26, s0
	s_cselect_b32 s0, -1, 0
	s_cmp_eq_u32 s27, s1
	s_cselect_b32 s0, s0, s28
	s_cmp_lg_u32 s0, 0
	s_cselect_b32 s1, s31, s21
	s_cselect_b32 s0, s30, s5
	s_xor_b64 s[16:17], s[16:17], 0
	s_xor_b64 s[0:1], s[0:1], s[16:17]
	s_sub_u32 s16, s0, s16
	s_cbranch_execnz .LBB16_11
.LBB16_10:
	s_sub_i32 s0, 0, s9
	v_readfirstlane_b32 s1, v4
	s_mul_i32 s0, s0, s1
	s_mul_hi_u32 s0, s1, s0
	s_add_i32 s1, s1, s0
	s_mul_hi_u32 s0, s20, s1
	s_mul_i32 s5, s0, s9
	s_sub_i32 s5, s20, s5
	s_add_i32 s1, s0, 1
	s_sub_i32 s16, s5, s9
	s_cmp_ge_u32 s5, s9
	s_cselect_b32 s0, s1, s0
	s_cselect_b32 s5, s16, s5
	s_add_i32 s1, s0, 1
	s_cmp_ge_u32 s5, s9
	s_cselect_b32 s16, s1, s0
.LBB16_11:
	s_cmp_lg_u32 s10, s16
	s_mov_b64 s[20:21], -1
                                        ; implicit-def: $sgpr0_sgpr1
                                        ; implicit-def: $vgpr10
                                        ; implicit-def: $vgpr8
                                        ; implicit-def: $vgpr9
                                        ; implicit-def: $sgpr5
                                        ; implicit-def: $sgpr17
	s_cbranch_scc1 .LBB16_14
; %bb.12:
	s_andn2_b64 vcc, exec, s[20:21]
	s_cbranch_vccz .LBB16_17
.LBB16_13:
	s_andn2_b64 vcc, exec, s[0:1]
	s_cbranch_vccnz .LBB16_18
	s_branch .LBB16_22
.LBB16_14:
	s_add_i32 s26, s25, s7
	s_add_i32 s0, s26, s9
	s_lshl_b32 s0, s0, 3
	s_add_i32 s0, s0, s8
	s_mov_b32 s1, s4
	s_lshl_b64 s[0:1], s[0:1], 3
	s_add_u32 s20, s18, s0
	s_mul_hi_u32 s0, s16, s12
	s_addc_u32 s21, s19, s1
	s_add_i32 s0, s0, s16
	s_lshr_b32 s5, s0, s13
	s_mul_i32 s0, s5, s14
	s_cmp_eq_u32 s0, s16
	s_cselect_b64 s[0:1], -1, 0
	s_cmp_lt_u32 s5, s11
	s_cselect_b64 s[28:29], -1, 0
	s_or_b64 s[28:29], s[28:29], s[0:1]
	s_mov_b64 s[0:1], -1
	s_and_b64 vcc, exec, s[28:29]
	s_mov_b32 s5, s25
	s_mov_b32 s17, s10
	s_cbranch_vccnz .LBB16_16
; %bb.15:
	s_add_i32 s5, s25, -1
	s_mov_b64 s[0:1], 0
	s_mov_b32 s17, s16
.LBB16_16:
	v_lshl_add_u32 v8, s26, 9, v0
	v_ashrrev_i32_e32 v9, 31, v8
	v_lshlrev_b64 v[8:9], 2, v[8:9]
	v_mov_b32_e32 v10, s22
	v_add_co_u32_e32 v8, vcc, s15, v8
	v_addc_co_u32_e32 v9, vcc, v10, v9, vcc
	global_load_dword v10, v[8:9], off
	s_load_dwordx2 s[20:21], s[20:21], 0x0
	v_max_f32_e32 v8, v7, v7
	s_waitcnt lgkmcnt(0)
	v_max_f32_e64 v9, s20, s20
	v_max_f32_e32 v8, v8, v9
	v_sub_f32_e32 v9, v7, v8
	v_sub_f32_e32 v11, s20, v8
	v_mul_f32_e32 v12, 0x3fb8aa3b, v9
	v_mul_f32_e32 v13, 0x3fb8aa3b, v11
	v_fma_f32 v14, v9, s2, -v12
	v_rndne_f32_e32 v15, v12
	v_fma_f32 v16, v11, s2, -v13
	v_rndne_f32_e32 v17, v13
	v_fmac_f32_e32 v14, 0x32a5705f, v9
	v_sub_f32_e32 v12, v12, v15
	v_fmac_f32_e32 v16, 0x32a5705f, v11
	v_sub_f32_e32 v13, v13, v17
	v_add_f32_e32 v12, v12, v14
	v_cvt_i32_f32_e32 v15, v15
	v_add_f32_e32 v13, v13, v16
	v_exp_f32_e32 v12, v12
	v_cvt_i32_f32_e32 v17, v17
	v_exp_f32_e32 v13, v13
	v_cmp_ngt_f32_e32 vcc, s6, v9
	v_ldexp_f32 v12, v12, v15
	v_cndmask_b32_e32 v12, 0, v12, vcc
	v_ldexp_f32 v13, v13, v17
	v_cmp_ngt_f32_e32 vcc, s6, v11
	v_cndmask_b32_e32 v13, 0, v13, vcc
	v_cmp_nlt_f32_e32 vcc, s23, v9
	v_cndmask_b32_e32 v12, v5, v12, vcc
	v_cmp_nlt_f32_e32 vcc, s23, v11
	v_cndmask_b32_e32 v13, v5, v13, vcc
	v_cmp_le_f32_e32 vcc, s24, v9
	v_cndmask_b32_e32 v12, 0, v12, vcc
	v_cmp_le_f32_e32 vcc, s24, v11
	v_cndmask_b32_e32 v11, 0, v13, vcc
	v_mul_f32_e32 v9, s21, v11
	v_fmac_f32_e32 v9, v6, v12
	s_waitcnt vmcnt(0)
	v_mul_f32_e32 v10, v10, v11
	v_fmac_f32_e32 v10, v3, v12
	s_cbranch_execnz .LBB16_13
.LBB16_17:
	s_add_i32 s5, s25, -1
	s_mov_b32 s17, s10
	v_mov_b32_e32 v9, v6
	v_mov_b32_e32 v8, v7
	s_waitcnt vmcnt(0)
	v_mov_b32_e32 v10, v3
	s_cbranch_execz .LBB16_22
.LBB16_18:
	s_mov_b32 s10, s17
	s_mov_b32 s25, s5
	v_mov_b32_e32 v6, v9
	v_mov_b32_e32 v7, v8
	s_waitcnt vmcnt(0)
	v_mov_b32_e32 v3, v10
	s_mul_hi_i32 s5, s25, s3
	s_cmp_lg_u64 s[4:5], 0
	s_mul_i32 s20, s25, s3
	s_cbranch_scc1 .LBB16_9
.LBB16_19:
                                        ; implicit-def: $sgpr16_sgpr17
	s_branch .LBB16_10
.LBB16_20:
                                        ; implicit-def: $sgpr10_sgpr11
	s_load_dwordx4 s[12:15], s[4:5], 0x44
	s_branch .LBB16_2
.LBB16_21:
                                        ; implicit-def: $sgpr18_sgpr19
	s_branch .LBB16_5
.LBB16_22:
	v_div_scale_f32 v0, s[0:1], v9, v9, v10
	s_waitcnt vmcnt(0)
	v_div_scale_f32 v3, vcc, v10, v9, v10
	v_rcp_f32_e32 v4, v0
	v_fma_f32 v5, -v0, v4, 1.0
	v_fmac_f32_e32 v4, v5, v4
	v_mul_f32_e32 v5, v3, v4
	v_fma_f32 v6, -v0, v5, v3
	v_fmac_f32_e32 v5, v6, v4
	v_fma_f32 v0, -v0, v5, v3
	v_div_fmas_f32 v0, v0, v4, v5
	v_div_fixup_f32 v0, v0, v9, v10
	global_store_dword v[1:2], v0, off
.LBB16_23:
	s_endpgm
	.section	.rodata,"a",@progbits
	.p2align	6, 0x0
	.amdhsa_kernel _ZL33flash_attn_stream_k_fixup_generalILi64ELi1ELi8EEvPfPK15HIP_vector_typeIfLj2EEiiiiS1_IjLj3EES5_S5_S5_
		.amdhsa_group_segment_fixed_size 0
		.amdhsa_private_segment_fixed_size 0
		.amdhsa_kernarg_size 336
		.amdhsa_user_sgpr_count 6
		.amdhsa_user_sgpr_private_segment_buffer 1
		.amdhsa_user_sgpr_dispatch_ptr 0
		.amdhsa_user_sgpr_queue_ptr 0
		.amdhsa_user_sgpr_kernarg_segment_ptr 1
		.amdhsa_user_sgpr_dispatch_id 0
		.amdhsa_user_sgpr_flat_scratch_init 0
		.amdhsa_user_sgpr_private_segment_size 0
		.amdhsa_uses_dynamic_stack 0
		.amdhsa_system_sgpr_private_segment_wavefront_offset 0
		.amdhsa_system_sgpr_workgroup_id_x 1
		.amdhsa_system_sgpr_workgroup_id_y 1
		.amdhsa_system_sgpr_workgroup_id_z 1
		.amdhsa_system_sgpr_workgroup_info 0
		.amdhsa_system_vgpr_workitem_id 0
		.amdhsa_next_free_vgpr 18
		.amdhsa_next_free_sgpr 37
		.amdhsa_reserve_vcc 1
		.amdhsa_reserve_flat_scratch 0
		.amdhsa_float_round_mode_32 0
		.amdhsa_float_round_mode_16_64 0
		.amdhsa_float_denorm_mode_32 3
		.amdhsa_float_denorm_mode_16_64 3
		.amdhsa_dx10_clamp 1
		.amdhsa_ieee_mode 1
		.amdhsa_fp16_overflow 0
		.amdhsa_exception_fp_ieee_invalid_op 0
		.amdhsa_exception_fp_denorm_src 0
		.amdhsa_exception_fp_ieee_div_zero 0
		.amdhsa_exception_fp_ieee_overflow 0
		.amdhsa_exception_fp_ieee_underflow 0
		.amdhsa_exception_fp_ieee_inexact 0
		.amdhsa_exception_int_div_zero 0
	.end_amdhsa_kernel
	.section	.text._ZL33flash_attn_stream_k_fixup_generalILi64ELi1ELi8EEvPfPK15HIP_vector_typeIfLj2EEiiiiS1_IjLj3EES5_S5_S5_,"axG",@progbits,_ZL33flash_attn_stream_k_fixup_generalILi64ELi1ELi8EEvPfPK15HIP_vector_typeIfLj2EEiiiiS1_IjLj3EES5_S5_S5_,comdat
.Lfunc_end16:
	.size	_ZL33flash_attn_stream_k_fixup_generalILi64ELi1ELi8EEvPfPK15HIP_vector_typeIfLj2EEiiiiS1_IjLj3EES5_S5_S5_, .Lfunc_end16-_ZL33flash_attn_stream_k_fixup_generalILi64ELi1ELi8EEvPfPK15HIP_vector_typeIfLj2EEiiiiS1_IjLj3EES5_S5_S5_
                                        ; -- End function
	.set _ZL33flash_attn_stream_k_fixup_generalILi64ELi1ELi8EEvPfPK15HIP_vector_typeIfLj2EEiiiiS1_IjLj3EES5_S5_S5_.num_vgpr, 18
	.set _ZL33flash_attn_stream_k_fixup_generalILi64ELi1ELi8EEvPfPK15HIP_vector_typeIfLj2EEiiiiS1_IjLj3EES5_S5_S5_.num_agpr, 0
	.set _ZL33flash_attn_stream_k_fixup_generalILi64ELi1ELi8EEvPfPK15HIP_vector_typeIfLj2EEiiiiS1_IjLj3EES5_S5_S5_.numbered_sgpr, 37
	.set _ZL33flash_attn_stream_k_fixup_generalILi64ELi1ELi8EEvPfPK15HIP_vector_typeIfLj2EEiiiiS1_IjLj3EES5_S5_S5_.num_named_barrier, 0
	.set _ZL33flash_attn_stream_k_fixup_generalILi64ELi1ELi8EEvPfPK15HIP_vector_typeIfLj2EEiiiiS1_IjLj3EES5_S5_S5_.private_seg_size, 0
	.set _ZL33flash_attn_stream_k_fixup_generalILi64ELi1ELi8EEvPfPK15HIP_vector_typeIfLj2EEiiiiS1_IjLj3EES5_S5_S5_.uses_vcc, 1
	.set _ZL33flash_attn_stream_k_fixup_generalILi64ELi1ELi8EEvPfPK15HIP_vector_typeIfLj2EEiiiiS1_IjLj3EES5_S5_S5_.uses_flat_scratch, 0
	.set _ZL33flash_attn_stream_k_fixup_generalILi64ELi1ELi8EEvPfPK15HIP_vector_typeIfLj2EEiiiiS1_IjLj3EES5_S5_S5_.has_dyn_sized_stack, 0
	.set _ZL33flash_attn_stream_k_fixup_generalILi64ELi1ELi8EEvPfPK15HIP_vector_typeIfLj2EEiiiiS1_IjLj3EES5_S5_S5_.has_recursion, 0
	.set _ZL33flash_attn_stream_k_fixup_generalILi64ELi1ELi8EEvPfPK15HIP_vector_typeIfLj2EEiiiiS1_IjLj3EES5_S5_S5_.has_indirect_call, 0
	.section	.AMDGPU.csdata,"",@progbits
; Kernel info:
; codeLenInByte = 2920
; TotalNumSgprs: 41
; NumVgprs: 18
; ScratchSize: 0
; MemoryBound: 0
; FloatMode: 240
; IeeeMode: 1
; LDSByteSize: 0 bytes/workgroup (compile time only)
; SGPRBlocks: 5
; VGPRBlocks: 4
; NumSGPRsForWavesPerEU: 41
; NumVGPRsForWavesPerEU: 18
; Occupancy: 10
; WaveLimiterHint : 0
; COMPUTE_PGM_RSRC2:SCRATCH_EN: 0
; COMPUTE_PGM_RSRC2:USER_SGPR: 6
; COMPUTE_PGM_RSRC2:TRAP_HANDLER: 0
; COMPUTE_PGM_RSRC2:TGID_X_EN: 1
; COMPUTE_PGM_RSRC2:TGID_Y_EN: 1
; COMPUTE_PGM_RSRC2:TGID_Z_EN: 1
; COMPUTE_PGM_RSRC2:TIDIG_COMP_CNT: 0
	.section	.text._ZL15flash_attn_tileILi64ELi64ELi16ELi4ELb0EEvPKcS1_S1_S1_S1_PKiPfP15HIP_vector_typeIfLj2EEffffjfiS5_IjLj3EEiiiiiiiiiiiliiliiiiil,"axG",@progbits,_ZL15flash_attn_tileILi64ELi64ELi16ELi4ELb0EEvPKcS1_S1_S1_S1_PKiPfP15HIP_vector_typeIfLj2EEffffjfiS5_IjLj3EEiiiiiiiiiiiliiliiiiil,comdat
	.globl	_ZL15flash_attn_tileILi64ELi64ELi16ELi4ELb0EEvPKcS1_S1_S1_S1_PKiPfP15HIP_vector_typeIfLj2EEffffjfiS5_IjLj3EEiiiiiiiiiiiliiliiiiil ; -- Begin function _ZL15flash_attn_tileILi64ELi64ELi16ELi4ELb0EEvPKcS1_S1_S1_S1_PKiPfP15HIP_vector_typeIfLj2EEffffjfiS5_IjLj3EEiiiiiiiiiiiliiliiiiil
	.p2align	8
	.type	_ZL15flash_attn_tileILi64ELi64ELi16ELi4ELb0EEvPKcS1_S1_S1_S1_PKiPfP15HIP_vector_typeIfLj2EEffffjfiS5_IjLj3EEiiiiiiiiiiiliiliiiiil,@function
_ZL15flash_attn_tileILi64ELi64ELi16ELi4ELb0EEvPKcS1_S1_S1_S1_PKiPfP15HIP_vector_typeIfLj2EEffffjfiS5_IjLj3EEiiiiiiiiiiiliiliiiiil: ; @_ZL15flash_attn_tileILi64ELi64ELi16ELi4ELb0EEvPKcS1_S1_S1_S1_PKiPfP15HIP_vector_typeIfLj2EEffffjfiS5_IjLj3EEiiiiiiiiiiiliiliiiiil
; %bb.0:
	s_mov_b64 s[46:47], s[2:3]
	s_mov_b64 s[44:45], s[0:1]
	s_load_dwordx4 s[0:3], s[4:5], 0x5c
	s_load_dwordx2 s[30:31], s[4:5], 0x80
	s_add_u32 s44, s44, s9
	s_addc_u32 s45, s45, 0
	v_mov_b32_e32 v62, v0
	s_waitcnt lgkmcnt(0)
	s_ashr_i32 s9, s3, 31
	s_lshr_b32 s9, s9, 30
	s_add_i32 s9, s3, s9
	s_ashr_i32 s9, s9, 2
	v_cvt_f32_u32_e32 v0, s9
	s_sub_i32 s10, 0, s9
	s_load_dwordx2 s[36:37], s[4:5], 0xb8
	s_mov_b64 s[34:35], 0
	v_rcp_iflag_f32_e32 v0, v0
	v_mul_f32_e32 v0, 0x4f7ffffe, v0
	v_cvt_u32_f32_e32 v0, v0
	v_readfirstlane_b32 s11, v0
	s_mul_i32 s10, s10, s11
	s_mul_hi_u32 s10, s11, s10
	s_add_i32 s11, s11, s10
	s_mul_hi_u32 s10, s8, s11
	s_mul_i32 s11, s10, s9
	s_sub_i32 s11, s8, s11
	s_add_i32 s12, s10, 1
	s_sub_i32 s13, s11, s9
	s_cmp_ge_u32 s11, s9
	s_cselect_b32 s10, s12, s10
	s_cselect_b32 s11, s13, s11
	s_add_i32 s12, s10, 1
	s_cmp_ge_u32 s11, s9
	s_cselect_b32 s33, s12, s10
	s_abs_i32 s9, s31
	v_cvt_f32_u32_e32 v0, s9
	s_lshl_b32 s8, s8, 2
	s_mul_i32 s12, s33, s3
	s_sub_i32 s13, 0, s9
	v_rcp_iflag_f32_e32 v0, v0
	s_sub_i32 s28, s8, s12
	s_abs_i32 s11, s3
	s_xor_b32 s10, s3, s31
	v_mul_f32_e32 v0, 0x4f7ffffe, v0
	v_cvt_u32_f32_e32 v0, v0
	s_ashr_i32 s10, s10, 31
	v_readfirstlane_b32 s8, v0
	s_mul_i32 s13, s13, s8
	s_mul_hi_u32 s12, s8, s13
	s_add_i32 s8, s8, s12
	s_mul_hi_u32 s8, s11, s8
	s_mul_i32 s12, s8, s9
	s_sub_i32 s11, s11, s12
	s_add_i32 s13, s8, 1
	s_sub_i32 s12, s11, s9
	s_cmp_ge_u32 s11, s9
	s_cselect_b32 s8, s13, s8
	s_cselect_b32 s11, s12, s11
	s_add_i32 s12, s8, 1
	s_cmp_ge_u32 s11, s9
	s_cselect_b32 s8, s12, s8
	s_xor_b32 s8, s8, s10
	s_sub_i32 s31, s8, s10
	s_abs_i32 s29, s31
	v_cvt_f32_u32_e32 v0, s29
	s_load_dwordx16 s[8:23], s[4:5], 0x0
	v_rcp_iflag_f32_e32 v0, v0
	s_waitcnt lgkmcnt(0)
	s_cmp_eq_u64 s[14:15], 0
	v_mul_f32_e32 v0, 0x4f7ffffe, v0
	v_cvt_u32_f32_e32 v0, v0
	v_readfirstlane_b32 s38, v0
	s_cbranch_scc1 .LBB17_2
; %bb.1:
	s_abs_i32 s26, s36
	v_cvt_f32_u32_e32 v0, s26
	s_sub_i32 s35, 0, s26
	s_abs_i32 s34, s33
	s_ashr_i32 s27, s33, 31
	v_rcp_iflag_f32_e32 v0, v0
	s_load_dwordx2 s[24:25], s[4:5], 0xc8
	v_mul_f32_e32 v0, 0x4f7ffffe, v0
	v_cvt_u32_f32_e32 v0, v0
	v_readfirstlane_b32 s36, v0
	s_mul_i32 s35, s35, s36
	s_mul_hi_u32 s35, s36, s35
	s_add_i32 s36, s36, s35
	s_mul_hi_u32 s35, s34, s36
	s_mul_i32 s35, s35, s26
	s_sub_i32 s34, s34, s35
	s_sub_i32 s35, s34, s26
	s_cmp_ge_u32 s34, s26
	s_cselect_b32 s34, s35, s34
	s_sub_i32 s35, s34, s26
	s_cmp_ge_u32 s34, s26
	s_cselect_b32 s26, s35, s34
	s_xor_b32 s26, s26, s27
	s_sub_i32 s26, s26, s27
	s_ashr_i32 s27, s26, 31
	s_waitcnt lgkmcnt(0)
	s_mul_hi_u32 s34, s24, s26
	s_mul_i32 s27, s24, s27
	s_mul_i32 s25, s25, s26
	s_add_i32 s27, s34, s27
	s_add_i32 s27, s27, s25
	s_mul_i32 s24, s24, s26
	s_add_u32 s34, s14, s24
	s_addc_u32 s35, s15, s27
.LBB17_2:
	s_lshl_b32 s14, s6, 4
	v_lshlrev_b32_e32 v57, 1, v1
	s_load_dwordx4 s[24:27], s[4:5], 0x70
	v_add_u32_e32 v58, s14, v57
	v_mul_hi_u32 v0, v58, s0
	v_lshlrev_b32_e32 v25, 3, v62
	v_lshlrev_b32_e32 v19, 3, v1
	s_waitcnt lgkmcnt(0)
	s_mul_i32 s15, s33, s26
	v_add_u32_e32 v0, v58, v0
	s_ashr_i32 s27, s15, 31
	v_lshrrev_b32_e32 v0, s1, v0
	s_mul_i32 s26, s28, s25
	s_add_u32 s8, s8, s15
	v_mul_lo_u32 v0, v0, s2
	s_addc_u32 s9, s9, s27
	s_ashr_i32 s15, s26, 31
	s_add_u32 s36, s8, s26
	s_addc_u32 s15, s9, s15
	s_ashr_i32 s27, s24, 31
	s_mov_b32 s26, s24
	s_lshr_b64 s[8:9], s[26:27], 2
	v_sub_u32_e32 v2, v58, v0
	v_mad_u64_u32 v[3:4], s[40:41], s8, v2, 0
	s_lshr_b32 s9, s27, 2
	s_and_b32 s24, s25, -4
	v_mov_b32_e32 v0, v4
	v_mad_u64_u32 v[4:5], s[26:27], s9, v2, v[0:1]
	s_ashr_i32 s27, s25, 31
	s_mov_b32 s26, s25
	v_lshlrev_b64 v[3:4], 2, v[3:4]
	v_mov_b32_e32 v0, s15
	v_add_co_u32_e32 v5, vcc, s36, v3
	s_lshr_b64 s[40:41], s[26:27], 2
	v_addc_co_u32_e32 v0, vcc, v0, v4, vcc
	v_add_co_u32_e32 v5, vcc, v5, v25
	s_add_u32 s26, s36, s24
	v_addc_co_u32_e32 v6, vcc, 0, v0, vcc
	s_addc_u32 s39, s15, s27
	v_mov_b32_e32 v0, s39
	v_add_co_u32_e32 v7, vcc, s26, v3
	v_addc_co_u32_e32 v0, vcc, v0, v4, vcc
	s_lshl_b64 s[24:25], s[40:41], 3
	v_add_co_u32_e32 v7, vcc, v7, v25
	s_add_u32 s41, s36, s24
	v_addc_co_u32_e32 v8, vcc, 0, v0, vcc
	s_addc_u32 s42, s15, s25
	v_mov_b32_e32 v0, s42
	v_add_co_u32_e32 v9, vcc, s41, v3
	s_mul_i32 s24, s27, 12
	s_mul_hi_u32 s25, s40, 12
	v_or_b32_e32 v26, 4, v19
	v_addc_co_u32_e32 v0, vcc, v0, v4, vcc
	s_add_i32 s25, s25, s24
	s_mul_i32 s24, s40, 12
	v_lshrrev_b32_e32 v55, 2, v26
	v_add_co_u32_e32 v9, vcc, v9, v25
	s_add_u32 s27, s36, s24
	v_add_u32_e32 v56, s14, v55
	v_addc_co_u32_e32 v10, vcc, 0, v0, vcc
	s_addc_u32 s40, s15, s25
	v_mul_hi_u32 v11, v56, s0
	v_mov_b32_e32 v0, s40
	v_add_co_u32_e32 v3, vcc, s27, v3
	v_addc_co_u32_e32 v0, vcc, v0, v4, vcc
	v_add_co_u32_e32 v3, vcc, v3, v25
	v_addc_co_u32_e32 v4, vcc, 0, v0, vcc
	v_add_u32_e32 v0, v56, v11
	v_lshrrev_b32_e32 v0, s1, v0
	v_mul_lo_u32 v0, v0, s2
	v_or_b32_e32 v27, 5, v19
	global_load_dwordx2 v[11:12], v[5:6], off
	global_load_dwordx2 v[13:14], v[7:8], off
	;; [unrolled: 1-line block ×4, first 2 shown]
	v_lshrrev_b32_e32 v53, 2, v27
	v_sub_u32_e32 v5, v56, v0
	v_mad_u64_u32 v[3:4], s[24:25], s8, v5, 0
	v_add_u32_e32 v54, s14, v53
	v_mul_hi_u32 v6, v54, s0
	v_mov_b32_e32 v0, v4
	v_mad_u64_u32 v[4:5], s[24:25], s9, v5, v[0:1]
	v_add_u32_e32 v0, v54, v6
	v_lshrrev_b32_e32 v0, s1, v0
	v_mul_lo_u32 v0, v0, s2
	v_lshlrev_b64 v[3:4], 2, v[3:4]
	v_mov_b32_e32 v7, s15
	v_add_co_u32_e32 v9, vcc, s36, v3
	v_sub_u32_e32 v8, v54, v0
	v_mad_u64_u32 v[5:6], s[24:25], s8, v8, 0
	v_addc_co_u32_e32 v7, vcc, v7, v4, vcc
	v_mov_b32_e32 v0, v6
	v_mad_u64_u32 v[3:4], s[24:25], s9, v8, v[0:1]
	v_add_co_u32_e32 v6, vcc, v9, v25
	v_or_b32_e32 v28, 6, v19
	v_addc_co_u32_e32 v7, vcc, 0, v7, vcc
	v_lshrrev_b32_e32 v51, 2, v28
	global_load_dwordx2 v[7:8], v[6:7], off
	v_mov_b32_e32 v6, v3
	v_add_u32_e32 v52, s14, v51
	v_lshlrev_b64 v[3:4], 2, v[5:6]
	v_mul_hi_u32 v5, v52, s0
	v_mov_b32_e32 v0, s39
	v_add_co_u32_e32 v3, vcc, s26, v3
	v_addc_co_u32_e32 v0, vcc, v0, v4, vcc
	v_add_u32_e32 v4, v52, v5
	v_lshrrev_b32_e32 v4, s1, v4
	v_mul_lo_u32 v5, v4, s2
	v_or_b32_e32 v29, 7, v19
	v_lshrrev_b32_e32 v49, 2, v29
	v_add_u32_e32 v50, s14, v49
	v_sub_u32_e32 v9, v52, v5
	v_mad_u64_u32 v[5:6], s[24:25], s8, v9, 0
	v_mul_hi_u32 v19, v50, s0
	v_add_co_u32_e32 v3, vcc, v3, v25
	v_addc_co_u32_e32 v4, vcc, 0, v0, vcc
	v_mov_b32_e32 v0, v6
	v_mad_u64_u32 v[9:10], s[24:25], s9, v9, v[0:1]
	v_add_u32_e32 v0, v50, v19
	v_lshrrev_b32_e32 v0, s1, v0
	v_mul_lo_u32 v0, v0, s2
	v_mov_b32_e32 v6, v9
	v_lshlrev_b64 v[5:6], 2, v[5:6]
	v_mov_b32_e32 v19, s42
	v_sub_u32_e32 v20, v50, v0
	v_mad_u64_u32 v[9:10], s[24:25], s8, v20, 0
	v_add_co_u32_e32 v21, vcc, s41, v5
	v_mov_b32_e32 v0, v10
	v_addc_co_u32_e32 v22, vcc, v19, v6, vcc
	v_mad_u64_u32 v[5:6], s[8:9], s9, v20, v[0:1]
	v_add_co_u32_e32 v19, vcc, v21, v25
	v_mov_b32_e32 v10, v5
	v_addc_co_u32_e32 v20, vcc, 0, v22, vcc
	global_load_dwordx2 v[21:22], v[3:4], off
	global_load_dwordx2 v[23:24], v[19:20], off
	v_lshlrev_b64 v[3:4], 2, v[9:10]
	v_mov_b32_e32 v0, s40
	v_add_co_u32_e32 v3, vcc, s27, v3
	v_addc_co_u32_e32 v0, vcc, v0, v4, vcc
	v_add_co_u32_e32 v3, vcc, v3, v25
	v_addc_co_u32_e32 v4, vcc, 0, v0, vcc
	global_load_dwordx2 v[4:5], v[3:4], off
	s_load_dword s8, s[4:5], 0x40
	v_mov_b32_e32 v0, 0x4400
	v_lshl_or_b32 v0, v62, 2, v0
	v_lshlrev_b32_e32 v3, 10, v1
	v_add_u32_e32 v6, v0, v3
	s_waitcnt vmcnt(7) lgkmcnt(0)
	v_fma_mixlo_f16 v10, s8, v12, 0
	v_fma_mixlo_f16 v9, s8, v11, 0
	v_lshlrev_b32_e32 v10, 16, v10
	s_waitcnt vmcnt(6)
	v_fma_mixlo_f16 v11, s8, v14, 0
	v_or_b32_sdwa v9, v10, v9 dst_sel:DWORD dst_unused:UNUSED_PAD src0_sel:DWORD src1_sel:WORD_0
	v_fma_mixlo_f16 v10, s8, v13, 0
	v_lshlrev_b32_e32 v11, 16, v11
	v_or_b32_sdwa v10, v11, v10 dst_sel:DWORD dst_unused:UNUSED_PAD src0_sel:DWORD src1_sel:WORD_0
	ds_write2_b32 v6, v9, v10 offset1:32
	s_waitcnt vmcnt(5)
	v_fma_mixlo_f16 v10, s8, v16, 0
	v_fma_mixlo_f16 v9, s8, v15, 0
	v_lshlrev_b32_e32 v10, 16, v10
	s_waitcnt vmcnt(4)
	v_fma_mixlo_f16 v11, s8, v18, 0
	v_or_b32_sdwa v9, v10, v9 dst_sel:DWORD dst_unused:UNUSED_PAD src0_sel:DWORD src1_sel:WORD_0
	v_fma_mixlo_f16 v10, s8, v17, 0
	v_lshlrev_b32_e32 v11, 16, v11
	s_waitcnt vmcnt(3)
	v_fma_mixlo_f16 v8, s8, v8, 0
	v_or_b32_sdwa v10, v11, v10 dst_sel:DWORD dst_unused:UNUSED_PAD src0_sel:DWORD src1_sel:WORD_0
	v_fma_mixlo_f16 v7, s8, v7, 0
	v_lshlrev_b32_e32 v8, 16, v8
	ds_write2_b32 v6, v9, v10 offset0:64 offset1:96
	v_lshl_add_u32 v6, v26, 7, v0
	v_or_b32_sdwa v7, v8, v7 dst_sel:DWORD dst_unused:UNUSED_PAD src0_sel:DWORD src1_sel:WORD_0
	ds_write_b32 v6, v7
	v_lshl_add_u32 v6, v27, 7, v0
	s_cmp_eq_u64 s[18:19], 0
	s_waitcnt vmcnt(2)
	v_fma_mixlo_f16 v8, s8, v22, 0
	v_fma_mixlo_f16 v7, s8, v21, 0
	v_lshlrev_b32_e32 v8, 16, v8
	v_or_b32_sdwa v7, v8, v7 dst_sel:DWORD dst_unused:UNUSED_PAD src0_sel:DWORD src1_sel:WORD_0
	s_waitcnt vmcnt(1)
	v_fma_mixlo_f16 v8, s8, v24, 0
	ds_write_b32 v6, v7
	v_fma_mixlo_f16 v7, s8, v23, 0
	v_lshlrev_b32_e32 v8, 16, v8
	v_lshl_add_u32 v6, v28, 7, v0
	v_or_b32_sdwa v7, v8, v7 dst_sel:DWORD dst_unused:UNUSED_PAD src0_sel:DWORD src1_sel:WORD_0
	v_lshl_add_u32 v0, v29, 7, v0
	ds_write_b32 v6, v7
	s_waitcnt vmcnt(0)
	v_fma_mixlo_f16 v5, s8, v5, 0
	v_fma_mixlo_f16 v4, s8, v4, 0
	v_lshlrev_b32_e32 v5, 16, v5
	v_or_b32_sdwa v4, v5, v4 dst_sel:DWORD dst_unused:UNUSED_PAD src0_sel:DWORD src1_sel:WORD_0
	ds_write_b32 v0, v4
	s_waitcnt lgkmcnt(0)
	s_barrier
	s_cbranch_scc1 .LBB17_4
; %bb.3:
	s_load_dword s8, s[4:5], 0xd0
	s_mov_b32 s9, 0
	s_waitcnt lgkmcnt(0)
	s_mul_i32 s8, s8, s33
	s_add_i32 s8, s8, s6
	s_lshl_b64 s[8:9], s[8:9], 2
	s_add_u32 s8, s18, s8
	s_addc_u32 s9, s19, s9
	s_load_dword s30, s[8:9], 0x0
.LBB17_4:
	s_lshl_b32 s6, s7, 6
	s_waitcnt lgkmcnt(0)
	s_cmp_lt_i32 s6, s30
	v_mbcnt_lo_u32_b32 v4, -1, 0
	s_cbranch_scc1 .LBB17_7
; %bb.5:
	v_mbcnt_hi_u32_b32 v60, -1, v4
	v_and_b32_e32 v0, 0x60, v60
	v_add_u32_e32 v61, 32, v0
	v_xor_b32_e32 v127, 16, v60
	v_xor_b32_e32 v66, 8, v60
	;; [unrolled: 1-line block ×5, first 2 shown]
	s_cbranch_execz .LBB17_8
; %bb.6:
	v_mov_b32_e32 v95, 0
	v_mov_b32_e32 v59, 0
	;; [unrolled: 1-line block ×24, first 2 shown]
	s_branch .LBB17_11
.LBB17_7:
                                        ; implicit-def: $vgpr60
                                        ; implicit-def: $vgpr61
                                        ; implicit-def: $vgpr127
                                        ; implicit-def: $vgpr66
                                        ; implicit-def: $vgpr68
                                        ; implicit-def: $vgpr0
                                        ; implicit-def: $vgpr46
.LBB17_8:
	s_sub_i32 s8, 0, s29
	s_mul_i32 s8, s8, s38
	buffer_store_dword v58, off, s[44:47], 0 offset:60 ; 4-byte Folded Spill
	buffer_store_dword v56, off, s[44:47], 0 offset:52 ; 4-byte Folded Spill
	buffer_store_dword v55, off, s[44:47], 0 offset:48 ; 4-byte Folded Spill
	buffer_store_dword v54, off, s[44:47], 0 offset:44 ; 4-byte Folded Spill
	buffer_store_dword v53, off, s[44:47], 0 offset:40 ; 4-byte Folded Spill
	buffer_store_dword v52, off, s[44:47], 0 offset:36 ; 4-byte Folded Spill
	buffer_store_dword v51, off, s[44:47], 0 offset:32 ; 4-byte Folded Spill
	buffer_store_dword v50, off, s[44:47], 0 offset:28 ; 4-byte Folded Spill
	buffer_store_dword v49, off, s[44:47], 0 offset:24 ; 4-byte Folded Spill
	s_mul_hi_u32 s8, s38, s8
	s_add_i32 s38, s38, s8
	s_load_dwordx2 s[8:9], s[4:5], 0x8c
	s_load_dwordx4 s[24:27], s[4:5], 0x98
	s_abs_i32 s19, s28
	s_mul_hi_u32 s36, s19, s38
	s_ashr_i32 s40, s28, 31
	s_waitcnt lgkmcnt(0)
	s_ashr_i32 s18, s8, 2
	s_ashr_i32 s8, s33, 31
	s_ashr_i32 s15, s26, 2
	s_ashr_i32 s26, s37, 1
	s_mul_hi_u32 s37, s24, s33
	s_mul_i32 s41, s24, s8
	s_add_i32 s37, s37, s41
	s_mul_i32 s25, s25, s33
	s_ashr_i32 s31, s31, 31
	s_add_i32 s37, s37, s25
	s_mul_i32 s24, s24, s33
	s_add_u32 s10, s10, s24
	s_mul_i32 s25, s36, s29
	s_addc_u32 s11, s11, s37
	s_sub_i32 s19, s19, s25
	v_add3_u32 v9, s14, v57, 1
	s_xor_b32 s24, s40, s31
	s_add_i32 s25, s36, 1
	s_sub_i32 s31, s19, s29
	v_mul_hi_u32 v10, s0, v9
	s_cmp_ge_u32 s19, s29
	s_cselect_b32 s25, s25, s36
	s_cselect_b32 s19, s31, s19
	s_add_i32 s31, s25, 1
	s_cmp_ge_u32 s19, s29
	v_add_u32_e32 v10, v9, v10
	s_load_dwordx2 s[38:39], s[4:5], 0xa8
	s_cselect_b32 s19, s31, s25
	v_lshrrev_b32_e32 v10, s1, v10
	s_xor_b32 s19, s19, s24
	v_mul_lo_u32 v10, v10, s2
	v_mul_lo_u32 v2, v2, s26
	s_sub_i32 s19, s19, s24
	s_mul_i32 s9, s19, s9
	s_ashr_i32 s24, s9, 31
	s_add_u32 s10, s10, s9
	s_waitcnt lgkmcnt(0)
	s_mul_hi_u32 s9, s38, s33
	s_mul_i32 s8, s38, s8
	buffer_store_dword v2, off, s[44:47], 0 offset:8 ; 4-byte Folded Spill
	v_sub_u32_e32 v2, v9, v10
	s_addc_u32 s11, s11, s24
	s_add_i32 s8, s9, s8
	s_mul_i32 s9, s39, s33
	v_mul_lo_u32 v2, v2, s26
	s_add_i32 s8, s8, s9
	s_mul_i32 s9, s38, s33
	s_add_u32 s9, s12, s9
	s_mul_i32 s19, s19, s27
	v_lshrrev_b32_e32 v0, 3, v62
	s_addc_u32 s8, s13, s8
	s_ashr_i32 s13, s19, 31
	v_lshl_add_u32 v0, v1, 2, v0
	v_lshlrev_b32_e32 v67, 2, v62
	s_add_u32 s12, s9, s19
	v_and_b32_e32 v11, 28, v67
	v_mul_lo_u32 v5, s18, v0
	buffer_store_dword v2, off, s[44:47], 0 offset:12 ; 4-byte Folded Spill
	v_mul_lo_u32 v2, s15, v0
	s_addc_u32 s13, s8, s13
	v_lshlrev_b32_e32 v1, 2, v11
	s_movk_i32 s8, 0x90
	v_mad_u32_u24 v7, v0, s8, v1
	buffer_store_dword v7, off, s[44:47], 0 ; 4-byte Folded Spill
	v_add_u32_e32 v7, 0x1200, v7
	buffer_store_dword v7, off, s[44:47], 0 offset:4 ; 4-byte Folded Spill
	v_lshl_add_u32 v7, s18, 5, v5
	v_lshl_or_b32 v0, v0, 7, v1
	v_lshl_add_u32 v9, s15, 5, v2
	v_ashrrev_i32_e32 v6, 31, v5
	v_ashrrev_i32_e32 v8, 31, v7
	v_add_u32_e32 v70, 0x4400, v3
	v_add_u32_e32 v74, 0x2400, v3
	v_ashrrev_i32_e32 v3, 31, v2
	buffer_store_dword v0, off, s[44:47], 0 offset:16 ; 4-byte Folded Spill
	v_add_u32_e32 v0, 0x1000, v0
	v_ashrrev_i32_e32 v10, 31, v9
	v_mbcnt_hi_u32_b32 v60, -1, v4
	buffer_store_dword v57, off, s[44:47], 0 offset:56 ; 4-byte Folded Spill
	v_lshlrev_b32_e32 v12, 4, v62
	buffer_store_dword v0, off, s[44:47], 0 offset:20 ; 4-byte Folded Spill
	s_add_u32 s0, s4, 0xd0
	v_lshlrev_b64 v[72:73], 2, v[5:6]
	v_lshlrev_b64 v[75:76], 2, v[7:8]
	v_and_b32_e32 v0, 0x60, v60
	v_lshlrev_b64 v[57:58], 2, v[2:3]
	v_lshlrev_b64 v[47:48], 2, v[9:10]
	v_mov_b32_e32 v88, 0
	v_mul_u32_u24_e32 v71, 0x90, v62
	s_addc_u32 s1, s5, 0
	v_mov_b32_e32 v1, 0xfeffffff
	v_lshlrev_b32_e32 v77, 2, v11
	v_add_u32_e32 v61, 32, v0
	v_xor_b32_e32 v127, 16, v60
	v_xor_b32_e32 v66, 8, v60
	;; [unrolled: 1-line block ×5, first 2 shown]
	v_mov_b32_e32 v78, s35
	s_mov_b32 s19, 0x3fb8aa3b
	s_mov_b32 s24, 0xc2ce8ed0
	;; [unrolled: 1-line block ×3, first 2 shown]
	v_mov_b32_e32 v79, 0x7f800000
	s_mov_b32 s26, 0x10001
	v_add_u32_e32 v80, v74, v12
	v_add_u32_e32 v69, 0x1000, v67
	;; [unrolled: 1-line block ×5, first 2 shown]
	v_mov_b32_e32 v89, 0
	v_mov_b32_e32 v90, 0
	;; [unrolled: 1-line block ×22, first 2 shown]
.LBB17_9:                               ; =>This Inner Loop Header: Depth=1
	s_mul_hi_i32 s9, s6, s18
	s_mul_i32 s8, s6, s18
	s_lshl_b64 s[8:9], s[8:9], 2
	s_add_u32 s8, s10, s8
	s_addc_u32 s9, s11, s9
	v_mov_b32_e32 v109, v2
	v_mov_b32_e32 v110, v1
	v_add_co_u32_e32 v1, vcc, s8, v72
	v_mov_b32_e32 v2, s9
	v_addc_co_u32_e32 v2, vcc, v2, v73, vcc
	v_add_co_u32_e32 v1, vcc, v1, v77
	v_addc_co_u32_e32 v2, vcc, 0, v2, vcc
	v_mov_b32_e32 v103, v5
	v_mov_b32_e32 v105, v4
	;; [unrolled: 1-line block ×3, first 2 shown]
	global_load_dwordx4 v[1:4], v[1:2], off
	v_mov_b32_e32 v111, 0
	buffer_load_dword v5, off, s[44:47], 0  ; 4-byte Folded Reload
	v_mov_b32_e32 v96, v19
	v_mov_b32_e32 v98, v18
	;; [unrolled: 1-line block ×17, first 2 shown]
	s_waitcnt vmcnt(0)
	ds_write_b128 v5, v[1:4]
	v_add_co_u32_e32 v1, vcc, s8, v75
	v_mov_b32_e32 v2, s9
	v_addc_co_u32_e32 v2, vcc, v2, v76, vcc
	v_add_co_u32_e32 v1, vcc, v1, v77
	v_addc_co_u32_e32 v2, vcc, 0, v2, vcc
	global_load_dwordx4 v[1:4], v[1:2], off
	v_cmp_lt_i32_e32 vcc, v127, v61
	buffer_load_dword v5, off, s[44:47], 0 offset:4 ; 4-byte Folded Reload
	s_mul_hi_i32 s9, s6, s15
	s_mul_i32 s8, s6, s15
	s_lshl_b64 s[8:9], s[8:9], 2
	s_add_u32 s8, s12, s8
	s_addc_u32 s9, s13, s9
	s_waitcnt vmcnt(0)
	ds_write_b128 v5, v[1:4]
	s_waitcnt lgkmcnt(0)
	s_barrier
	ds_read_b128 v[37:40], v71
	ds_read_b128 v[1:4], v71 offset:4608
	ds_read_b128 v[33:36], v70
	ds_read_b128 v[29:32], v70 offset:128
	ds_read_b128 v[25:28], v70 offset:256
	ds_read_b128 v[21:24], v70 offset:384
	ds_read_b128 v[17:20], v70 offset:512
	ds_read_b128 v[13:16], v70 offset:640
	ds_read_b128 v[9:12], v70 offset:768
	ds_read_b128 v[5:8], v70 offset:896
	s_waitcnt lgkmcnt(7)
	;;#ASMSTART
	v_dot2_f32_f16 v111, v37, v33, v111
	;;#ASMEND
	;;#ASMSTART
	v_dot2_f32_f16 v111, v38, v34, v111
	;;#ASMEND
	;;#ASMSTART
	v_dot2_f32_f16 v111, v39, v35, v111
	;;#ASMEND
	;;#ASMSTART
	v_dot2_f32_f16 v111, v40, v36, v111
	;;#ASMEND
	s_waitcnt lgkmcnt(6)
	;;#ASMSTART
	v_dot2_f32_f16 v112, v37, v29, v112
	;;#ASMEND
	;;#ASMSTART
	v_dot2_f32_f16 v112, v38, v30, v112
	;;#ASMEND
	;;#ASMSTART
	v_dot2_f32_f16 v112, v39, v31, v112
	;;#ASMEND
	;;#ASMSTART
	v_dot2_f32_f16 v112, v40, v32, v112
	;;#ASMEND
	;; [unrolled: 13-line block ×7, first 2 shown]
	s_waitcnt lgkmcnt(0)
	;;#ASMSTART
	v_dot2_f32_f16 v118, v37, v5, v118
	;;#ASMEND
	;;#ASMSTART
	v_dot2_f32_f16 v118, v38, v6, v118
	;;#ASMEND
	;;#ASMSTART
	v_dot2_f32_f16 v118, v39, v7, v118
	;;#ASMEND
	v_mov_b32_e32 v37, 0
	;;#ASMSTART
	v_dot2_f32_f16 v118, v40, v8, v118
	;;#ASMEND
	;;#ASMSTART
	v_dot2_f32_f16 v37, v1, v33, v37
	;;#ASMEND
	;;#ASMSTART
	v_dot2_f32_f16 v37, v2, v34, v37
	;;#ASMEND
	;;#ASMSTART
	v_dot2_f32_f16 v37, v3, v35, v37
	;;#ASMEND
	v_mov_b32_e32 v33, 0
	;;#ASMSTART
	v_dot2_f32_f16 v37, v4, v36, v37
	;;#ASMEND
	;;#ASMSTART
	v_dot2_f32_f16 v33, v1, v29, v33
	;;#ASMEND
	;;#ASMSTART
	v_dot2_f32_f16 v33, v2, v30, v33
	;;#ASMEND
	;;#ASMSTART
	v_dot2_f32_f16 v33, v3, v31, v33
	;;#ASMEND
	v_mov_b32_e32 v29, 0
	;;#ASMSTART
	v_dot2_f32_f16 v33, v4, v32, v33
	;;#ASMEND
	;;#ASMSTART
	v_dot2_f32_f16 v29, v1, v25, v29
	;;#ASMEND
	;;#ASMSTART
	v_dot2_f32_f16 v29, v2, v26, v29
	;;#ASMEND
	;;#ASMSTART
	v_dot2_f32_f16 v29, v3, v27, v29
	;;#ASMEND
	v_mov_b32_e32 v25, 0
	;;#ASMSTART
	v_dot2_f32_f16 v29, v4, v28, v29
	;;#ASMEND
	;;#ASMSTART
	v_dot2_f32_f16 v25, v1, v21, v25
	;;#ASMEND
	;;#ASMSTART
	v_dot2_f32_f16 v25, v2, v22, v25
	;;#ASMEND
	;;#ASMSTART
	v_dot2_f32_f16 v25, v3, v23, v25
	;;#ASMEND
	v_mov_b32_e32 v21, 0
	;;#ASMSTART
	v_dot2_f32_f16 v25, v4, v24, v25
	;;#ASMEND
	;;#ASMSTART
	v_dot2_f32_f16 v21, v1, v17, v21
	;;#ASMEND
	;;#ASMSTART
	v_dot2_f32_f16 v21, v2, v18, v21
	;;#ASMEND
	;;#ASMSTART
	v_dot2_f32_f16 v21, v3, v19, v21
	;;#ASMEND
	v_mov_b32_e32 v17, 0
	;;#ASMSTART
	v_dot2_f32_f16 v21, v4, v20, v21
	;;#ASMEND
	;;#ASMSTART
	v_dot2_f32_f16 v17, v1, v13, v17
	;;#ASMEND
	;;#ASMSTART
	v_dot2_f32_f16 v17, v2, v14, v17
	;;#ASMEND
	;;#ASMSTART
	v_dot2_f32_f16 v17, v3, v15, v17
	;;#ASMEND
	v_mov_b32_e32 v13, 0
	;;#ASMSTART
	v_dot2_f32_f16 v17, v4, v16, v17
	;;#ASMEND
	;;#ASMSTART
	v_dot2_f32_f16 v13, v1, v9, v13
	;;#ASMEND
	;;#ASMSTART
	v_dot2_f32_f16 v13, v2, v10, v13
	;;#ASMEND
	;;#ASMSTART
	v_dot2_f32_f16 v13, v3, v11, v13
	;;#ASMEND
	v_mov_b32_e32 v9, 0
	;;#ASMSTART
	v_dot2_f32_f16 v13, v4, v12, v13
	;;#ASMEND
	;;#ASMSTART
	v_dot2_f32_f16 v9, v1, v5, v9
	;;#ASMEND
	;;#ASMSTART
	v_dot2_f32_f16 v9, v2, v6, v9
	;;#ASMEND
	;; [unrolled: 3-line block ×4, first 2 shown]
	ds_read_b128 v[1:4], v71 offset:16
	ds_read_b128 v[5:8], v71 offset:4624
	;; [unrolled: 1-line block ×9, first 2 shown]
	v_mov_b32_e32 v10, v62
	ds_read_b128 v[62:65], v70 offset:912
	s_waitcnt lgkmcnt(7)
	;;#ASMSTART
	v_dot2_f32_f16 v111, v1, v119, v111
	;;#ASMEND
	;;#ASMSTART
	v_dot2_f32_f16 v111, v2, v120, v111
	;;#ASMEND
	;;#ASMSTART
	v_dot2_f32_f16 v111, v3, v121, v111
	;;#ASMEND
	;;#ASMSTART
	v_dot2_f32_f16 v111, v4, v122, v111
	;;#ASMEND
	s_waitcnt lgkmcnt(6)
	;;#ASMSTART
	v_dot2_f32_f16 v112, v1, v123, v112
	;;#ASMEND
	;;#ASMSTART
	v_dot2_f32_f16 v112, v2, v124, v112
	;;#ASMEND
	;;#ASMSTART
	v_dot2_f32_f16 v112, v3, v125, v112
	;;#ASMEND
	;;#ASMSTART
	v_dot2_f32_f16 v112, v4, v126, v112
	;;#ASMEND
	;; [unrolled: 13-line block ×8, first 2 shown]
	;;#ASMSTART
	v_dot2_f32_f16 v37, v5, v119, v37
	;;#ASMEND
	;;#ASMSTART
	v_dot2_f32_f16 v37, v6, v120, v37
	;;#ASMEND
	;; [unrolled: 3-line block ×32, first 2 shown]
	ds_read_b128 v[1:4], v71 offset:32
	ds_read_b128 v[5:8], v71 offset:4640
	;; [unrolled: 1-line block ×10, first 2 shown]
	s_waitcnt lgkmcnt(7)
	;;#ASMSTART
	v_dot2_f32_f16 v111, v1, v38, v111
	;;#ASMEND
	;;#ASMSTART
	v_dot2_f32_f16 v111, v2, v39, v111
	;;#ASMEND
	;;#ASMSTART
	v_dot2_f32_f16 v111, v3, v40, v111
	;;#ASMEND
	;;#ASMSTART
	v_dot2_f32_f16 v111, v4, v41, v111
	;;#ASMEND
	s_waitcnt lgkmcnt(6)
	;;#ASMSTART
	v_dot2_f32_f16 v112, v1, v42, v112
	;;#ASMEND
	;;#ASMSTART
	v_dot2_f32_f16 v112, v2, v43, v112
	;;#ASMEND
	;;#ASMSTART
	v_dot2_f32_f16 v112, v3, v44, v112
	;;#ASMEND
	;;#ASMSTART
	v_dot2_f32_f16 v112, v4, v45, v112
	;;#ASMEND
	;; [unrolled: 13-line block ×8, first 2 shown]
	;;#ASMSTART
	v_dot2_f32_f16 v37, v5, v38, v37
	;;#ASMEND
	;;#ASMSTART
	v_dot2_f32_f16 v37, v6, v39, v37
	;;#ASMEND
	;; [unrolled: 3-line block ×32, first 2 shown]
	ds_read_b128 v[1:4], v71 offset:48
	ds_read_b128 v[5:8], v71 offset:4656
	;; [unrolled: 1-line block ×10, first 2 shown]
	s_waitcnt lgkmcnt(7)
	;;#ASMSTART
	v_dot2_f32_f16 v111, v1, v38, v111
	;;#ASMEND
	;;#ASMSTART
	v_dot2_f32_f16 v111, v2, v39, v111
	;;#ASMEND
	;;#ASMSTART
	v_dot2_f32_f16 v111, v3, v40, v111
	;;#ASMEND
	;;#ASMSTART
	v_dot2_f32_f16 v111, v4, v41, v111
	;;#ASMEND
	s_waitcnt lgkmcnt(6)
	;;#ASMSTART
	v_dot2_f32_f16 v112, v1, v42, v112
	;;#ASMEND
	;;#ASMSTART
	v_dot2_f32_f16 v112, v2, v43, v112
	;;#ASMEND
	;;#ASMSTART
	v_dot2_f32_f16 v112, v3, v44, v112
	;;#ASMEND
	;;#ASMSTART
	v_dot2_f32_f16 v112, v4, v45, v112
	;;#ASMEND
	;; [unrolled: 13-line block ×8, first 2 shown]
	;;#ASMSTART
	v_dot2_f32_f16 v37, v5, v38, v37
	;;#ASMEND
	;;#ASMSTART
	v_dot2_f32_f16 v37, v6, v39, v37
	;;#ASMEND
	;; [unrolled: 3-line block ×32, first 2 shown]
	ds_read_b128 v[1:4], v71 offset:64
	ds_read_b128 v[5:8], v71 offset:4672
	;; [unrolled: 1-line block ×10, first 2 shown]
	s_waitcnt lgkmcnt(7)
	;;#ASMSTART
	v_dot2_f32_f16 v111, v1, v38, v111
	;;#ASMEND
	;;#ASMSTART
	v_dot2_f32_f16 v111, v2, v39, v111
	;;#ASMEND
	;;#ASMSTART
	v_dot2_f32_f16 v111, v3, v40, v111
	;;#ASMEND
	;;#ASMSTART
	v_dot2_f32_f16 v111, v4, v41, v111
	;;#ASMEND
	s_waitcnt lgkmcnt(6)
	;;#ASMSTART
	v_dot2_f32_f16 v112, v1, v42, v112
	;;#ASMEND
	;;#ASMSTART
	v_dot2_f32_f16 v112, v2, v43, v112
	;;#ASMEND
	;;#ASMSTART
	v_dot2_f32_f16 v112, v3, v44, v112
	;;#ASMEND
	;;#ASMSTART
	v_dot2_f32_f16 v112, v4, v45, v112
	;;#ASMEND
	;; [unrolled: 13-line block ×8, first 2 shown]
	;;#ASMSTART
	v_dot2_f32_f16 v37, v5, v38, v37
	;;#ASMEND
	;;#ASMSTART
	v_dot2_f32_f16 v37, v6, v39, v37
	;;#ASMEND
	;; [unrolled: 3-line block ×32, first 2 shown]
	ds_read_b128 v[1:4], v71 offset:80
	ds_read_b128 v[5:8], v71 offset:4688
	;; [unrolled: 1-line block ×10, first 2 shown]
	s_waitcnt lgkmcnt(7)
	;;#ASMSTART
	v_dot2_f32_f16 v111, v1, v38, v111
	;;#ASMEND
	;;#ASMSTART
	v_dot2_f32_f16 v111, v2, v39, v111
	;;#ASMEND
	;;#ASMSTART
	v_dot2_f32_f16 v111, v3, v40, v111
	;;#ASMEND
	;;#ASMSTART
	v_dot2_f32_f16 v111, v4, v41, v111
	;;#ASMEND
	s_waitcnt lgkmcnt(6)
	;;#ASMSTART
	v_dot2_f32_f16 v112, v1, v42, v112
	;;#ASMEND
	;;#ASMSTART
	v_dot2_f32_f16 v112, v2, v43, v112
	;;#ASMEND
	;;#ASMSTART
	v_dot2_f32_f16 v112, v3, v44, v112
	;;#ASMEND
	;;#ASMSTART
	v_dot2_f32_f16 v112, v4, v45, v112
	;;#ASMEND
	;; [unrolled: 13-line block ×8, first 2 shown]
	;;#ASMSTART
	v_dot2_f32_f16 v37, v5, v38, v37
	;;#ASMEND
	;;#ASMSTART
	v_dot2_f32_f16 v37, v6, v39, v37
	;;#ASMEND
	;; [unrolled: 3-line block ×32, first 2 shown]
	ds_read_b128 v[1:4], v71 offset:96
	ds_read_b128 v[5:8], v71 offset:4704
	;; [unrolled: 1-line block ×10, first 2 shown]
	s_waitcnt lgkmcnt(7)
	;;#ASMSTART
	v_dot2_f32_f16 v111, v1, v38, v111
	;;#ASMEND
	;;#ASMSTART
	v_dot2_f32_f16 v111, v2, v39, v111
	;;#ASMEND
	;;#ASMSTART
	v_dot2_f32_f16 v111, v3, v40, v111
	;;#ASMEND
	;;#ASMSTART
	v_dot2_f32_f16 v111, v4, v41, v111
	;;#ASMEND
	s_waitcnt lgkmcnt(6)
	;;#ASMSTART
	v_dot2_f32_f16 v112, v1, v42, v112
	;;#ASMEND
	;;#ASMSTART
	v_dot2_f32_f16 v112, v2, v43, v112
	;;#ASMEND
	;;#ASMSTART
	v_dot2_f32_f16 v112, v3, v44, v112
	;;#ASMEND
	;;#ASMSTART
	v_dot2_f32_f16 v112, v4, v45, v112
	;;#ASMEND
	;; [unrolled: 13-line block ×8, first 2 shown]
	;;#ASMSTART
	v_dot2_f32_f16 v37, v5, v38, v37
	;;#ASMEND
	;;#ASMSTART
	v_dot2_f32_f16 v37, v6, v39, v37
	;;#ASMEND
	;; [unrolled: 3-line block ×32, first 2 shown]
	ds_read_b128 v[1:4], v71 offset:112
	ds_read_b128 v[5:8], v71 offset:4720
	;; [unrolled: 1-line block ×10, first 2 shown]
	s_waitcnt lgkmcnt(7)
	;;#ASMSTART
	v_dot2_f32_f16 v111, v1, v38, v111
	;;#ASMEND
	;;#ASMSTART
	v_dot2_f32_f16 v111, v2, v39, v111
	;;#ASMEND
	;;#ASMSTART
	v_dot2_f32_f16 v111, v3, v40, v111
	;;#ASMEND
	;;#ASMSTART
	v_dot2_f32_f16 v111, v4, v41, v111
	;;#ASMEND
	s_waitcnt lgkmcnt(6)
	;;#ASMSTART
	v_dot2_f32_f16 v112, v1, v42, v112
	;;#ASMEND
	;;#ASMSTART
	v_dot2_f32_f16 v112, v2, v43, v112
	;;#ASMEND
	;;#ASMSTART
	v_dot2_f32_f16 v112, v3, v44, v112
	;;#ASMEND
	;;#ASMSTART
	v_dot2_f32_f16 v112, v4, v45, v112
	;;#ASMEND
	;; [unrolled: 13-line block ×8, first 2 shown]
	;;#ASMSTART
	v_dot2_f32_f16 v37, v5, v38, v37
	;;#ASMEND
	;;#ASMSTART
	v_dot2_f32_f16 v37, v6, v39, v37
	;;#ASMEND
	;;#ASMSTART
	v_dot2_f32_f16 v37, v7, v40, v37
	;;#ASMEND
	;;#ASMSTART
	v_dot2_f32_f16 v37, v8, v41, v37
	;;#ASMEND
	;;#ASMSTART
	v_dot2_f32_f16 v33, v5, v42, v33
	;;#ASMEND
	;;#ASMSTART
	v_dot2_f32_f16 v33, v6, v43, v33
	;;#ASMEND
	;;#ASMSTART
	v_dot2_f32_f16 v33, v7, v44, v33
	;;#ASMEND
	;;#ASMSTART
	v_dot2_f32_f16 v33, v8, v45, v33
	;;#ASMEND
	;;#ASMSTART
	v_dot2_f32_f16 v29, v5, v49, v29
	;;#ASMEND
	;;#ASMSTART
	v_dot2_f32_f16 v29, v6, v50, v29
	;;#ASMEND
	;;#ASMSTART
	v_dot2_f32_f16 v29, v7, v51, v29
	;;#ASMEND
	;;#ASMSTART
	v_dot2_f32_f16 v29, v8, v52, v29
	;;#ASMEND
	;;#ASMSTART
	v_dot2_f32_f16 v25, v5, v53, v25
	;;#ASMEND
	;;#ASMSTART
	v_dot2_f32_f16 v25, v6, v54, v25
	;;#ASMEND
	;;#ASMSTART
	v_dot2_f32_f16 v25, v7, v55, v25
	;;#ASMEND
	;;#ASMSTART
	v_dot2_f32_f16 v25, v8, v56, v25
	;;#ASMEND
	;;#ASMSTART
	v_dot2_f32_f16 v21, v5, v62, v21
	;;#ASMEND
	;;#ASMSTART
	v_dot2_f32_f16 v21, v6, v63, v21
	;;#ASMEND
	;;#ASMSTART
	v_dot2_f32_f16 v21, v7, v64, v21
	;;#ASMEND
	;;#ASMSTART
	v_dot2_f32_f16 v21, v8, v65, v21
	;;#ASMEND
	;;#ASMSTART
	v_dot2_f32_f16 v17, v5, v81, v17
	;;#ASMEND
	;;#ASMSTART
	v_dot2_f32_f16 v17, v6, v82, v17
	;;#ASMEND
	;;#ASMSTART
	v_dot2_f32_f16 v17, v7, v83, v17
	;;#ASMEND
	;;#ASMSTART
	v_dot2_f32_f16 v17, v8, v84, v17
	;;#ASMEND
	;;#ASMSTART
	v_dot2_f32_f16 v13, v5, v119, v13
	;;#ASMEND
	;;#ASMSTART
	v_dot2_f32_f16 v13, v6, v120, v13
	;;#ASMEND
	;;#ASMSTART
	v_dot2_f32_f16 v13, v7, v121, v13
	;;#ASMEND
	;;#ASMSTART
	v_dot2_f32_f16 v13, v8, v122, v13
	;;#ASMEND
	;;#ASMSTART
	v_dot2_f32_f16 v9, v5, v123, v9
	;;#ASMEND
	;;#ASMSTART
	v_dot2_f32_f16 v9, v6, v124, v9
	;;#ASMEND
	;;#ASMSTART
	v_dot2_f32_f16 v9, v7, v125, v9
	;;#ASMEND
	v_cndmask_b32_e32 v1, v60, v127, vcc
	v_cmp_lt_i32_e32 vcc, v66, v61
	;;#ASMSTART
	v_dot2_f32_f16 v9, v8, v126, v9
	;;#ASMEND
	v_lshlrev_b32_e32 v8, 2, v1
	v_cndmask_b32_e32 v1, v60, v66, vcc
	v_cmp_lt_i32_e32 vcc, v68, v61
	v_lshlrev_b32_e32 v11, 2, v1
	v_cndmask_b32_e32 v1, v60, v68, vcc
	v_cmp_lt_i32_e32 vcc, v0, v61
	v_lshlrev_b32_e32 v14, 2, v1
	v_cndmask_b32_e32 v1, v60, v0, vcc
	v_cmp_lt_i32_e32 vcc, v46, v61
	v_lshlrev_b32_e32 v15, 2, v1
	v_cndmask_b32_e32 v1, v60, v46, vcc
	v_lshlrev_b32_e32 v20, 2, v1
	buffer_load_dword v1, off, s[44:47], 0 offset:8 ; 4-byte Folded Reload
	v_mov_b32_e32 v62, v10
	v_add_u32_e32 v5, s6, v62
	s_waitcnt vmcnt(0)
	v_add_u32_e32 v1, v5, v1
	v_ashrrev_i32_e32 v2, 31, v1
	v_lshlrev_b64 v[1:2], 1, v[1:2]
	v_add_co_u32_e32 v1, vcc, s34, v1
	v_addc_co_u32_e32 v2, vcc, v78, v2, vcc
	global_load_ushort v3, v[1:2], off
	s_waitcnt vmcnt(0)
	v_cvt_f32_f16_e32 v4, v3
	global_load_ushort v1, v[1:2], off offset:64
	v_add_f32_e32 v23, v116, v4
	v_add_f32_e32 v22, v111, v4
	;; [unrolled: 1-line block ×6, first 2 shown]
	s_waitcnt vmcnt(0)
	v_cvt_f32_f16_e32 v6, v1
	v_add_f32_e32 v16, v25, v6
	v_add_f32_e32 v28, v37, v6
	;; [unrolled: 1-line block ×5, first 2 shown]
	v_max3_f32 v4, v105, v4, v6
	ds_bpermute_b32 v6, v8, v4
	v_add_f32_e32 v1, 0x40051340, v28
	v_max3_f32 v1, v110, v3, v1
	ds_bpermute_b32 v2, v8, v1
	v_add_f32_e32 v3, 0x40051340, v31
	s_waitcnt lgkmcnt(1)
	v_max_f32_e32 v6, v6, v6
	v_max_f32_e32 v4, v4, v6
	ds_bpermute_b32 v6, v11, v4
	s_waitcnt lgkmcnt(1)
	v_max_f32_e32 v2, v2, v2
	v_max_f32_e32 v1, v1, v2
	ds_bpermute_b32 v2, v11, v1
	v_add_f32_e32 v7, 0x40051340, v33
	s_waitcnt lgkmcnt(1)
	v_max_f32_e32 v6, v6, v6
	v_max_f32_e32 v4, v4, v6
	ds_bpermute_b32 v6, v14, v4
	s_waitcnt lgkmcnt(1)
	v_max_f32_e32 v2, v2, v2
	v_max_f32_e32 v1, v1, v2
	ds_bpermute_b32 v2, v14, v1
	;; [unrolled: 4-line block ×6, first 2 shown]
	s_waitcnt lgkmcnt(1)
	v_max_f32_e32 v6, v6, v6
	v_max_f32_e32 v4, v4, v6
	buffer_load_dword v6, off, s[44:47], 0 offset:12 ; 4-byte Folded Reload
	s_waitcnt lgkmcnt(0)
	v_max_f32_e32 v2, v2, v2
	v_max_f32_e32 v1, v1, v2
	v_add_f32_e32 v2, 0x40051340, v30
	v_max3_f32 v2, v109, v2, v3
	ds_bpermute_b32 v3, v8, v2
	v_sub_f32_e32 v23, v23, v4
	v_sub_f32_e32 v16, v16, v4
	s_waitcnt lgkmcnt(0)
	v_max_f32_e32 v3, v3, v3
	v_max_f32_e32 v2, v2, v3
	ds_bpermute_b32 v3, v11, v2
	s_waitcnt lgkmcnt(0)
	v_max_f32_e32 v3, v3, v3
	v_max_f32_e32 v2, v2, v3
	ds_bpermute_b32 v3, v14, v2
	;; [unrolled: 4-line block ×4, first 2 shown]
	s_waitcnt lgkmcnt(0)
	v_max_f32_e32 v3, v3, v3
	v_max_f32_e32 v2, v2, v3
	v_add_f32_e32 v3, 0x40051340, v32
	v_max3_f32 v3, v107, v3, v7
	ds_bpermute_b32 v7, v8, v3
	s_waitcnt lgkmcnt(0)
	v_max_f32_e32 v7, v7, v7
	v_max_f32_e32 v3, v3, v7
	ds_bpermute_b32 v7, v11, v3
	s_waitcnt lgkmcnt(0)
	v_max_f32_e32 v7, v7, v7
	v_max_f32_e32 v3, v3, v7
	;; [unrolled: 4-line block ×5, first 2 shown]
	s_waitcnt vmcnt(0)
	v_add_u32_e32 v5, v5, v6
	v_ashrrev_i32_e32 v6, 31, v5
	v_lshlrev_b64 v[5:6], 1, v[5:6]
	v_add_co_u32_e32 v5, vcc, s34, v5
	v_addc_co_u32_e32 v6, vcc, v78, v6, vcc
	global_load_ushort v7, v[5:6], off
	s_waitcnt vmcnt(0)
	v_cvt_f32_f16_e32 v10, v7
	global_load_ushort v5, v[5:6], off offset:64
	s_waitcnt vmcnt(0)
	s_barrier
	v_add_f32_e32 v27, v114, v10
	v_add_f32_e32 v7, 0x40051340, v27
	v_add_f32_e32 v25, v115, v10
	v_add_f32_e32 v26, v117, v10
	v_cvt_f32_f16_e32 v29, v5
	v_add_f32_e32 v24, v21, v29
	v_add_f32_e32 v5, 0x40051340, v24
	v_max3_f32 v5, v103, v7, v5
	ds_bpermute_b32 v6, v8, v5
	v_add_f32_e32 v18, v17, v29
	v_add_f32_e32 v7, 0x40051340, v18
	;; [unrolled: 1-line block ×4, first 2 shown]
	s_waitcnt lgkmcnt(0)
	v_max_f32_e32 v6, v6, v6
	v_max_f32_e32 v5, v5, v6
	ds_bpermute_b32 v6, v11, v5
	s_waitcnt lgkmcnt(0)
	v_max_f32_e32 v6, v6, v6
	v_max_f32_e32 v5, v5, v6
	ds_bpermute_b32 v6, v14, v5
	s_waitcnt lgkmcnt(0)
	v_max_f32_e32 v6, v6, v6
	v_max_f32_e32 v5, v5, v6
	ds_bpermute_b32 v6, v15, v5
	s_waitcnt lgkmcnt(0)
	v_max_f32_e32 v6, v6, v6
	v_max_f32_e32 v5, v5, v6
	ds_bpermute_b32 v6, v20, v5
	s_waitcnt lgkmcnt(0)
	v_max_f32_e32 v6, v6, v6
	v_max_f32_e32 v5, v5, v6
	v_add_f32_e32 v6, 0x40051340, v25
	v_max3_f32 v6, v101, v6, v7
	ds_bpermute_b32 v7, v8, v6
	v_sub_f32_e32 v24, v24, v5
	s_waitcnt lgkmcnt(0)
	v_max_f32_e32 v7, v7, v7
	v_max_f32_e32 v6, v6, v7
	ds_bpermute_b32 v7, v11, v6
	s_waitcnt lgkmcnt(0)
	v_max_f32_e32 v7, v7, v7
	v_max_f32_e32 v6, v6, v7
	ds_bpermute_b32 v7, v14, v6
	;; [unrolled: 4-line block ×4, first 2 shown]
	s_waitcnt lgkmcnt(0)
	v_max_f32_e32 v7, v7, v7
	v_max_f32_e32 v6, v6, v7
	v_add_f32_e32 v7, 0x40051340, v26
	v_max3_f32 v7, v99, v7, v12
	ds_bpermute_b32 v12, v8, v7
	v_sub_f32_e32 v25, v25, v6
	v_sub_f32_e32 v18, v18, v6
	s_waitcnt lgkmcnt(0)
	v_max_f32_e32 v12, v12, v12
	v_max_f32_e32 v7, v7, v12
	ds_bpermute_b32 v12, v11, v7
	s_waitcnt lgkmcnt(0)
	v_max_f32_e32 v12, v12, v12
	v_max_f32_e32 v7, v7, v12
	ds_bpermute_b32 v12, v14, v7
	;; [unrolled: 4-line block ×4, first 2 shown]
	s_waitcnt lgkmcnt(0)
	v_max_f32_e32 v12, v12, v12
	v_max_f32_e32 v7, v7, v12
	v_add_f32_e32 v12, v118, v10
	v_add_f32_e32 v10, v9, v29
	;; [unrolled: 1-line block ×4, first 2 shown]
	v_max3_f32 v9, v97, v13, v9
	ds_bpermute_b32 v8, v8, v9
	v_sub_f32_e32 v26, v26, v7
	v_sub_f32_e32 v19, v19, v7
	s_waitcnt lgkmcnt(0)
	v_max_f32_e32 v8, v8, v8
	v_max_f32_e32 v8, v9, v8
	ds_bpermute_b32 v9, v11, v8
	s_waitcnt lgkmcnt(0)
	v_max_f32_e32 v9, v9, v9
	v_max_f32_e32 v8, v8, v9
	ds_bpermute_b32 v9, v14, v8
	v_sub_f32_e32 v14, v110, v1
	s_waitcnt lgkmcnt(0)
	v_max_f32_e32 v9, v9, v9
	v_max_f32_e32 v8, v8, v9
	ds_bpermute_b32 v9, v15, v8
	s_waitcnt lgkmcnt(0)
	v_max_f32_e32 v9, v9, v9
	v_max_f32_e32 v8, v8, v9
	ds_bpermute_b32 v9, v20, v8
	s_waitcnt lgkmcnt(0)
	v_max_f32_e32 v9, v9, v9
	v_max_f32_e32 v8, v8, v9
	v_sub_f32_e32 v9, v22, v1
	v_mul_f32_e32 v11, 0x3fb8aa3b, v9
	v_fma_f32 v13, v9, s19, -v11
	v_rndne_f32_e32 v15, v11
	v_fmac_f32_e32 v13, 0x32a5705f, v9
	v_sub_f32_e32 v11, v11, v15
	v_add_f32_e32 v11, v11, v13
	v_exp_f32_e32 v11, v11
	v_cvt_i32_f32_e32 v13, v15
	v_cmp_ngt_f32_e32 vcc, s24, v9
	v_sub_f32_e32 v12, v12, v8
	v_sub_f32_e32 v10, v10, v8
	v_ldexp_f32 v11, v11, v13
	v_sub_f32_e32 v13, v28, v1
	v_mul_f32_e32 v15, 0x3fb8aa3b, v13
	v_fma_f32 v17, v13, s19, -v15
	v_rndne_f32_e32 v20, v15
	v_fmac_f32_e32 v17, 0x32a5705f, v13
	v_sub_f32_e32 v15, v15, v20
	v_add_f32_e32 v15, v15, v17
	v_exp_f32_e32 v15, v15
	v_cvt_i32_f32_e32 v17, v20
	v_cndmask_b32_e32 v11, 0, v11, vcc
	v_cmp_nlt_f32_e32 vcc, s25, v9
	v_cndmask_b32_e32 v11, v79, v11, vcc
	v_ldexp_f32 v15, v15, v17
	v_cmp_ngt_f32_e32 vcc, s24, v13
	v_cndmask_b32_e32 v15, 0, v15, vcc
	v_cmp_nlt_f32_e32 vcc, s25, v13
	v_cndmask_b32_e32 v15, v79, v15, vcc
	v_cvt_f16_f32_e32 v9, v11
	v_add_f32_e32 v13, v11, v15
	v_cvt_f16_f32_e32 v11, v15
	v_mul_f32_e32 v15, 0x3fb8aa3b, v14
	v_fma_f32 v17, v14, s19, -v15
	v_rndne_f32_e32 v20, v15
	v_fmac_f32_e32 v17, 0x32a5705f, v14
	v_sub_f32_e32 v15, v15, v20
	v_add_f32_e32 v15, v15, v17
	v_exp_f32_e32 v15, v15
	v_cvt_i32_f32_e32 v17, v20
	v_cmp_ngt_f32_e32 vcc, s24, v14
	v_ldexp_f32 v15, v15, v17
	v_cndmask_b32_e32 v15, 0, v15, vcc
	v_cmp_nlt_f32_e32 vcc, s25, v14
	v_cndmask_b32_e32 v14, v79, v15, vcc
	v_fmac_f32_e32 v13, v108, v14
	v_cvt_f16_f32_e32 v14, v14
	v_sub_f32_e32 v15, v109, v2
	v_mul_u32_u24_e32 v14, 0x10001, v14
	v_pk_mul_f16 v20, v95, v14
	v_sub_f32_e32 v14, v30, v2
	v_mul_f32_e32 v17, 0x3fb8aa3b, v14
	v_fma_f32 v21, v14, s19, -v17
	v_rndne_f32_e32 v22, v17
	v_fmac_f32_e32 v21, 0x32a5705f, v14
	v_sub_f32_e32 v17, v17, v22
	v_add_f32_e32 v17, v17, v21
	v_exp_f32_e32 v17, v17
	v_cvt_i32_f32_e32 v21, v22
	v_cmp_ngt_f32_e32 vcc, s24, v14
	v_ldexp_f32 v17, v17, v21
	v_cndmask_b32_e32 v17, 0, v17, vcc
	v_cmp_nlt_f32_e32 vcc, s25, v14
	v_cndmask_b32_e32 v14, v79, v17, vcc
	v_sub_f32_e32 v17, v31, v2
	v_mul_f32_e32 v21, 0x3fb8aa3b, v17
	v_fma_f32 v22, v17, s19, -v21
	v_rndne_f32_e32 v29, v21
	v_fmac_f32_e32 v22, 0x32a5705f, v17
	v_sub_f32_e32 v21, v21, v29
	v_add_f32_e32 v21, v21, v22
	v_exp_f32_e32 v21, v21
	v_cvt_i32_f32_e32 v22, v29
	v_cmp_ngt_f32_e32 vcc, s24, v17
	v_cvt_f16_f32_e32 v28, v14
	v_ldexp_f32 v21, v21, v22
	v_cndmask_b32_e32 v21, 0, v21, vcc
	v_cmp_nlt_f32_e32 vcc, s25, v17
	v_cndmask_b32_e32 v17, v79, v21, vcc
	v_add_f32_e32 v14, v14, v17
	v_cvt_f16_f32_e32 v29, v17
	v_mul_f32_e32 v17, 0x3fb8aa3b, v15
	v_fma_f32 v21, v15, s19, -v17
	v_rndne_f32_e32 v22, v17
	v_fmac_f32_e32 v21, 0x32a5705f, v15
	v_sub_f32_e32 v17, v17, v22
	v_add_f32_e32 v17, v17, v21
	v_exp_f32_e32 v17, v17
	v_cvt_i32_f32_e32 v21, v22
	v_cmp_ngt_f32_e32 vcc, s24, v15
	v_ldexp_f32 v17, v17, v21
	v_cndmask_b32_e32 v17, 0, v17, vcc
	v_cmp_nlt_f32_e32 vcc, s25, v15
	v_cndmask_b32_e32 v15, v79, v17, vcc
	v_fmac_f32_e32 v14, v106, v15
	v_cvt_f16_f32_e32 v15, v15
	v_sub_f32_e32 v17, v107, v3
	v_mul_u32_u24_e32 v15, 0x10001, v15
	v_pk_mul_f16 v21, v94, v15
	v_sub_f32_e32 v15, v32, v3
	v_mul_f32_e32 v22, 0x3fb8aa3b, v15
	v_fma_f32 v30, v15, s19, -v22
	v_rndne_f32_e32 v31, v22
	v_fmac_f32_e32 v30, 0x32a5705f, v15
	v_sub_f32_e32 v22, v22, v31
	v_add_f32_e32 v22, v22, v30
	v_exp_f32_e32 v22, v22
	v_cvt_i32_f32_e32 v30, v31
	v_cmp_ngt_f32_e32 vcc, s24, v15
	v_ldexp_f32 v22, v22, v30
	v_cndmask_b32_e32 v22, 0, v22, vcc
	v_cmp_nlt_f32_e32 vcc, s25, v15
	v_cndmask_b32_e32 v15, v79, v22, vcc
	v_sub_f32_e32 v22, v33, v3
	v_mul_f32_e32 v31, 0x3fb8aa3b, v22
	v_fma_f32 v32, v22, s19, -v31
	v_rndne_f32_e32 v33, v31
	v_fmac_f32_e32 v32, 0x32a5705f, v22
	v_sub_f32_e32 v31, v31, v33
	v_add_f32_e32 v31, v31, v32
	v_exp_f32_e32 v31, v31
	v_cvt_i32_f32_e32 v32, v33
	v_cmp_ngt_f32_e32 vcc, s24, v22
	v_cvt_f16_f32_e32 v30, v15
	v_ldexp_f32 v31, v31, v32
	v_cndmask_b32_e32 v31, 0, v31, vcc
	v_cmp_nlt_f32_e32 vcc, s25, v22
	v_cndmask_b32_e32 v22, v79, v31, vcc
	v_add_f32_e32 v15, v15, v22
	v_cvt_f16_f32_e32 v31, v22
	v_mul_f32_e32 v22, 0x3fb8aa3b, v17
	v_fma_f32 v32, v17, s19, -v22
	v_rndne_f32_e32 v33, v22
	v_fmac_f32_e32 v32, 0x32a5705f, v17
	v_sub_f32_e32 v22, v22, v33
	v_add_f32_e32 v22, v22, v32
	v_exp_f32_e32 v22, v22
	v_cvt_i32_f32_e32 v32, v33
	v_cmp_ngt_f32_e32 vcc, s24, v17
	v_ldexp_f32 v22, v22, v32
	v_mul_f32_e32 v32, 0x3fb8aa3b, v23
	v_fma_f32 v33, v23, s19, -v32
	v_rndne_f32_e32 v34, v32
	v_fmac_f32_e32 v33, 0x32a5705f, v23
	v_sub_f32_e32 v32, v32, v34
	v_add_f32_e32 v32, v32, v33
	v_exp_f32_e32 v32, v32
	v_cvt_i32_f32_e32 v33, v34
	v_cndmask_b32_e32 v22, 0, v22, vcc
	v_cmp_nlt_f32_e32 vcc, s25, v17
	v_cndmask_b32_e32 v17, v79, v22, vcc
	v_ldexp_f32 v32, v32, v33
	v_mul_f32_e32 v33, 0x3fb8aa3b, v16
	v_fma_f32 v34, v16, s19, -v33
	v_rndne_f32_e32 v35, v33
	v_fmac_f32_e32 v34, 0x32a5705f, v16
	v_sub_f32_e32 v33, v33, v35
	v_add_f32_e32 v33, v33, v34
	v_exp_f32_e32 v33, v33
	v_cvt_i32_f32_e32 v34, v35
	v_fmac_f32_e32 v15, v104, v17
	v_cvt_f16_f32_e32 v17, v17
	v_cmp_ngt_f32_e32 vcc, s24, v23
	v_cndmask_b32_e32 v32, 0, v32, vcc
	v_cmp_nlt_f32_e32 vcc, s25, v23
	v_cndmask_b32_e32 v23, v79, v32, vcc
	v_ldexp_f32 v33, v33, v34
	v_cmp_ngt_f32_e32 vcc, s24, v16
	v_mul_u32_u24_e32 v17, 0x10001, v17
	v_cndmask_b32_e32 v33, 0, v33, vcc
	v_cmp_nlt_f32_e32 vcc, s25, v16
	v_pk_mul_f16 v22, v93, v17
	v_sub_f32_e32 v17, v105, v4
	v_cndmask_b32_e32 v33, v79, v33, vcc
	v_cvt_f16_f32_e32 v32, v23
	v_add_f32_e32 v16, v23, v33
	v_mul_f32_e32 v23, 0x3fb8aa3b, v17
	v_cvt_f16_f32_e32 v36, v33
	v_fma_f32 v33, v17, s19, -v23
	v_rndne_f32_e32 v34, v23
	v_fmac_f32_e32 v33, 0x32a5705f, v17
	v_sub_f32_e32 v23, v23, v34
	v_add_f32_e32 v23, v23, v33
	v_exp_f32_e32 v23, v23
	v_cvt_i32_f32_e32 v33, v34
	v_cmp_ngt_f32_e32 vcc, s24, v17
	v_pack_b32_f16 v31, v31, v36
	v_ldexp_f32 v23, v23, v33
	v_cndmask_b32_e32 v23, 0, v23, vcc
	v_cmp_nlt_f32_e32 vcc, s25, v17
	v_cndmask_b32_e32 v17, v79, v23, vcc
	v_fmac_f32_e32 v16, v102, v17
	v_cvt_f16_f32_e32 v17, v17
	v_sub_f32_e32 v33, v103, v5
	v_mul_u32_u24_e32 v17, 0x10001, v17
	v_pk_mul_f16 v23, v92, v17
	v_sub_f32_e32 v17, v27, v5
	v_mul_f32_e32 v27, 0x3fb8aa3b, v17
	v_fma_f32 v34, v17, s19, -v27
	v_rndne_f32_e32 v35, v27
	v_fmac_f32_e32 v34, 0x32a5705f, v17
	v_sub_f32_e32 v27, v27, v35
	v_add_f32_e32 v27, v27, v34
	v_exp_f32_e32 v27, v27
	v_cvt_i32_f32_e32 v34, v35
	v_cmp_ngt_f32_e32 vcc, s24, v17
	v_ldexp_f32 v27, v27, v34
	v_cndmask_b32_e32 v27, 0, v27, vcc
	v_cmp_nlt_f32_e32 vcc, s25, v17
	v_cndmask_b32_e32 v17, v79, v27, vcc
	v_mul_f32_e32 v27, 0x3fb8aa3b, v24
	v_fma_f32 v35, v24, s19, -v27
	v_rndne_f32_e32 v37, v27
	v_fmac_f32_e32 v35, 0x32a5705f, v24
	v_sub_f32_e32 v27, v27, v37
	v_add_f32_e32 v27, v27, v35
	v_exp_f32_e32 v27, v27
	v_cvt_i32_f32_e32 v35, v37
	v_cmp_ngt_f32_e32 vcc, s24, v24
	v_cvt_f16_f32_e32 v34, v17
	v_ldexp_f32 v27, v27, v35
	v_cndmask_b32_e32 v27, 0, v27, vcc
	v_cmp_nlt_f32_e32 vcc, s25, v24
	v_cndmask_b32_e32 v24, v79, v27, vcc
	v_add_f32_e32 v17, v17, v24
	v_cvt_f16_f32_e32 v37, v24
	v_mul_f32_e32 v24, 0x3fb8aa3b, v33
	v_fma_f32 v27, v33, s19, -v24
	v_rndne_f32_e32 v35, v24
	v_fmac_f32_e32 v27, 0x32a5705f, v33
	v_sub_f32_e32 v24, v24, v35
	v_add_f32_e32 v24, v24, v27
	v_exp_f32_e32 v24, v24
	v_cvt_i32_f32_e32 v27, v35
	v_cmp_ngt_f32_e32 vcc, s24, v33
	v_ldexp_f32 v24, v24, v27
	v_cndmask_b32_e32 v24, 0, v24, vcc
	v_cmp_nlt_f32_e32 vcc, s25, v33
	v_mul_f32_e32 v33, 0x3fb8aa3b, v25
	v_fma_f32 v35, v25, s19, -v33
	v_rndne_f32_e32 v38, v33
	v_fmac_f32_e32 v35, 0x32a5705f, v25
	v_sub_f32_e32 v33, v33, v38
	v_add_f32_e32 v33, v33, v35
	v_exp_f32_e32 v33, v33
	v_cvt_i32_f32_e32 v35, v38
	v_cndmask_b32_e32 v24, v79, v24, vcc
	v_cmp_ngt_f32_e32 vcc, s24, v25
	v_sub_f32_e32 v27, v101, v6
	v_ldexp_f32 v33, v33, v35
	v_mul_f32_e32 v35, 0x3fb8aa3b, v18
	v_fma_f32 v38, v18, s19, -v35
	v_rndne_f32_e32 v39, v35
	v_fmac_f32_e32 v38, 0x32a5705f, v18
	v_sub_f32_e32 v35, v35, v39
	v_add_f32_e32 v35, v35, v38
	v_exp_f32_e32 v35, v35
	v_cvt_i32_f32_e32 v38, v39
	v_cndmask_b32_e32 v33, 0, v33, vcc
	v_cmp_nlt_f32_e32 vcc, s25, v25
	v_cndmask_b32_e32 v25, v79, v33, vcc
	v_ldexp_f32 v35, v35, v38
	v_cmp_ngt_f32_e32 vcc, s24, v18
	v_cndmask_b32_e32 v35, 0, v35, vcc
	v_cmp_nlt_f32_e32 vcc, s25, v18
	v_cndmask_b32_e32 v35, v79, v35, vcc
	v_cvt_f16_f32_e32 v33, v25
	v_add_f32_e32 v18, v25, v35
	v_mul_f32_e32 v25, 0x3fb8aa3b, v27
	v_cvt_f16_f32_e32 v38, v35
	v_fma_f32 v35, v27, s19, -v25
	v_rndne_f32_e32 v39, v25
	v_fmac_f32_e32 v35, 0x32a5705f, v27
	v_sub_f32_e32 v25, v25, v39
	v_add_f32_e32 v25, v25, v35
	v_exp_f32_e32 v25, v25
	v_cvt_i32_f32_e32 v35, v39
	v_cmp_ngt_f32_e32 vcc, s24, v27
	v_pack_b32_f16 v34, v34, v33
	v_pack_b32_f16 v33, v30, v32
	v_ldexp_f32 v25, v25, v35
	v_mul_f32_e32 v35, 0x3fb8aa3b, v26
	v_fma_f32 v39, v26, s19, -v35
	v_rndne_f32_e32 v40, v35
	v_fmac_f32_e32 v39, 0x32a5705f, v26
	v_sub_f32_e32 v35, v35, v40
	v_add_f32_e32 v35, v35, v39
	v_exp_f32_e32 v35, v35
	v_cvt_i32_f32_e32 v39, v40
	v_cndmask_b32_e32 v25, 0, v25, vcc
	v_cmp_nlt_f32_e32 vcc, s25, v27
	v_cndmask_b32_e32 v25, v79, v25, vcc
	v_ldexp_f32 v35, v35, v39
	v_mul_f32_e32 v39, 0x3fb8aa3b, v19
	v_fma_f32 v40, v19, s19, -v39
	v_rndne_f32_e32 v41, v39
	v_fmac_f32_e32 v40, 0x32a5705f, v19
	v_sub_f32_e32 v39, v39, v41
	v_add_f32_e32 v39, v39, v40
	v_exp_f32_e32 v39, v39
	v_cvt_i32_f32_e32 v40, v41
	v_cmp_ngt_f32_e32 vcc, s24, v26
	v_cndmask_b32_e32 v35, 0, v35, vcc
	v_cmp_nlt_f32_e32 vcc, s25, v26
	v_cndmask_b32_e32 v26, v79, v35, vcc
	v_ldexp_f32 v39, v39, v40
	v_cmp_ngt_f32_e32 vcc, s24, v19
	v_cndmask_b32_e32 v39, 0, v39, vcc
	v_cmp_nlt_f32_e32 vcc, s25, v19
	v_sub_f32_e32 v27, v99, v7
	v_cndmask_b32_e32 v39, v79, v39, vcc
	v_cvt_f16_f32_e32 v35, v26
	v_add_f32_e32 v19, v26, v39
	v_mul_f32_e32 v26, 0x3fb8aa3b, v27
	v_fma_f32 v40, v27, s19, -v26
	v_rndne_f32_e32 v41, v26
	v_fmac_f32_e32 v40, 0x32a5705f, v27
	v_sub_f32_e32 v26, v26, v41
	v_add_f32_e32 v26, v26, v40
	v_exp_f32_e32 v26, v26
	v_cvt_i32_f32_e32 v40, v41
	v_cmp_ngt_f32_e32 vcc, s24, v27
	v_cvt_f16_f32_e32 v39, v39
	v_pack_b32_f16 v32, v9, v28
	v_ldexp_f32 v26, v26, v40
	v_mul_f32_e32 v40, 0x3fb8aa3b, v12
	v_fma_f32 v41, v12, s19, -v40
	v_rndne_f32_e32 v42, v40
	v_fmac_f32_e32 v41, 0x32a5705f, v12
	v_sub_f32_e32 v40, v40, v42
	v_add_f32_e32 v40, v40, v41
	v_exp_f32_e32 v40, v40
	v_cvt_i32_f32_e32 v41, v42
	v_cndmask_b32_e32 v26, 0, v26, vcc
	v_cmp_nlt_f32_e32 vcc, s25, v27
	v_cndmask_b32_e32 v26, v79, v26, vcc
	v_ldexp_f32 v40, v40, v41
	v_mul_f32_e32 v41, 0x3fb8aa3b, v10
	v_fma_f32 v42, v10, s19, -v41
	v_rndne_f32_e32 v43, v41
	v_fmac_f32_e32 v42, 0x32a5705f, v10
	v_sub_f32_e32 v41, v41, v43
	v_add_f32_e32 v41, v41, v42
	v_exp_f32_e32 v41, v41
	v_cvt_i32_f32_e32 v42, v43
	v_cmp_ngt_f32_e32 vcc, s24, v12
	v_cndmask_b32_e32 v40, 0, v40, vcc
	v_cmp_nlt_f32_e32 vcc, s25, v12
	v_cndmask_b32_e32 v12, v79, v40, vcc
	v_ldexp_f32 v41, v41, v42
	v_cmp_ngt_f32_e32 vcc, s24, v10
	v_sub_f32_e32 v27, v97, v8
	v_cndmask_b32_e32 v41, 0, v41, vcc
	v_cmp_nlt_f32_e32 vcc, s25, v10
	v_cndmask_b32_e32 v10, v79, v41, vcc
	v_mul_f32_e32 v41, 0x3fb8aa3b, v27
	v_fma_f32 v42, v27, s19, -v41
	v_rndne_f32_e32 v43, v41
	v_fmac_f32_e32 v42, 0x32a5705f, v27
	v_sub_f32_e32 v41, v41, v43
	v_add_f32_e32 v41, v41, v42
	v_exp_f32_e32 v41, v41
	v_cvt_i32_f32_e32 v42, v43
	v_cvt_f16_f32_e32 v40, v12
	v_cmp_ngt_f32_e32 vcc, s24, v27
	v_add_f32_e32 v12, v12, v10
	v_ldexp_f32 v41, v41, v42
	v_cvt_f16_f32_e32 v10, v10
	v_cndmask_b32_e32 v41, 0, v41, vcc
	v_cmp_nlt_f32_e32 vcc, s25, v27
	v_cndmask_b32_e32 v27, v79, v41, vcc
	v_mov_b32_e32 v41, v59
	v_mov_b32_e32 v59, v12
	v_cvt_f16_f32_e32 v12, v27
	v_pack_b32_f16 v35, v35, v40
	ds_write_b128 v80, v[32:35]
	v_pack_b32_f16 v33, v39, v10
	v_add_co_u32_e32 v9, vcc, s8, v57
	v_mov_b32_e32 v10, s9
	v_addc_co_u32_e32 v10, vcc, v10, v58, vcc
	v_mul_u32_u24_e32 v12, 0x10001, v12
	v_pack_b32_f16 v30, v11, v29
	v_add_co_u32_e32 v11, vcc, v9, v77
	v_fmac_f32_e32 v59, v41, v27
	v_pk_mul_f16 v27, v88, v12
	v_pack_b32_f16 v32, v37, v38
	v_addc_co_u32_e32 v12, vcc, 0, v10, vcc
	ds_write_b128 v80, v[30:33] offset:512
	global_load_dwordx4 v[28:31], v[11:12], off
	v_add_co_u32_e32 v9, vcc, s8, v47
	buffer_load_dword v11, off, s[44:47], 0 offset:16 ; 4-byte Folded Reload
	v_mov_b32_e32 v10, s9
	v_addc_co_u32_e32 v10, vcc, v10, v48, vcc
	v_add_co_u32_e32 v9, vcc, v9, v77
	v_addc_co_u32_e32 v10, vcc, 0, v10, vcc
	v_fmac_f32_e32 v17, v100, v24
	v_cvt_f16_f32_e32 v24, v24
	v_fmac_f32_e32 v18, v98, v25
	v_cvt_f16_f32_e32 v25, v25
	v_fmac_f32_e32 v19, v96, v26
	v_mul_u32_u24_e32 v24, 0x10001, v24
	v_cvt_f16_f32_e32 v26, v26
	v_mul_u32_u24_e32 v25, 0x10001, v25
	v_pk_mul_f16 v24, v91, v24
	v_pk_mul_f16 v25, v90, v25
	v_mul_u32_u24_e32 v26, 0x10001, v26
	v_pk_mul_f16 v26, v89, v26
	s_waitcnt vmcnt(0)
	ds_write_b128 v11, v[28:31]
	global_load_dwordx4 v[9:12], v[9:10], off
	s_nop 0
	buffer_load_dword v28, off, s[44:47], 0 offset:20 ; 4-byte Folded Reload
	s_waitcnt vmcnt(0)
	ds_write_b128 v28, v[9:12]
	s_waitcnt lgkmcnt(0)
	s_barrier
	ds_read2_b32 v[40:41], v67 offset1:32
	ds_read_b128 v[9:12], v74
	ds_read_b128 v[28:31], v74 offset:16
	ds_read_b128 v[32:35], v74 offset:32
	;; [unrolled: 1-line block ×3, first 2 shown]
	s_waitcnt lgkmcnt(3)
	v_mul_u32_u24_sdwa v42, v9, s26 dst_sel:DWORD dst_unused:UNUSED_PAD src0_sel:WORD_0 src1_sel:DWORD
	v_mul_u32_u24_sdwa v9, v9, s26 dst_sel:DWORD dst_unused:UNUSED_PAD src0_sel:WORD_1 src1_sel:DWORD
	v_mul_u32_u24_sdwa v43, v10, s26 dst_sel:DWORD dst_unused:UNUSED_PAD src0_sel:WORD_0 src1_sel:DWORD
	v_mul_u32_u24_sdwa v10, v10, s26 dst_sel:DWORD dst_unused:UNUSED_PAD src0_sel:WORD_1 src1_sel:DWORD
	;; [unrolled: 2-line block ×4, first 2 shown]
	v_pk_fma_f16 v20, v40, v42, v20
	v_pk_fma_f16 v9, v40, v9, v21
	;; [unrolled: 1-line block ×7, first 2 shown]
	s_waitcnt lgkmcnt(2)
	v_mul_u32_u24_sdwa v24, v28, s26 dst_sel:DWORD dst_unused:UNUSED_PAD src0_sel:WORD_0 src1_sel:DWORD
	v_mul_u32_u24_sdwa v25, v28, s26 dst_sel:DWORD dst_unused:UNUSED_PAD src0_sel:WORD_1 src1_sel:DWORD
	v_mul_u32_u24_sdwa v27, v29, s26 dst_sel:DWORD dst_unused:UNUSED_PAD src0_sel:WORD_1 src1_sel:DWORD
	v_pk_fma_f16 v20, v41, v24, v20
	v_pk_fma_f16 v24, v41, v25, v9
	;; [unrolled: 1-line block ×3, first 2 shown]
	ds_read2_b32 v[9:10], v67 offset0:64 offset1:96
	v_pk_fma_f16 v23, v40, v45, v26
	v_mul_u32_u24_sdwa v26, v29, s26 dst_sel:DWORD dst_unused:UNUSED_PAD src0_sel:WORD_0 src1_sel:DWORD
	v_mul_u32_u24_sdwa v28, v30, s26 dst_sel:DWORD dst_unused:UNUSED_PAD src0_sel:WORD_0 src1_sel:DWORD
	v_mul_u32_u24_sdwa v29, v30, s26 dst_sel:DWORD dst_unused:UNUSED_PAD src0_sel:WORD_1 src1_sel:DWORD
	v_mul_u32_u24_sdwa v30, v31, s26 dst_sel:DWORD dst_unused:UNUSED_PAD src0_sel:WORD_0 src1_sel:DWORD
	v_mul_u32_u24_sdwa v31, v31, s26 dst_sel:DWORD dst_unused:UNUSED_PAD src0_sel:WORD_1 src1_sel:DWORD
	v_pk_fma_f16 v21, v41, v26, v21
	v_pk_fma_f16 v22, v41, v28, v22
	;; [unrolled: 1-line block ×5, first 2 shown]
	s_waitcnt lgkmcnt(2)
	v_mul_u32_u24_sdwa v26, v32, s26 dst_sel:DWORD dst_unused:UNUSED_PAD src0_sel:WORD_0 src1_sel:DWORD
	v_mul_u32_u24_sdwa v27, v32, s26 dst_sel:DWORD dst_unused:UNUSED_PAD src0_sel:WORD_1 src1_sel:DWORD
	v_mul_u32_u24_sdwa v28, v33, s26 dst_sel:DWORD dst_unused:UNUSED_PAD src0_sel:WORD_0 src1_sel:DWORD
	v_mul_u32_u24_sdwa v29, v33, s26 dst_sel:DWORD dst_unused:UNUSED_PAD src0_sel:WORD_1 src1_sel:DWORD
	;; [unrolled: 2-line block ×4, first 2 shown]
	s_waitcnt lgkmcnt(0)
	v_pk_fma_f16 v20, v9, v26, v20
	v_pk_fma_f16 v24, v9, v27, v24
	;; [unrolled: 1-line block ×8, first 2 shown]
	v_mul_u32_u24_sdwa v12, v36, s26 dst_sel:DWORD dst_unused:UNUSED_PAD src0_sel:WORD_0 src1_sel:DWORD
	v_mul_u32_u24_sdwa v26, v36, s26 dst_sel:DWORD dst_unused:UNUSED_PAD src0_sel:WORD_1 src1_sel:DWORD
	v_mul_u32_u24_sdwa v27, v37, s26 dst_sel:DWORD dst_unused:UNUSED_PAD src0_sel:WORD_0 src1_sel:DWORD
	v_mul_u32_u24_sdwa v28, v37, s26 dst_sel:DWORD dst_unused:UNUSED_PAD src0_sel:WORD_1 src1_sel:DWORD
	;; [unrolled: 2-line block ×4, first 2 shown]
	v_pk_fma_f16 v33, v10, v12, v20
	v_pk_fma_f16 v24, v10, v26, v24
	;; [unrolled: 1-line block ×8, first 2 shown]
	ds_read2_b32 v[20:21], v67 offset0:128 offset1:160
	ds_read_b128 v[9:12], v74 offset:64
	v_add_u32_e32 v34, 0x400, v67
	s_waitcnt lgkmcnt(0)
	v_mul_u32_u24_sdwa v29, v9, s26 dst_sel:DWORD dst_unused:UNUSED_PAD src0_sel:WORD_0 src1_sel:DWORD
	v_mul_u32_u24_sdwa v9, v9, s26 dst_sel:DWORD dst_unused:UNUSED_PAD src0_sel:WORD_1 src1_sel:DWORD
	v_mul_u32_u24_sdwa v30, v10, s26 dst_sel:DWORD dst_unused:UNUSED_PAD src0_sel:WORD_0 src1_sel:DWORD
	v_mul_u32_u24_sdwa v10, v10, s26 dst_sel:DWORD dst_unused:UNUSED_PAD src0_sel:WORD_1 src1_sel:DWORD
	;; [unrolled: 2-line block ×4, first 2 shown]
	v_pk_fma_f16 v29, v20, v29, v33
	v_pk_fma_f16 v24, v20, v9, v24
	;; [unrolled: 1-line block ×8, first 2 shown]
	ds_read_b128 v[9:12], v74 offset:80
	s_waitcnt lgkmcnt(0)
	v_mul_u32_u24_sdwa v28, v9, s26 dst_sel:DWORD dst_unused:UNUSED_PAD src0_sel:WORD_0 src1_sel:DWORD
	v_mul_u32_u24_sdwa v9, v9, s26 dst_sel:DWORD dst_unused:UNUSED_PAD src0_sel:WORD_1 src1_sel:DWORD
	v_mul_u32_u24_sdwa v30, v10, s26 dst_sel:DWORD dst_unused:UNUSED_PAD src0_sel:WORD_0 src1_sel:DWORD
	v_mul_u32_u24_sdwa v10, v10, s26 dst_sel:DWORD dst_unused:UNUSED_PAD src0_sel:WORD_1 src1_sel:DWORD
	;; [unrolled: 2-line block ×4, first 2 shown]
	v_pk_fma_f16 v28, v21, v28, v29
	v_pk_fma_f16 v24, v21, v9, v24
	;; [unrolled: 1-line block ×8, first 2 shown]
	ds_read2_b32 v[20:21], v67 offset0:192 offset1:224
	ds_read_b128 v[9:12], v74 offset:96
	s_waitcnt lgkmcnt(0)
	v_mul_u32_u24_sdwa v30, v9, s26 dst_sel:DWORD dst_unused:UNUSED_PAD src0_sel:WORD_0 src1_sel:DWORD
	v_mul_u32_u24_sdwa v9, v9, s26 dst_sel:DWORD dst_unused:UNUSED_PAD src0_sel:WORD_1 src1_sel:DWORD
	v_mul_u32_u24_sdwa v31, v10, s26 dst_sel:DWORD dst_unused:UNUSED_PAD src0_sel:WORD_0 src1_sel:DWORD
	v_mul_u32_u24_sdwa v10, v10, s26 dst_sel:DWORD dst_unused:UNUSED_PAD src0_sel:WORD_1 src1_sel:DWORD
	;; [unrolled: 2-line block ×4, first 2 shown]
	v_pk_fma_f16 v28, v20, v30, v28
	v_pk_fma_f16 v24, v20, v9, v24
	;; [unrolled: 1-line block ×8, first 2 shown]
	ds_read_b128 v[9:12], v74 offset:112
	s_waitcnt lgkmcnt(0)
	v_mul_u32_u24_sdwa v29, v9, s26 dst_sel:DWORD dst_unused:UNUSED_PAD src0_sel:WORD_0 src1_sel:DWORD
	v_mul_u32_u24_sdwa v9, v9, s26 dst_sel:DWORD dst_unused:UNUSED_PAD src0_sel:WORD_1 src1_sel:DWORD
	v_mul_u32_u24_sdwa v30, v10, s26 dst_sel:DWORD dst_unused:UNUSED_PAD src0_sel:WORD_0 src1_sel:DWORD
	v_mul_u32_u24_sdwa v10, v10, s26 dst_sel:DWORD dst_unused:UNUSED_PAD src0_sel:WORD_1 src1_sel:DWORD
	;; [unrolled: 2-line block ×4, first 2 shown]
	v_pk_fma_f16 v28, v21, v29, v28
	v_pk_fma_f16 v24, v21, v9, v24
	;; [unrolled: 1-line block ×8, first 2 shown]
	ds_read2_b32 v[20:21], v34 offset1:32
	ds_read_b128 v[9:12], v74 offset:128
	s_waitcnt lgkmcnt(0)
	v_mul_u32_u24_sdwa v30, v9, s26 dst_sel:DWORD dst_unused:UNUSED_PAD src0_sel:WORD_0 src1_sel:DWORD
	v_mul_u32_u24_sdwa v9, v9, s26 dst_sel:DWORD dst_unused:UNUSED_PAD src0_sel:WORD_1 src1_sel:DWORD
	v_mul_u32_u24_sdwa v31, v10, s26 dst_sel:DWORD dst_unused:UNUSED_PAD src0_sel:WORD_0 src1_sel:DWORD
	v_mul_u32_u24_sdwa v10, v10, s26 dst_sel:DWORD dst_unused:UNUSED_PAD src0_sel:WORD_1 src1_sel:DWORD
	v_mul_u32_u24_sdwa v32, v11, s26 dst_sel:DWORD dst_unused:UNUSED_PAD src0_sel:WORD_0 src1_sel:DWORD
	v_mul_u32_u24_sdwa v11, v11, s26 dst_sel:DWORD dst_unused:UNUSED_PAD src0_sel:WORD_1 src1_sel:DWORD
	v_mul_u32_u24_sdwa v33, v12, s26 dst_sel:DWORD dst_unused:UNUSED_PAD src0_sel:WORD_0 src1_sel:DWORD
	v_mul_u32_u24_sdwa v12, v12, s26 dst_sel:DWORD dst_unused:UNUSED_PAD src0_sel:WORD_1 src1_sel:DWORD
	v_pk_fma_f16 v28, v20, v30, v28
	v_pk_fma_f16 v24, v20, v9, v24
	v_pk_fma_f16 v26, v20, v31, v26
	v_pk_fma_f16 v25, v20, v10, v25
	v_pk_fma_f16 v22, v20, v32, v22
	v_pk_fma_f16 v27, v20, v11, v27
	v_pk_fma_f16 v23, v20, v33, v23
	v_pk_fma_f16 v20, v20, v12, v29
	ds_read_b128 v[9:12], v74 offset:144
	s_waitcnt lgkmcnt(0)
	v_mul_u32_u24_sdwa v29, v9, s26 dst_sel:DWORD dst_unused:UNUSED_PAD src0_sel:WORD_0 src1_sel:DWORD
	v_mul_u32_u24_sdwa v9, v9, s26 dst_sel:DWORD dst_unused:UNUSED_PAD src0_sel:WORD_1 src1_sel:DWORD
	v_mul_u32_u24_sdwa v30, v10, s26 dst_sel:DWORD dst_unused:UNUSED_PAD src0_sel:WORD_0 src1_sel:DWORD
	v_mul_u32_u24_sdwa v10, v10, s26 dst_sel:DWORD dst_unused:UNUSED_PAD src0_sel:WORD_1 src1_sel:DWORD
	v_mul_u32_u24_sdwa v31, v11, s26 dst_sel:DWORD dst_unused:UNUSED_PAD src0_sel:WORD_0 src1_sel:DWORD
	v_mul_u32_u24_sdwa v11, v11, s26 dst_sel:DWORD dst_unused:UNUSED_PAD src0_sel:WORD_1 src1_sel:DWORD
	v_mul_u32_u24_sdwa v32, v12, s26 dst_sel:DWORD dst_unused:UNUSED_PAD src0_sel:WORD_0 src1_sel:DWORD
	v_mul_u32_u24_sdwa v12, v12, s26 dst_sel:DWORD dst_unused:UNUSED_PAD src0_sel:WORD_1 src1_sel:DWORD
	v_pk_fma_f16 v28, v21, v29, v28
	v_pk_fma_f16 v24, v21, v9, v24
	v_pk_fma_f16 v26, v21, v30, v26
	v_pk_fma_f16 v25, v21, v10, v25
	v_pk_fma_f16 v22, v21, v31, v22
	v_pk_fma_f16 v27, v21, v11, v27
	v_pk_fma_f16 v23, v21, v32, v23
	v_pk_fma_f16 v29, v21, v12, v20
	ds_read2_b32 v[20:21], v34 offset0:64 offset1:96
	ds_read_b128 v[9:12], v74 offset:160
	s_waitcnt lgkmcnt(0)
	v_mul_u32_u24_sdwa v30, v9, s26 dst_sel:DWORD dst_unused:UNUSED_PAD src0_sel:WORD_0 src1_sel:DWORD
	v_mul_u32_u24_sdwa v9, v9, s26 dst_sel:DWORD dst_unused:UNUSED_PAD src0_sel:WORD_1 src1_sel:DWORD
	v_mul_u32_u24_sdwa v31, v10, s26 dst_sel:DWORD dst_unused:UNUSED_PAD src0_sel:WORD_0 src1_sel:DWORD
	v_mul_u32_u24_sdwa v10, v10, s26 dst_sel:DWORD dst_unused:UNUSED_PAD src0_sel:WORD_1 src1_sel:DWORD
	v_mul_u32_u24_sdwa v32, v11, s26 dst_sel:DWORD dst_unused:UNUSED_PAD src0_sel:WORD_0 src1_sel:DWORD
	v_mul_u32_u24_sdwa v11, v11, s26 dst_sel:DWORD dst_unused:UNUSED_PAD src0_sel:WORD_1 src1_sel:DWORD
	v_mul_u32_u24_sdwa v33, v12, s26 dst_sel:DWORD dst_unused:UNUSED_PAD src0_sel:WORD_0 src1_sel:DWORD
	v_mul_u32_u24_sdwa v12, v12, s26 dst_sel:DWORD dst_unused:UNUSED_PAD src0_sel:WORD_1 src1_sel:DWORD
	v_pk_fma_f16 v28, v20, v30, v28
	v_pk_fma_f16 v24, v20, v9, v24
	v_pk_fma_f16 v26, v20, v31, v26
	v_pk_fma_f16 v25, v20, v10, v25
	v_pk_fma_f16 v22, v20, v32, v22
	v_pk_fma_f16 v27, v20, v11, v27
	v_pk_fma_f16 v23, v20, v33, v23
	v_pk_fma_f16 v20, v20, v12, v29
	ds_read_b128 v[9:12], v74 offset:176
	s_waitcnt lgkmcnt(0)
	v_mul_u32_u24_sdwa v29, v9, s26 dst_sel:DWORD dst_unused:UNUSED_PAD src0_sel:WORD_0 src1_sel:DWORD
	v_mul_u32_u24_sdwa v9, v9, s26 dst_sel:DWORD dst_unused:UNUSED_PAD src0_sel:WORD_1 src1_sel:DWORD
	v_mul_u32_u24_sdwa v30, v10, s26 dst_sel:DWORD dst_unused:UNUSED_PAD src0_sel:WORD_0 src1_sel:DWORD
	v_mul_u32_u24_sdwa v10, v10, s26 dst_sel:DWORD dst_unused:UNUSED_PAD src0_sel:WORD_1 src1_sel:DWORD
	v_mul_u32_u24_sdwa v31, v11, s26 dst_sel:DWORD dst_unused:UNUSED_PAD src0_sel:WORD_0 src1_sel:DWORD
	v_mul_u32_u24_sdwa v11, v11, s26 dst_sel:DWORD dst_unused:UNUSED_PAD src0_sel:WORD_1 src1_sel:DWORD
	v_mul_u32_u24_sdwa v32, v12, s26 dst_sel:DWORD dst_unused:UNUSED_PAD src0_sel:WORD_0 src1_sel:DWORD
	v_mul_u32_u24_sdwa v12, v12, s26 dst_sel:DWORD dst_unused:UNUSED_PAD src0_sel:WORD_1 src1_sel:DWORD
	v_pk_fma_f16 v28, v21, v29, v28
	v_pk_fma_f16 v24, v21, v9, v24
	v_pk_fma_f16 v26, v21, v30, v26
	v_pk_fma_f16 v25, v21, v10, v25
	v_pk_fma_f16 v22, v21, v31, v22
	v_pk_fma_f16 v27, v21, v11, v27
	v_pk_fma_f16 v23, v21, v32, v23
	v_pk_fma_f16 v29, v21, v12, v20
	ds_read2_b32 v[20:21], v34 offset0:128 offset1:160
	;; [unrolled: 37-line block ×3, first 2 shown]
	ds_read_b128 v[9:12], v74 offset:224
	v_add_u32_e32 v34, 0x800, v67
	s_waitcnt lgkmcnt(0)
	v_mul_u32_u24_sdwa v30, v9, s26 dst_sel:DWORD dst_unused:UNUSED_PAD src0_sel:WORD_0 src1_sel:DWORD
	v_mul_u32_u24_sdwa v9, v9, s26 dst_sel:DWORD dst_unused:UNUSED_PAD src0_sel:WORD_1 src1_sel:DWORD
	v_mul_u32_u24_sdwa v31, v10, s26 dst_sel:DWORD dst_unused:UNUSED_PAD src0_sel:WORD_0 src1_sel:DWORD
	v_mul_u32_u24_sdwa v10, v10, s26 dst_sel:DWORD dst_unused:UNUSED_PAD src0_sel:WORD_1 src1_sel:DWORD
	;; [unrolled: 2-line block ×4, first 2 shown]
	v_pk_fma_f16 v28, v20, v30, v28
	v_pk_fma_f16 v24, v20, v9, v24
	;; [unrolled: 1-line block ×8, first 2 shown]
	ds_read_b128 v[9:12], v74 offset:240
	s_waitcnt lgkmcnt(0)
	v_mul_u32_u24_sdwa v29, v9, s26 dst_sel:DWORD dst_unused:UNUSED_PAD src0_sel:WORD_0 src1_sel:DWORD
	v_mul_u32_u24_sdwa v9, v9, s26 dst_sel:DWORD dst_unused:UNUSED_PAD src0_sel:WORD_1 src1_sel:DWORD
	v_mul_u32_u24_sdwa v30, v10, s26 dst_sel:DWORD dst_unused:UNUSED_PAD src0_sel:WORD_0 src1_sel:DWORD
	v_mul_u32_u24_sdwa v10, v10, s26 dst_sel:DWORD dst_unused:UNUSED_PAD src0_sel:WORD_1 src1_sel:DWORD
	v_mul_u32_u24_sdwa v31, v11, s26 dst_sel:DWORD dst_unused:UNUSED_PAD src0_sel:WORD_0 src1_sel:DWORD
	v_mul_u32_u24_sdwa v11, v11, s26 dst_sel:DWORD dst_unused:UNUSED_PAD src0_sel:WORD_1 src1_sel:DWORD
	v_mul_u32_u24_sdwa v32, v12, s26 dst_sel:DWORD dst_unused:UNUSED_PAD src0_sel:WORD_0 src1_sel:DWORD
	v_mul_u32_u24_sdwa v12, v12, s26 dst_sel:DWORD dst_unused:UNUSED_PAD src0_sel:WORD_1 src1_sel:DWORD
	v_pk_fma_f16 v28, v21, v29, v28
	v_pk_fma_f16 v24, v21, v9, v24
	;; [unrolled: 1-line block ×8, first 2 shown]
	ds_read2_b32 v[20:21], v34 offset1:32
	ds_read_b128 v[9:12], v74 offset:256
	s_waitcnt lgkmcnt(0)
	v_mul_u32_u24_sdwa v30, v9, s26 dst_sel:DWORD dst_unused:UNUSED_PAD src0_sel:WORD_0 src1_sel:DWORD
	v_mul_u32_u24_sdwa v9, v9, s26 dst_sel:DWORD dst_unused:UNUSED_PAD src0_sel:WORD_1 src1_sel:DWORD
	v_mul_u32_u24_sdwa v31, v10, s26 dst_sel:DWORD dst_unused:UNUSED_PAD src0_sel:WORD_0 src1_sel:DWORD
	v_mul_u32_u24_sdwa v10, v10, s26 dst_sel:DWORD dst_unused:UNUSED_PAD src0_sel:WORD_1 src1_sel:DWORD
	v_mul_u32_u24_sdwa v32, v11, s26 dst_sel:DWORD dst_unused:UNUSED_PAD src0_sel:WORD_0 src1_sel:DWORD
	v_mul_u32_u24_sdwa v11, v11, s26 dst_sel:DWORD dst_unused:UNUSED_PAD src0_sel:WORD_1 src1_sel:DWORD
	v_mul_u32_u24_sdwa v33, v12, s26 dst_sel:DWORD dst_unused:UNUSED_PAD src0_sel:WORD_0 src1_sel:DWORD
	v_mul_u32_u24_sdwa v12, v12, s26 dst_sel:DWORD dst_unused:UNUSED_PAD src0_sel:WORD_1 src1_sel:DWORD
	v_pk_fma_f16 v28, v20, v30, v28
	v_pk_fma_f16 v24, v20, v9, v24
	v_pk_fma_f16 v26, v20, v31, v26
	v_pk_fma_f16 v25, v20, v10, v25
	v_pk_fma_f16 v22, v20, v32, v22
	v_pk_fma_f16 v27, v20, v11, v27
	v_pk_fma_f16 v23, v20, v33, v23
	v_pk_fma_f16 v20, v20, v12, v29
	ds_read_b128 v[9:12], v74 offset:272
	s_waitcnt lgkmcnt(0)
	v_mul_u32_u24_sdwa v29, v9, s26 dst_sel:DWORD dst_unused:UNUSED_PAD src0_sel:WORD_0 src1_sel:DWORD
	v_mul_u32_u24_sdwa v9, v9, s26 dst_sel:DWORD dst_unused:UNUSED_PAD src0_sel:WORD_1 src1_sel:DWORD
	v_mul_u32_u24_sdwa v30, v10, s26 dst_sel:DWORD dst_unused:UNUSED_PAD src0_sel:WORD_0 src1_sel:DWORD
	v_mul_u32_u24_sdwa v10, v10, s26 dst_sel:DWORD dst_unused:UNUSED_PAD src0_sel:WORD_1 src1_sel:DWORD
	v_mul_u32_u24_sdwa v31, v11, s26 dst_sel:DWORD dst_unused:UNUSED_PAD src0_sel:WORD_0 src1_sel:DWORD
	v_mul_u32_u24_sdwa v11, v11, s26 dst_sel:DWORD dst_unused:UNUSED_PAD src0_sel:WORD_1 src1_sel:DWORD
	v_mul_u32_u24_sdwa v32, v12, s26 dst_sel:DWORD dst_unused:UNUSED_PAD src0_sel:WORD_0 src1_sel:DWORD
	v_mul_u32_u24_sdwa v12, v12, s26 dst_sel:DWORD dst_unused:UNUSED_PAD src0_sel:WORD_1 src1_sel:DWORD
	v_pk_fma_f16 v28, v21, v29, v28
	v_pk_fma_f16 v24, v21, v9, v24
	v_pk_fma_f16 v26, v21, v30, v26
	v_pk_fma_f16 v25, v21, v10, v25
	v_pk_fma_f16 v22, v21, v31, v22
	v_pk_fma_f16 v27, v21, v11, v27
	v_pk_fma_f16 v23, v21, v32, v23
	v_pk_fma_f16 v29, v21, v12, v20
	ds_read2_b32 v[20:21], v34 offset0:64 offset1:96
	ds_read_b128 v[9:12], v74 offset:288
	s_waitcnt lgkmcnt(0)
	v_mul_u32_u24_sdwa v30, v9, s26 dst_sel:DWORD dst_unused:UNUSED_PAD src0_sel:WORD_0 src1_sel:DWORD
	v_mul_u32_u24_sdwa v9, v9, s26 dst_sel:DWORD dst_unused:UNUSED_PAD src0_sel:WORD_1 src1_sel:DWORD
	v_mul_u32_u24_sdwa v31, v10, s26 dst_sel:DWORD dst_unused:UNUSED_PAD src0_sel:WORD_0 src1_sel:DWORD
	v_mul_u32_u24_sdwa v10, v10, s26 dst_sel:DWORD dst_unused:UNUSED_PAD src0_sel:WORD_1 src1_sel:DWORD
	v_mul_u32_u24_sdwa v32, v11, s26 dst_sel:DWORD dst_unused:UNUSED_PAD src0_sel:WORD_0 src1_sel:DWORD
	v_mul_u32_u24_sdwa v11, v11, s26 dst_sel:DWORD dst_unused:UNUSED_PAD src0_sel:WORD_1 src1_sel:DWORD
	v_mul_u32_u24_sdwa v33, v12, s26 dst_sel:DWORD dst_unused:UNUSED_PAD src0_sel:WORD_0 src1_sel:DWORD
	v_mul_u32_u24_sdwa v12, v12, s26 dst_sel:DWORD dst_unused:UNUSED_PAD src0_sel:WORD_1 src1_sel:DWORD
	v_pk_fma_f16 v28, v20, v30, v28
	v_pk_fma_f16 v24, v20, v9, v24
	v_pk_fma_f16 v26, v20, v31, v26
	v_pk_fma_f16 v25, v20, v10, v25
	v_pk_fma_f16 v22, v20, v32, v22
	v_pk_fma_f16 v27, v20, v11, v27
	v_pk_fma_f16 v23, v20, v33, v23
	v_pk_fma_f16 v20, v20, v12, v29
	ds_read_b128 v[9:12], v74 offset:304
	s_waitcnt lgkmcnt(0)
	v_mul_u32_u24_sdwa v29, v9, s26 dst_sel:DWORD dst_unused:UNUSED_PAD src0_sel:WORD_0 src1_sel:DWORD
	v_mul_u32_u24_sdwa v9, v9, s26 dst_sel:DWORD dst_unused:UNUSED_PAD src0_sel:WORD_1 src1_sel:DWORD
	v_mul_u32_u24_sdwa v30, v10, s26 dst_sel:DWORD dst_unused:UNUSED_PAD src0_sel:WORD_0 src1_sel:DWORD
	v_mul_u32_u24_sdwa v10, v10, s26 dst_sel:DWORD dst_unused:UNUSED_PAD src0_sel:WORD_1 src1_sel:DWORD
	v_mul_u32_u24_sdwa v31, v11, s26 dst_sel:DWORD dst_unused:UNUSED_PAD src0_sel:WORD_0 src1_sel:DWORD
	v_mul_u32_u24_sdwa v11, v11, s26 dst_sel:DWORD dst_unused:UNUSED_PAD src0_sel:WORD_1 src1_sel:DWORD
	v_mul_u32_u24_sdwa v32, v12, s26 dst_sel:DWORD dst_unused:UNUSED_PAD src0_sel:WORD_0 src1_sel:DWORD
	v_mul_u32_u24_sdwa v12, v12, s26 dst_sel:DWORD dst_unused:UNUSED_PAD src0_sel:WORD_1 src1_sel:DWORD
	v_pk_fma_f16 v28, v21, v29, v28
	v_pk_fma_f16 v24, v21, v9, v24
	v_pk_fma_f16 v26, v21, v30, v26
	v_pk_fma_f16 v25, v21, v10, v25
	v_pk_fma_f16 v22, v21, v31, v22
	v_pk_fma_f16 v27, v21, v11, v27
	v_pk_fma_f16 v23, v21, v32, v23
	v_pk_fma_f16 v29, v21, v12, v20
	ds_read2_b32 v[20:21], v34 offset0:128 offset1:160
	;; [unrolled: 37-line block ×3, first 2 shown]
	ds_read_b128 v[9:12], v74 offset:352
	v_add_u32_e32 v34, 0xc00, v67
	s_waitcnt lgkmcnt(0)
	v_mul_u32_u24_sdwa v30, v9, s26 dst_sel:DWORD dst_unused:UNUSED_PAD src0_sel:WORD_0 src1_sel:DWORD
	v_mul_u32_u24_sdwa v9, v9, s26 dst_sel:DWORD dst_unused:UNUSED_PAD src0_sel:WORD_1 src1_sel:DWORD
	v_mul_u32_u24_sdwa v31, v10, s26 dst_sel:DWORD dst_unused:UNUSED_PAD src0_sel:WORD_0 src1_sel:DWORD
	v_mul_u32_u24_sdwa v10, v10, s26 dst_sel:DWORD dst_unused:UNUSED_PAD src0_sel:WORD_1 src1_sel:DWORD
	;; [unrolled: 2-line block ×4, first 2 shown]
	v_pk_fma_f16 v28, v20, v30, v28
	v_pk_fma_f16 v24, v20, v9, v24
	;; [unrolled: 1-line block ×8, first 2 shown]
	ds_read_b128 v[9:12], v74 offset:368
	s_waitcnt lgkmcnt(0)
	v_mul_u32_u24_sdwa v29, v9, s26 dst_sel:DWORD dst_unused:UNUSED_PAD src0_sel:WORD_0 src1_sel:DWORD
	v_mul_u32_u24_sdwa v9, v9, s26 dst_sel:DWORD dst_unused:UNUSED_PAD src0_sel:WORD_1 src1_sel:DWORD
	v_mul_u32_u24_sdwa v30, v10, s26 dst_sel:DWORD dst_unused:UNUSED_PAD src0_sel:WORD_0 src1_sel:DWORD
	v_mul_u32_u24_sdwa v10, v10, s26 dst_sel:DWORD dst_unused:UNUSED_PAD src0_sel:WORD_1 src1_sel:DWORD
	;; [unrolled: 2-line block ×4, first 2 shown]
	v_pk_fma_f16 v28, v21, v29, v28
	v_pk_fma_f16 v24, v21, v9, v24
	;; [unrolled: 1-line block ×8, first 2 shown]
	ds_read2_b32 v[20:21], v34 offset1:32
	ds_read_b128 v[9:12], v74 offset:384
	s_waitcnt lgkmcnt(0)
	v_mul_u32_u24_sdwa v30, v9, s26 dst_sel:DWORD dst_unused:UNUSED_PAD src0_sel:WORD_0 src1_sel:DWORD
	v_mul_u32_u24_sdwa v9, v9, s26 dst_sel:DWORD dst_unused:UNUSED_PAD src0_sel:WORD_1 src1_sel:DWORD
	v_mul_u32_u24_sdwa v31, v10, s26 dst_sel:DWORD dst_unused:UNUSED_PAD src0_sel:WORD_0 src1_sel:DWORD
	v_mul_u32_u24_sdwa v10, v10, s26 dst_sel:DWORD dst_unused:UNUSED_PAD src0_sel:WORD_1 src1_sel:DWORD
	v_mul_u32_u24_sdwa v32, v11, s26 dst_sel:DWORD dst_unused:UNUSED_PAD src0_sel:WORD_0 src1_sel:DWORD
	v_mul_u32_u24_sdwa v11, v11, s26 dst_sel:DWORD dst_unused:UNUSED_PAD src0_sel:WORD_1 src1_sel:DWORD
	v_mul_u32_u24_sdwa v33, v12, s26 dst_sel:DWORD dst_unused:UNUSED_PAD src0_sel:WORD_0 src1_sel:DWORD
	v_mul_u32_u24_sdwa v12, v12, s26 dst_sel:DWORD dst_unused:UNUSED_PAD src0_sel:WORD_1 src1_sel:DWORD
	v_pk_fma_f16 v28, v20, v30, v28
	v_pk_fma_f16 v24, v20, v9, v24
	v_pk_fma_f16 v26, v20, v31, v26
	v_pk_fma_f16 v25, v20, v10, v25
	v_pk_fma_f16 v22, v20, v32, v22
	v_pk_fma_f16 v27, v20, v11, v27
	v_pk_fma_f16 v23, v20, v33, v23
	v_pk_fma_f16 v20, v20, v12, v29
	ds_read_b128 v[9:12], v74 offset:400
	s_waitcnt lgkmcnt(0)
	v_mul_u32_u24_sdwa v29, v9, s26 dst_sel:DWORD dst_unused:UNUSED_PAD src0_sel:WORD_0 src1_sel:DWORD
	v_mul_u32_u24_sdwa v9, v9, s26 dst_sel:DWORD dst_unused:UNUSED_PAD src0_sel:WORD_1 src1_sel:DWORD
	v_mul_u32_u24_sdwa v30, v10, s26 dst_sel:DWORD dst_unused:UNUSED_PAD src0_sel:WORD_0 src1_sel:DWORD
	v_mul_u32_u24_sdwa v10, v10, s26 dst_sel:DWORD dst_unused:UNUSED_PAD src0_sel:WORD_1 src1_sel:DWORD
	v_mul_u32_u24_sdwa v31, v11, s26 dst_sel:DWORD dst_unused:UNUSED_PAD src0_sel:WORD_0 src1_sel:DWORD
	v_mul_u32_u24_sdwa v11, v11, s26 dst_sel:DWORD dst_unused:UNUSED_PAD src0_sel:WORD_1 src1_sel:DWORD
	v_mul_u32_u24_sdwa v32, v12, s26 dst_sel:DWORD dst_unused:UNUSED_PAD src0_sel:WORD_0 src1_sel:DWORD
	v_mul_u32_u24_sdwa v12, v12, s26 dst_sel:DWORD dst_unused:UNUSED_PAD src0_sel:WORD_1 src1_sel:DWORD
	v_pk_fma_f16 v28, v21, v29, v28
	v_pk_fma_f16 v24, v21, v9, v24
	v_pk_fma_f16 v26, v21, v30, v26
	v_pk_fma_f16 v25, v21, v10, v25
	v_pk_fma_f16 v22, v21, v31, v22
	v_pk_fma_f16 v27, v21, v11, v27
	v_pk_fma_f16 v23, v21, v32, v23
	v_pk_fma_f16 v29, v21, v12, v20
	ds_read2_b32 v[20:21], v34 offset0:64 offset1:96
	ds_read_b128 v[9:12], v74 offset:416
	s_waitcnt lgkmcnt(0)
	v_mul_u32_u24_sdwa v30, v9, s26 dst_sel:DWORD dst_unused:UNUSED_PAD src0_sel:WORD_0 src1_sel:DWORD
	v_mul_u32_u24_sdwa v9, v9, s26 dst_sel:DWORD dst_unused:UNUSED_PAD src0_sel:WORD_1 src1_sel:DWORD
	v_mul_u32_u24_sdwa v31, v10, s26 dst_sel:DWORD dst_unused:UNUSED_PAD src0_sel:WORD_0 src1_sel:DWORD
	v_mul_u32_u24_sdwa v10, v10, s26 dst_sel:DWORD dst_unused:UNUSED_PAD src0_sel:WORD_1 src1_sel:DWORD
	v_mul_u32_u24_sdwa v32, v11, s26 dst_sel:DWORD dst_unused:UNUSED_PAD src0_sel:WORD_0 src1_sel:DWORD
	v_mul_u32_u24_sdwa v11, v11, s26 dst_sel:DWORD dst_unused:UNUSED_PAD src0_sel:WORD_1 src1_sel:DWORD
	v_mul_u32_u24_sdwa v33, v12, s26 dst_sel:DWORD dst_unused:UNUSED_PAD src0_sel:WORD_0 src1_sel:DWORD
	v_mul_u32_u24_sdwa v12, v12, s26 dst_sel:DWORD dst_unused:UNUSED_PAD src0_sel:WORD_1 src1_sel:DWORD
	v_pk_fma_f16 v28, v20, v30, v28
	v_pk_fma_f16 v24, v20, v9, v24
	v_pk_fma_f16 v26, v20, v31, v26
	v_pk_fma_f16 v25, v20, v10, v25
	v_pk_fma_f16 v22, v20, v32, v22
	v_pk_fma_f16 v27, v20, v11, v27
	v_pk_fma_f16 v23, v20, v33, v23
	v_pk_fma_f16 v20, v20, v12, v29
	ds_read_b128 v[9:12], v74 offset:432
	s_waitcnt lgkmcnt(0)
	v_mul_u32_u24_sdwa v29, v9, s26 dst_sel:DWORD dst_unused:UNUSED_PAD src0_sel:WORD_0 src1_sel:DWORD
	v_mul_u32_u24_sdwa v9, v9, s26 dst_sel:DWORD dst_unused:UNUSED_PAD src0_sel:WORD_1 src1_sel:DWORD
	v_mul_u32_u24_sdwa v30, v10, s26 dst_sel:DWORD dst_unused:UNUSED_PAD src0_sel:WORD_0 src1_sel:DWORD
	v_mul_u32_u24_sdwa v10, v10, s26 dst_sel:DWORD dst_unused:UNUSED_PAD src0_sel:WORD_1 src1_sel:DWORD
	v_mul_u32_u24_sdwa v31, v11, s26 dst_sel:DWORD dst_unused:UNUSED_PAD src0_sel:WORD_0 src1_sel:DWORD
	v_mul_u32_u24_sdwa v11, v11, s26 dst_sel:DWORD dst_unused:UNUSED_PAD src0_sel:WORD_1 src1_sel:DWORD
	v_mul_u32_u24_sdwa v32, v12, s26 dst_sel:DWORD dst_unused:UNUSED_PAD src0_sel:WORD_0 src1_sel:DWORD
	v_mul_u32_u24_sdwa v12, v12, s26 dst_sel:DWORD dst_unused:UNUSED_PAD src0_sel:WORD_1 src1_sel:DWORD
	v_pk_fma_f16 v28, v21, v29, v28
	v_pk_fma_f16 v24, v21, v9, v24
	v_pk_fma_f16 v26, v21, v30, v26
	v_pk_fma_f16 v25, v21, v10, v25
	v_pk_fma_f16 v22, v21, v31, v22
	v_pk_fma_f16 v27, v21, v11, v27
	v_pk_fma_f16 v23, v21, v32, v23
	v_pk_fma_f16 v29, v21, v12, v20
	ds_read2_b32 v[20:21], v34 offset0:128 offset1:160
	;; [unrolled: 37-line block ×3, first 2 shown]
	ds_read_b128 v[9:12], v74 offset:480
	s_waitcnt lgkmcnt(0)
	v_mul_u32_u24_sdwa v30, v9, s26 dst_sel:DWORD dst_unused:UNUSED_PAD src0_sel:WORD_0 src1_sel:DWORD
	v_mul_u32_u24_sdwa v9, v9, s26 dst_sel:DWORD dst_unused:UNUSED_PAD src0_sel:WORD_1 src1_sel:DWORD
	v_mul_u32_u24_sdwa v31, v10, s26 dst_sel:DWORD dst_unused:UNUSED_PAD src0_sel:WORD_0 src1_sel:DWORD
	v_mul_u32_u24_sdwa v10, v10, s26 dst_sel:DWORD dst_unused:UNUSED_PAD src0_sel:WORD_1 src1_sel:DWORD
	;; [unrolled: 2-line block ×4, first 2 shown]
	v_pk_fma_f16 v28, v20, v30, v28
	v_pk_fma_f16 v24, v20, v9, v24
	;; [unrolled: 1-line block ×8, first 2 shown]
	ds_read_b128 v[9:12], v74 offset:496
	s_waitcnt lgkmcnt(0)
	v_mul_u32_u24_sdwa v29, v9, s26 dst_sel:DWORD dst_unused:UNUSED_PAD src0_sel:WORD_0 src1_sel:DWORD
	v_mul_u32_u24_sdwa v9, v9, s26 dst_sel:DWORD dst_unused:UNUSED_PAD src0_sel:WORD_1 src1_sel:DWORD
	v_mul_u32_u24_sdwa v30, v10, s26 dst_sel:DWORD dst_unused:UNUSED_PAD src0_sel:WORD_0 src1_sel:DWORD
	v_mul_u32_u24_sdwa v10, v10, s26 dst_sel:DWORD dst_unused:UNUSED_PAD src0_sel:WORD_1 src1_sel:DWORD
	;; [unrolled: 2-line block ×4, first 2 shown]
	v_pk_fma_f16 v28, v21, v29, v28
	v_pk_fma_f16 v24, v21, v9, v24
	;; [unrolled: 1-line block ×8, first 2 shown]
	ds_read2_b32 v[20:21], v69 offset1:32
	ds_read_b128 v[9:12], v74 offset:512
	s_waitcnt lgkmcnt(0)
	v_mul_u32_u24_sdwa v30, v9, s26 dst_sel:DWORD dst_unused:UNUSED_PAD src0_sel:WORD_0 src1_sel:DWORD
	v_mul_u32_u24_sdwa v9, v9, s26 dst_sel:DWORD dst_unused:UNUSED_PAD src0_sel:WORD_1 src1_sel:DWORD
	v_mul_u32_u24_sdwa v31, v10, s26 dst_sel:DWORD dst_unused:UNUSED_PAD src0_sel:WORD_0 src1_sel:DWORD
	v_mul_u32_u24_sdwa v10, v10, s26 dst_sel:DWORD dst_unused:UNUSED_PAD src0_sel:WORD_1 src1_sel:DWORD
	v_mul_u32_u24_sdwa v32, v11, s26 dst_sel:DWORD dst_unused:UNUSED_PAD src0_sel:WORD_0 src1_sel:DWORD
	v_mul_u32_u24_sdwa v11, v11, s26 dst_sel:DWORD dst_unused:UNUSED_PAD src0_sel:WORD_1 src1_sel:DWORD
	v_mul_u32_u24_sdwa v33, v12, s26 dst_sel:DWORD dst_unused:UNUSED_PAD src0_sel:WORD_0 src1_sel:DWORD
	v_mul_u32_u24_sdwa v12, v12, s26 dst_sel:DWORD dst_unused:UNUSED_PAD src0_sel:WORD_1 src1_sel:DWORD
	v_pk_fma_f16 v28, v20, v30, v28
	v_pk_fma_f16 v24, v20, v9, v24
	v_pk_fma_f16 v26, v20, v31, v26
	v_pk_fma_f16 v25, v20, v10, v25
	v_pk_fma_f16 v22, v20, v32, v22
	v_pk_fma_f16 v27, v20, v11, v27
	v_pk_fma_f16 v23, v20, v33, v23
	v_pk_fma_f16 v20, v20, v12, v29
	ds_read_b128 v[9:12], v74 offset:528
	s_waitcnt lgkmcnt(0)
	v_mul_u32_u24_sdwa v29, v9, s26 dst_sel:DWORD dst_unused:UNUSED_PAD src0_sel:WORD_0 src1_sel:DWORD
	v_mul_u32_u24_sdwa v9, v9, s26 dst_sel:DWORD dst_unused:UNUSED_PAD src0_sel:WORD_1 src1_sel:DWORD
	v_mul_u32_u24_sdwa v30, v10, s26 dst_sel:DWORD dst_unused:UNUSED_PAD src0_sel:WORD_0 src1_sel:DWORD
	v_mul_u32_u24_sdwa v10, v10, s26 dst_sel:DWORD dst_unused:UNUSED_PAD src0_sel:WORD_1 src1_sel:DWORD
	v_mul_u32_u24_sdwa v31, v11, s26 dst_sel:DWORD dst_unused:UNUSED_PAD src0_sel:WORD_0 src1_sel:DWORD
	v_mul_u32_u24_sdwa v11, v11, s26 dst_sel:DWORD dst_unused:UNUSED_PAD src0_sel:WORD_1 src1_sel:DWORD
	v_mul_u32_u24_sdwa v32, v12, s26 dst_sel:DWORD dst_unused:UNUSED_PAD src0_sel:WORD_0 src1_sel:DWORD
	v_mul_u32_u24_sdwa v12, v12, s26 dst_sel:DWORD dst_unused:UNUSED_PAD src0_sel:WORD_1 src1_sel:DWORD
	v_pk_fma_f16 v28, v21, v29, v28
	v_pk_fma_f16 v24, v21, v9, v24
	v_pk_fma_f16 v26, v21, v30, v26
	v_pk_fma_f16 v25, v21, v10, v25
	v_pk_fma_f16 v22, v21, v31, v22
	v_pk_fma_f16 v27, v21, v11, v27
	v_pk_fma_f16 v23, v21, v32, v23
	v_pk_fma_f16 v29, v21, v12, v20
	ds_read2_b32 v[20:21], v69 offset0:64 offset1:96
	ds_read_b128 v[9:12], v74 offset:544
	s_waitcnt lgkmcnt(0)
	v_mul_u32_u24_sdwa v30, v9, s26 dst_sel:DWORD dst_unused:UNUSED_PAD src0_sel:WORD_0 src1_sel:DWORD
	v_mul_u32_u24_sdwa v9, v9, s26 dst_sel:DWORD dst_unused:UNUSED_PAD src0_sel:WORD_1 src1_sel:DWORD
	v_mul_u32_u24_sdwa v31, v10, s26 dst_sel:DWORD dst_unused:UNUSED_PAD src0_sel:WORD_0 src1_sel:DWORD
	v_mul_u32_u24_sdwa v10, v10, s26 dst_sel:DWORD dst_unused:UNUSED_PAD src0_sel:WORD_1 src1_sel:DWORD
	v_mul_u32_u24_sdwa v32, v11, s26 dst_sel:DWORD dst_unused:UNUSED_PAD src0_sel:WORD_0 src1_sel:DWORD
	v_mul_u32_u24_sdwa v11, v11, s26 dst_sel:DWORD dst_unused:UNUSED_PAD src0_sel:WORD_1 src1_sel:DWORD
	v_mul_u32_u24_sdwa v33, v12, s26 dst_sel:DWORD dst_unused:UNUSED_PAD src0_sel:WORD_0 src1_sel:DWORD
	v_mul_u32_u24_sdwa v12, v12, s26 dst_sel:DWORD dst_unused:UNUSED_PAD src0_sel:WORD_1 src1_sel:DWORD
	v_pk_fma_f16 v28, v20, v30, v28
	v_pk_fma_f16 v24, v20, v9, v24
	v_pk_fma_f16 v26, v20, v31, v26
	v_pk_fma_f16 v25, v20, v10, v25
	v_pk_fma_f16 v22, v20, v32, v22
	v_pk_fma_f16 v27, v20, v11, v27
	v_pk_fma_f16 v23, v20, v33, v23
	v_pk_fma_f16 v20, v20, v12, v29
	ds_read_b128 v[9:12], v74 offset:560
	s_waitcnt lgkmcnt(0)
	v_mul_u32_u24_sdwa v29, v9, s26 dst_sel:DWORD dst_unused:UNUSED_PAD src0_sel:WORD_0 src1_sel:DWORD
	v_mul_u32_u24_sdwa v9, v9, s26 dst_sel:DWORD dst_unused:UNUSED_PAD src0_sel:WORD_1 src1_sel:DWORD
	v_mul_u32_u24_sdwa v30, v10, s26 dst_sel:DWORD dst_unused:UNUSED_PAD src0_sel:WORD_0 src1_sel:DWORD
	v_mul_u32_u24_sdwa v10, v10, s26 dst_sel:DWORD dst_unused:UNUSED_PAD src0_sel:WORD_1 src1_sel:DWORD
	v_mul_u32_u24_sdwa v31, v11, s26 dst_sel:DWORD dst_unused:UNUSED_PAD src0_sel:WORD_0 src1_sel:DWORD
	v_mul_u32_u24_sdwa v11, v11, s26 dst_sel:DWORD dst_unused:UNUSED_PAD src0_sel:WORD_1 src1_sel:DWORD
	v_mul_u32_u24_sdwa v32, v12, s26 dst_sel:DWORD dst_unused:UNUSED_PAD src0_sel:WORD_0 src1_sel:DWORD
	v_mul_u32_u24_sdwa v12, v12, s26 dst_sel:DWORD dst_unused:UNUSED_PAD src0_sel:WORD_1 src1_sel:DWORD
	v_pk_fma_f16 v28, v21, v29, v28
	v_pk_fma_f16 v24, v21, v9, v24
	v_pk_fma_f16 v26, v21, v30, v26
	v_pk_fma_f16 v25, v21, v10, v25
	v_pk_fma_f16 v22, v21, v31, v22
	v_pk_fma_f16 v27, v21, v11, v27
	v_pk_fma_f16 v23, v21, v32, v23
	v_pk_fma_f16 v29, v21, v12, v20
	ds_read2_b32 v[20:21], v69 offset0:128 offset1:160
	;; [unrolled: 37-line block ×3, first 2 shown]
	ds_read_b128 v[9:12], v74 offset:608
	s_waitcnt lgkmcnt(0)
	v_mul_u32_u24_sdwa v30, v9, s26 dst_sel:DWORD dst_unused:UNUSED_PAD src0_sel:WORD_0 src1_sel:DWORD
	v_mul_u32_u24_sdwa v9, v9, s26 dst_sel:DWORD dst_unused:UNUSED_PAD src0_sel:WORD_1 src1_sel:DWORD
	v_mul_u32_u24_sdwa v31, v10, s26 dst_sel:DWORD dst_unused:UNUSED_PAD src0_sel:WORD_0 src1_sel:DWORD
	v_mul_u32_u24_sdwa v10, v10, s26 dst_sel:DWORD dst_unused:UNUSED_PAD src0_sel:WORD_1 src1_sel:DWORD
	;; [unrolled: 2-line block ×4, first 2 shown]
	v_pk_fma_f16 v28, v20, v30, v28
	v_pk_fma_f16 v24, v20, v9, v24
	;; [unrolled: 1-line block ×8, first 2 shown]
	ds_read_b128 v[9:12], v74 offset:624
	s_waitcnt lgkmcnt(0)
	v_mul_u32_u24_sdwa v29, v9, s26 dst_sel:DWORD dst_unused:UNUSED_PAD src0_sel:WORD_0 src1_sel:DWORD
	v_mul_u32_u24_sdwa v9, v9, s26 dst_sel:DWORD dst_unused:UNUSED_PAD src0_sel:WORD_1 src1_sel:DWORD
	v_mul_u32_u24_sdwa v30, v10, s26 dst_sel:DWORD dst_unused:UNUSED_PAD src0_sel:WORD_0 src1_sel:DWORD
	v_mul_u32_u24_sdwa v10, v10, s26 dst_sel:DWORD dst_unused:UNUSED_PAD src0_sel:WORD_1 src1_sel:DWORD
	v_mul_u32_u24_sdwa v31, v11, s26 dst_sel:DWORD dst_unused:UNUSED_PAD src0_sel:WORD_0 src1_sel:DWORD
	v_mul_u32_u24_sdwa v11, v11, s26 dst_sel:DWORD dst_unused:UNUSED_PAD src0_sel:WORD_1 src1_sel:DWORD
	v_mul_u32_u24_sdwa v32, v12, s26 dst_sel:DWORD dst_unused:UNUSED_PAD src0_sel:WORD_0 src1_sel:DWORD
	v_mul_u32_u24_sdwa v12, v12, s26 dst_sel:DWORD dst_unused:UNUSED_PAD src0_sel:WORD_1 src1_sel:DWORD
	v_pk_fma_f16 v28, v21, v29, v28
	v_pk_fma_f16 v24, v21, v9, v24
	;; [unrolled: 1-line block ×8, first 2 shown]
	ds_read2_b32 v[20:21], v85 offset1:32
	ds_read_b128 v[9:12], v74 offset:640
	s_waitcnt lgkmcnt(0)
	v_mul_u32_u24_sdwa v30, v9, s26 dst_sel:DWORD dst_unused:UNUSED_PAD src0_sel:WORD_0 src1_sel:DWORD
	v_mul_u32_u24_sdwa v9, v9, s26 dst_sel:DWORD dst_unused:UNUSED_PAD src0_sel:WORD_1 src1_sel:DWORD
	v_mul_u32_u24_sdwa v31, v10, s26 dst_sel:DWORD dst_unused:UNUSED_PAD src0_sel:WORD_0 src1_sel:DWORD
	v_mul_u32_u24_sdwa v10, v10, s26 dst_sel:DWORD dst_unused:UNUSED_PAD src0_sel:WORD_1 src1_sel:DWORD
	v_mul_u32_u24_sdwa v32, v11, s26 dst_sel:DWORD dst_unused:UNUSED_PAD src0_sel:WORD_0 src1_sel:DWORD
	v_mul_u32_u24_sdwa v11, v11, s26 dst_sel:DWORD dst_unused:UNUSED_PAD src0_sel:WORD_1 src1_sel:DWORD
	v_mul_u32_u24_sdwa v33, v12, s26 dst_sel:DWORD dst_unused:UNUSED_PAD src0_sel:WORD_0 src1_sel:DWORD
	v_mul_u32_u24_sdwa v12, v12, s26 dst_sel:DWORD dst_unused:UNUSED_PAD src0_sel:WORD_1 src1_sel:DWORD
	v_pk_fma_f16 v28, v20, v30, v28
	v_pk_fma_f16 v24, v20, v9, v24
	v_pk_fma_f16 v26, v20, v31, v26
	v_pk_fma_f16 v25, v20, v10, v25
	v_pk_fma_f16 v22, v20, v32, v22
	v_pk_fma_f16 v27, v20, v11, v27
	v_pk_fma_f16 v23, v20, v33, v23
	v_pk_fma_f16 v20, v20, v12, v29
	ds_read_b128 v[9:12], v74 offset:656
	s_waitcnt lgkmcnt(0)
	v_mul_u32_u24_sdwa v29, v9, s26 dst_sel:DWORD dst_unused:UNUSED_PAD src0_sel:WORD_0 src1_sel:DWORD
	v_mul_u32_u24_sdwa v9, v9, s26 dst_sel:DWORD dst_unused:UNUSED_PAD src0_sel:WORD_1 src1_sel:DWORD
	v_mul_u32_u24_sdwa v30, v10, s26 dst_sel:DWORD dst_unused:UNUSED_PAD src0_sel:WORD_0 src1_sel:DWORD
	v_mul_u32_u24_sdwa v10, v10, s26 dst_sel:DWORD dst_unused:UNUSED_PAD src0_sel:WORD_1 src1_sel:DWORD
	v_mul_u32_u24_sdwa v31, v11, s26 dst_sel:DWORD dst_unused:UNUSED_PAD src0_sel:WORD_0 src1_sel:DWORD
	v_mul_u32_u24_sdwa v11, v11, s26 dst_sel:DWORD dst_unused:UNUSED_PAD src0_sel:WORD_1 src1_sel:DWORD
	v_mul_u32_u24_sdwa v32, v12, s26 dst_sel:DWORD dst_unused:UNUSED_PAD src0_sel:WORD_0 src1_sel:DWORD
	v_mul_u32_u24_sdwa v12, v12, s26 dst_sel:DWORD dst_unused:UNUSED_PAD src0_sel:WORD_1 src1_sel:DWORD
	v_pk_fma_f16 v28, v21, v29, v28
	v_pk_fma_f16 v24, v21, v9, v24
	v_pk_fma_f16 v26, v21, v30, v26
	v_pk_fma_f16 v25, v21, v10, v25
	v_pk_fma_f16 v22, v21, v31, v22
	v_pk_fma_f16 v27, v21, v11, v27
	v_pk_fma_f16 v23, v21, v32, v23
	v_pk_fma_f16 v29, v21, v12, v20
	ds_read2_b32 v[20:21], v85 offset0:64 offset1:96
	ds_read_b128 v[9:12], v74 offset:672
	s_waitcnt lgkmcnt(0)
	v_mul_u32_u24_sdwa v30, v9, s26 dst_sel:DWORD dst_unused:UNUSED_PAD src0_sel:WORD_0 src1_sel:DWORD
	v_mul_u32_u24_sdwa v9, v9, s26 dst_sel:DWORD dst_unused:UNUSED_PAD src0_sel:WORD_1 src1_sel:DWORD
	v_mul_u32_u24_sdwa v31, v10, s26 dst_sel:DWORD dst_unused:UNUSED_PAD src0_sel:WORD_0 src1_sel:DWORD
	v_mul_u32_u24_sdwa v10, v10, s26 dst_sel:DWORD dst_unused:UNUSED_PAD src0_sel:WORD_1 src1_sel:DWORD
	v_mul_u32_u24_sdwa v32, v11, s26 dst_sel:DWORD dst_unused:UNUSED_PAD src0_sel:WORD_0 src1_sel:DWORD
	v_mul_u32_u24_sdwa v11, v11, s26 dst_sel:DWORD dst_unused:UNUSED_PAD src0_sel:WORD_1 src1_sel:DWORD
	v_mul_u32_u24_sdwa v33, v12, s26 dst_sel:DWORD dst_unused:UNUSED_PAD src0_sel:WORD_0 src1_sel:DWORD
	v_mul_u32_u24_sdwa v12, v12, s26 dst_sel:DWORD dst_unused:UNUSED_PAD src0_sel:WORD_1 src1_sel:DWORD
	v_pk_fma_f16 v28, v20, v30, v28
	v_pk_fma_f16 v24, v20, v9, v24
	v_pk_fma_f16 v26, v20, v31, v26
	v_pk_fma_f16 v25, v20, v10, v25
	v_pk_fma_f16 v22, v20, v32, v22
	v_pk_fma_f16 v27, v20, v11, v27
	v_pk_fma_f16 v23, v20, v33, v23
	v_pk_fma_f16 v20, v20, v12, v29
	ds_read_b128 v[9:12], v74 offset:688
	s_waitcnt lgkmcnt(0)
	v_mul_u32_u24_sdwa v29, v9, s26 dst_sel:DWORD dst_unused:UNUSED_PAD src0_sel:WORD_0 src1_sel:DWORD
	v_mul_u32_u24_sdwa v9, v9, s26 dst_sel:DWORD dst_unused:UNUSED_PAD src0_sel:WORD_1 src1_sel:DWORD
	v_mul_u32_u24_sdwa v30, v10, s26 dst_sel:DWORD dst_unused:UNUSED_PAD src0_sel:WORD_0 src1_sel:DWORD
	v_mul_u32_u24_sdwa v10, v10, s26 dst_sel:DWORD dst_unused:UNUSED_PAD src0_sel:WORD_1 src1_sel:DWORD
	v_mul_u32_u24_sdwa v31, v11, s26 dst_sel:DWORD dst_unused:UNUSED_PAD src0_sel:WORD_0 src1_sel:DWORD
	v_mul_u32_u24_sdwa v11, v11, s26 dst_sel:DWORD dst_unused:UNUSED_PAD src0_sel:WORD_1 src1_sel:DWORD
	v_mul_u32_u24_sdwa v32, v12, s26 dst_sel:DWORD dst_unused:UNUSED_PAD src0_sel:WORD_0 src1_sel:DWORD
	v_mul_u32_u24_sdwa v12, v12, s26 dst_sel:DWORD dst_unused:UNUSED_PAD src0_sel:WORD_1 src1_sel:DWORD
	v_pk_fma_f16 v28, v21, v29, v28
	v_pk_fma_f16 v24, v21, v9, v24
	v_pk_fma_f16 v26, v21, v30, v26
	v_pk_fma_f16 v25, v21, v10, v25
	v_pk_fma_f16 v22, v21, v31, v22
	v_pk_fma_f16 v27, v21, v11, v27
	v_pk_fma_f16 v23, v21, v32, v23
	v_pk_fma_f16 v29, v21, v12, v20
	ds_read2_b32 v[20:21], v85 offset0:128 offset1:160
	;; [unrolled: 37-line block ×3, first 2 shown]
	ds_read_b128 v[9:12], v74 offset:736
	s_waitcnt lgkmcnt(0)
	v_mul_u32_u24_sdwa v30, v9, s26 dst_sel:DWORD dst_unused:UNUSED_PAD src0_sel:WORD_0 src1_sel:DWORD
	v_mul_u32_u24_sdwa v9, v9, s26 dst_sel:DWORD dst_unused:UNUSED_PAD src0_sel:WORD_1 src1_sel:DWORD
	v_mul_u32_u24_sdwa v31, v10, s26 dst_sel:DWORD dst_unused:UNUSED_PAD src0_sel:WORD_0 src1_sel:DWORD
	v_mul_u32_u24_sdwa v10, v10, s26 dst_sel:DWORD dst_unused:UNUSED_PAD src0_sel:WORD_1 src1_sel:DWORD
	;; [unrolled: 2-line block ×4, first 2 shown]
	v_pk_fma_f16 v28, v20, v30, v28
	v_pk_fma_f16 v24, v20, v9, v24
	;; [unrolled: 1-line block ×8, first 2 shown]
	ds_read_b128 v[9:12], v74 offset:752
	s_waitcnt lgkmcnt(0)
	v_mul_u32_u24_sdwa v29, v9, s26 dst_sel:DWORD dst_unused:UNUSED_PAD src0_sel:WORD_0 src1_sel:DWORD
	v_mul_u32_u24_sdwa v9, v9, s26 dst_sel:DWORD dst_unused:UNUSED_PAD src0_sel:WORD_1 src1_sel:DWORD
	v_mul_u32_u24_sdwa v30, v10, s26 dst_sel:DWORD dst_unused:UNUSED_PAD src0_sel:WORD_0 src1_sel:DWORD
	v_mul_u32_u24_sdwa v10, v10, s26 dst_sel:DWORD dst_unused:UNUSED_PAD src0_sel:WORD_1 src1_sel:DWORD
	;; [unrolled: 2-line block ×4, first 2 shown]
	v_pk_fma_f16 v28, v21, v29, v28
	v_pk_fma_f16 v24, v21, v9, v24
	;; [unrolled: 1-line block ×8, first 2 shown]
	ds_read2_b32 v[20:21], v86 offset1:32
	ds_read_b128 v[9:12], v74 offset:768
	s_waitcnt lgkmcnt(0)
	v_mul_u32_u24_sdwa v30, v9, s26 dst_sel:DWORD dst_unused:UNUSED_PAD src0_sel:WORD_0 src1_sel:DWORD
	v_mul_u32_u24_sdwa v9, v9, s26 dst_sel:DWORD dst_unused:UNUSED_PAD src0_sel:WORD_1 src1_sel:DWORD
	v_mul_u32_u24_sdwa v31, v10, s26 dst_sel:DWORD dst_unused:UNUSED_PAD src0_sel:WORD_0 src1_sel:DWORD
	v_mul_u32_u24_sdwa v10, v10, s26 dst_sel:DWORD dst_unused:UNUSED_PAD src0_sel:WORD_1 src1_sel:DWORD
	v_mul_u32_u24_sdwa v32, v11, s26 dst_sel:DWORD dst_unused:UNUSED_PAD src0_sel:WORD_0 src1_sel:DWORD
	v_mul_u32_u24_sdwa v11, v11, s26 dst_sel:DWORD dst_unused:UNUSED_PAD src0_sel:WORD_1 src1_sel:DWORD
	v_mul_u32_u24_sdwa v33, v12, s26 dst_sel:DWORD dst_unused:UNUSED_PAD src0_sel:WORD_0 src1_sel:DWORD
	v_mul_u32_u24_sdwa v12, v12, s26 dst_sel:DWORD dst_unused:UNUSED_PAD src0_sel:WORD_1 src1_sel:DWORD
	v_pk_fma_f16 v28, v20, v30, v28
	v_pk_fma_f16 v24, v20, v9, v24
	v_pk_fma_f16 v26, v20, v31, v26
	v_pk_fma_f16 v25, v20, v10, v25
	v_pk_fma_f16 v22, v20, v32, v22
	v_pk_fma_f16 v27, v20, v11, v27
	v_pk_fma_f16 v23, v20, v33, v23
	v_pk_fma_f16 v20, v20, v12, v29
	ds_read_b128 v[9:12], v74 offset:784
	s_waitcnt lgkmcnt(0)
	v_mul_u32_u24_sdwa v29, v9, s26 dst_sel:DWORD dst_unused:UNUSED_PAD src0_sel:WORD_0 src1_sel:DWORD
	v_mul_u32_u24_sdwa v9, v9, s26 dst_sel:DWORD dst_unused:UNUSED_PAD src0_sel:WORD_1 src1_sel:DWORD
	v_mul_u32_u24_sdwa v30, v10, s26 dst_sel:DWORD dst_unused:UNUSED_PAD src0_sel:WORD_0 src1_sel:DWORD
	v_mul_u32_u24_sdwa v10, v10, s26 dst_sel:DWORD dst_unused:UNUSED_PAD src0_sel:WORD_1 src1_sel:DWORD
	v_mul_u32_u24_sdwa v31, v11, s26 dst_sel:DWORD dst_unused:UNUSED_PAD src0_sel:WORD_0 src1_sel:DWORD
	v_mul_u32_u24_sdwa v11, v11, s26 dst_sel:DWORD dst_unused:UNUSED_PAD src0_sel:WORD_1 src1_sel:DWORD
	v_mul_u32_u24_sdwa v32, v12, s26 dst_sel:DWORD dst_unused:UNUSED_PAD src0_sel:WORD_0 src1_sel:DWORD
	v_mul_u32_u24_sdwa v12, v12, s26 dst_sel:DWORD dst_unused:UNUSED_PAD src0_sel:WORD_1 src1_sel:DWORD
	v_pk_fma_f16 v28, v21, v29, v28
	v_pk_fma_f16 v24, v21, v9, v24
	v_pk_fma_f16 v26, v21, v30, v26
	v_pk_fma_f16 v25, v21, v10, v25
	v_pk_fma_f16 v22, v21, v31, v22
	v_pk_fma_f16 v27, v21, v11, v27
	v_pk_fma_f16 v23, v21, v32, v23
	v_pk_fma_f16 v29, v21, v12, v20
	ds_read2_b32 v[20:21], v86 offset0:64 offset1:96
	ds_read_b128 v[9:12], v74 offset:800
	s_waitcnt lgkmcnt(0)
	v_mul_u32_u24_sdwa v30, v9, s26 dst_sel:DWORD dst_unused:UNUSED_PAD src0_sel:WORD_0 src1_sel:DWORD
	v_mul_u32_u24_sdwa v9, v9, s26 dst_sel:DWORD dst_unused:UNUSED_PAD src0_sel:WORD_1 src1_sel:DWORD
	v_mul_u32_u24_sdwa v31, v10, s26 dst_sel:DWORD dst_unused:UNUSED_PAD src0_sel:WORD_0 src1_sel:DWORD
	v_mul_u32_u24_sdwa v10, v10, s26 dst_sel:DWORD dst_unused:UNUSED_PAD src0_sel:WORD_1 src1_sel:DWORD
	v_mul_u32_u24_sdwa v32, v11, s26 dst_sel:DWORD dst_unused:UNUSED_PAD src0_sel:WORD_0 src1_sel:DWORD
	v_mul_u32_u24_sdwa v11, v11, s26 dst_sel:DWORD dst_unused:UNUSED_PAD src0_sel:WORD_1 src1_sel:DWORD
	v_mul_u32_u24_sdwa v33, v12, s26 dst_sel:DWORD dst_unused:UNUSED_PAD src0_sel:WORD_0 src1_sel:DWORD
	v_mul_u32_u24_sdwa v12, v12, s26 dst_sel:DWORD dst_unused:UNUSED_PAD src0_sel:WORD_1 src1_sel:DWORD
	v_pk_fma_f16 v28, v20, v30, v28
	v_pk_fma_f16 v24, v20, v9, v24
	v_pk_fma_f16 v26, v20, v31, v26
	v_pk_fma_f16 v25, v20, v10, v25
	v_pk_fma_f16 v22, v20, v32, v22
	v_pk_fma_f16 v27, v20, v11, v27
	v_pk_fma_f16 v23, v20, v33, v23
	v_pk_fma_f16 v20, v20, v12, v29
	ds_read_b128 v[9:12], v74 offset:816
	s_waitcnt lgkmcnt(0)
	v_mul_u32_u24_sdwa v29, v9, s26 dst_sel:DWORD dst_unused:UNUSED_PAD src0_sel:WORD_0 src1_sel:DWORD
	v_mul_u32_u24_sdwa v9, v9, s26 dst_sel:DWORD dst_unused:UNUSED_PAD src0_sel:WORD_1 src1_sel:DWORD
	v_mul_u32_u24_sdwa v30, v10, s26 dst_sel:DWORD dst_unused:UNUSED_PAD src0_sel:WORD_0 src1_sel:DWORD
	v_mul_u32_u24_sdwa v10, v10, s26 dst_sel:DWORD dst_unused:UNUSED_PAD src0_sel:WORD_1 src1_sel:DWORD
	v_mul_u32_u24_sdwa v31, v11, s26 dst_sel:DWORD dst_unused:UNUSED_PAD src0_sel:WORD_0 src1_sel:DWORD
	v_mul_u32_u24_sdwa v11, v11, s26 dst_sel:DWORD dst_unused:UNUSED_PAD src0_sel:WORD_1 src1_sel:DWORD
	v_mul_u32_u24_sdwa v32, v12, s26 dst_sel:DWORD dst_unused:UNUSED_PAD src0_sel:WORD_0 src1_sel:DWORD
	v_mul_u32_u24_sdwa v12, v12, s26 dst_sel:DWORD dst_unused:UNUSED_PAD src0_sel:WORD_1 src1_sel:DWORD
	v_pk_fma_f16 v28, v21, v29, v28
	v_pk_fma_f16 v24, v21, v9, v24
	v_pk_fma_f16 v26, v21, v30, v26
	v_pk_fma_f16 v25, v21, v10, v25
	v_pk_fma_f16 v22, v21, v31, v22
	v_pk_fma_f16 v27, v21, v11, v27
	v_pk_fma_f16 v23, v21, v32, v23
	v_pk_fma_f16 v29, v21, v12, v20
	ds_read2_b32 v[20:21], v86 offset0:128 offset1:160
	;; [unrolled: 37-line block ×3, first 2 shown]
	ds_read_b128 v[9:12], v74 offset:864
	s_waitcnt lgkmcnt(0)
	v_mul_u32_u24_sdwa v30, v9, s26 dst_sel:DWORD dst_unused:UNUSED_PAD src0_sel:WORD_0 src1_sel:DWORD
	v_mul_u32_u24_sdwa v9, v9, s26 dst_sel:DWORD dst_unused:UNUSED_PAD src0_sel:WORD_1 src1_sel:DWORD
	v_mul_u32_u24_sdwa v31, v10, s26 dst_sel:DWORD dst_unused:UNUSED_PAD src0_sel:WORD_0 src1_sel:DWORD
	v_mul_u32_u24_sdwa v10, v10, s26 dst_sel:DWORD dst_unused:UNUSED_PAD src0_sel:WORD_1 src1_sel:DWORD
	;; [unrolled: 2-line block ×4, first 2 shown]
	v_pk_fma_f16 v28, v20, v30, v28
	v_pk_fma_f16 v24, v20, v9, v24
	;; [unrolled: 1-line block ×8, first 2 shown]
	ds_read_b128 v[9:12], v74 offset:880
	s_waitcnt lgkmcnt(0)
	v_mul_u32_u24_sdwa v29, v9, s26 dst_sel:DWORD dst_unused:UNUSED_PAD src0_sel:WORD_0 src1_sel:DWORD
	v_mul_u32_u24_sdwa v9, v9, s26 dst_sel:DWORD dst_unused:UNUSED_PAD src0_sel:WORD_1 src1_sel:DWORD
	v_mul_u32_u24_sdwa v30, v10, s26 dst_sel:DWORD dst_unused:UNUSED_PAD src0_sel:WORD_0 src1_sel:DWORD
	v_mul_u32_u24_sdwa v10, v10, s26 dst_sel:DWORD dst_unused:UNUSED_PAD src0_sel:WORD_1 src1_sel:DWORD
	;; [unrolled: 2-line block ×4, first 2 shown]
	v_pk_fma_f16 v28, v21, v29, v28
	v_pk_fma_f16 v24, v21, v9, v24
	;; [unrolled: 1-line block ×8, first 2 shown]
	ds_read2_b32 v[20:21], v87 offset1:32
	ds_read_b128 v[9:12], v74 offset:896
	s_waitcnt lgkmcnt(0)
	v_mul_u32_u24_sdwa v30, v9, s26 dst_sel:DWORD dst_unused:UNUSED_PAD src0_sel:WORD_0 src1_sel:DWORD
	v_mul_u32_u24_sdwa v9, v9, s26 dst_sel:DWORD dst_unused:UNUSED_PAD src0_sel:WORD_1 src1_sel:DWORD
	v_mul_u32_u24_sdwa v31, v10, s26 dst_sel:DWORD dst_unused:UNUSED_PAD src0_sel:WORD_0 src1_sel:DWORD
	v_mul_u32_u24_sdwa v10, v10, s26 dst_sel:DWORD dst_unused:UNUSED_PAD src0_sel:WORD_1 src1_sel:DWORD
	v_mul_u32_u24_sdwa v32, v11, s26 dst_sel:DWORD dst_unused:UNUSED_PAD src0_sel:WORD_0 src1_sel:DWORD
	v_mul_u32_u24_sdwa v11, v11, s26 dst_sel:DWORD dst_unused:UNUSED_PAD src0_sel:WORD_1 src1_sel:DWORD
	v_mul_u32_u24_sdwa v33, v12, s26 dst_sel:DWORD dst_unused:UNUSED_PAD src0_sel:WORD_0 src1_sel:DWORD
	v_mul_u32_u24_sdwa v12, v12, s26 dst_sel:DWORD dst_unused:UNUSED_PAD src0_sel:WORD_1 src1_sel:DWORD
	v_pk_fma_f16 v28, v20, v30, v28
	v_pk_fma_f16 v24, v20, v9, v24
	v_pk_fma_f16 v26, v20, v31, v26
	v_pk_fma_f16 v25, v20, v10, v25
	v_pk_fma_f16 v22, v20, v32, v22
	v_pk_fma_f16 v27, v20, v11, v27
	v_pk_fma_f16 v23, v20, v33, v23
	v_pk_fma_f16 v20, v20, v12, v29
	ds_read_b128 v[9:12], v74 offset:912
	s_waitcnt lgkmcnt(0)
	v_mul_u32_u24_sdwa v29, v9, s26 dst_sel:DWORD dst_unused:UNUSED_PAD src0_sel:WORD_0 src1_sel:DWORD
	v_mul_u32_u24_sdwa v9, v9, s26 dst_sel:DWORD dst_unused:UNUSED_PAD src0_sel:WORD_1 src1_sel:DWORD
	v_mul_u32_u24_sdwa v30, v10, s26 dst_sel:DWORD dst_unused:UNUSED_PAD src0_sel:WORD_0 src1_sel:DWORD
	v_mul_u32_u24_sdwa v10, v10, s26 dst_sel:DWORD dst_unused:UNUSED_PAD src0_sel:WORD_1 src1_sel:DWORD
	v_mul_u32_u24_sdwa v31, v11, s26 dst_sel:DWORD dst_unused:UNUSED_PAD src0_sel:WORD_0 src1_sel:DWORD
	v_mul_u32_u24_sdwa v11, v11, s26 dst_sel:DWORD dst_unused:UNUSED_PAD src0_sel:WORD_1 src1_sel:DWORD
	v_mul_u32_u24_sdwa v32, v12, s26 dst_sel:DWORD dst_unused:UNUSED_PAD src0_sel:WORD_0 src1_sel:DWORD
	v_mul_u32_u24_sdwa v12, v12, s26 dst_sel:DWORD dst_unused:UNUSED_PAD src0_sel:WORD_1 src1_sel:DWORD
	v_pk_fma_f16 v28, v21, v29, v28
	v_pk_fma_f16 v24, v21, v9, v24
	v_pk_fma_f16 v26, v21, v30, v26
	v_pk_fma_f16 v25, v21, v10, v25
	v_pk_fma_f16 v22, v21, v31, v22
	v_pk_fma_f16 v27, v21, v11, v27
	v_pk_fma_f16 v23, v21, v32, v23
	v_pk_fma_f16 v29, v21, v12, v20
	ds_read2_b32 v[20:21], v87 offset0:64 offset1:96
	ds_read_b128 v[9:12], v74 offset:928
	s_waitcnt lgkmcnt(0)
	v_mul_u32_u24_sdwa v30, v9, s26 dst_sel:DWORD dst_unused:UNUSED_PAD src0_sel:WORD_0 src1_sel:DWORD
	v_mul_u32_u24_sdwa v9, v9, s26 dst_sel:DWORD dst_unused:UNUSED_PAD src0_sel:WORD_1 src1_sel:DWORD
	v_mul_u32_u24_sdwa v31, v10, s26 dst_sel:DWORD dst_unused:UNUSED_PAD src0_sel:WORD_0 src1_sel:DWORD
	v_mul_u32_u24_sdwa v10, v10, s26 dst_sel:DWORD dst_unused:UNUSED_PAD src0_sel:WORD_1 src1_sel:DWORD
	v_mul_u32_u24_sdwa v32, v11, s26 dst_sel:DWORD dst_unused:UNUSED_PAD src0_sel:WORD_0 src1_sel:DWORD
	v_mul_u32_u24_sdwa v11, v11, s26 dst_sel:DWORD dst_unused:UNUSED_PAD src0_sel:WORD_1 src1_sel:DWORD
	v_mul_u32_u24_sdwa v33, v12, s26 dst_sel:DWORD dst_unused:UNUSED_PAD src0_sel:WORD_0 src1_sel:DWORD
	v_mul_u32_u24_sdwa v12, v12, s26 dst_sel:DWORD dst_unused:UNUSED_PAD src0_sel:WORD_1 src1_sel:DWORD
	v_pk_fma_f16 v28, v20, v30, v28
	v_pk_fma_f16 v24, v20, v9, v24
	v_pk_fma_f16 v26, v20, v31, v26
	v_pk_fma_f16 v25, v20, v10, v25
	v_pk_fma_f16 v22, v20, v32, v22
	v_pk_fma_f16 v27, v20, v11, v27
	v_pk_fma_f16 v23, v20, v33, v23
	v_pk_fma_f16 v20, v20, v12, v29
	ds_read_b128 v[9:12], v74 offset:944
	s_waitcnt lgkmcnt(0)
	v_mul_u32_u24_sdwa v29, v9, s26 dst_sel:DWORD dst_unused:UNUSED_PAD src0_sel:WORD_0 src1_sel:DWORD
	v_mul_u32_u24_sdwa v9, v9, s26 dst_sel:DWORD dst_unused:UNUSED_PAD src0_sel:WORD_1 src1_sel:DWORD
	v_mul_u32_u24_sdwa v30, v10, s26 dst_sel:DWORD dst_unused:UNUSED_PAD src0_sel:WORD_0 src1_sel:DWORD
	v_mul_u32_u24_sdwa v10, v10, s26 dst_sel:DWORD dst_unused:UNUSED_PAD src0_sel:WORD_1 src1_sel:DWORD
	v_mul_u32_u24_sdwa v31, v11, s26 dst_sel:DWORD dst_unused:UNUSED_PAD src0_sel:WORD_0 src1_sel:DWORD
	v_mul_u32_u24_sdwa v11, v11, s26 dst_sel:DWORD dst_unused:UNUSED_PAD src0_sel:WORD_1 src1_sel:DWORD
	v_mul_u32_u24_sdwa v32, v12, s26 dst_sel:DWORD dst_unused:UNUSED_PAD src0_sel:WORD_0 src1_sel:DWORD
	v_mul_u32_u24_sdwa v12, v12, s26 dst_sel:DWORD dst_unused:UNUSED_PAD src0_sel:WORD_1 src1_sel:DWORD
	v_pk_fma_f16 v28, v21, v29, v28
	v_pk_fma_f16 v24, v21, v9, v24
	v_pk_fma_f16 v26, v21, v30, v26
	v_pk_fma_f16 v25, v21, v10, v25
	v_pk_fma_f16 v22, v21, v31, v22
	v_pk_fma_f16 v27, v21, v11, v27
	v_pk_fma_f16 v23, v21, v32, v23
	v_pk_fma_f16 v29, v21, v12, v20
	ds_read2_b32 v[20:21], v87 offset0:128 offset1:160
	;; [unrolled: 37-line block ×3, first 2 shown]
	ds_read_b128 v[20:23], v74 offset:992
	s_waitcnt lgkmcnt(0)
	v_mul_u32_u24_sdwa v11, v20, s26 dst_sel:DWORD dst_unused:UNUSED_PAD src0_sel:WORD_0 src1_sel:DWORD
	v_mul_u32_u24_sdwa v12, v20, s26 dst_sel:DWORD dst_unused:UNUSED_PAD src0_sel:WORD_1 src1_sel:DWORD
	v_mul_u32_u24_sdwa v20, v21, s26 dst_sel:DWORD dst_unused:UNUSED_PAD src0_sel:WORD_0 src1_sel:DWORD
	v_mul_u32_u24_sdwa v21, v21, s26 dst_sel:DWORD dst_unused:UNUSED_PAD src0_sel:WORD_1 src1_sel:DWORD
	v_mul_u32_u24_sdwa v33, v22, s26 dst_sel:DWORD dst_unused:UNUSED_PAD src0_sel:WORD_1 src1_sel:DWORD
	v_mul_u32_u24_sdwa v34, v23, s26 dst_sel:DWORD dst_unused:UNUSED_PAD src0_sel:WORD_0 src1_sel:DWORD
	v_mul_u32_u24_sdwa v35, v23, s26 dst_sel:DWORD dst_unused:UNUSED_PAD src0_sel:WORD_1 src1_sel:DWORD
	v_pk_fma_f16 v11, v9, v11, v28
	v_pk_fma_f16 v20, v9, v20, v26
	;; [unrolled: 1-line block ×4, first 2 shown]
	ds_read_b128 v[25:28], v74 offset:1008
	s_waitcnt lgkmcnt(0)
	s_barrier
	s_load_dword s8, s[0:1], 0x4
	v_mul_u32_u24_sdwa v32, v22, s26 dst_sel:DWORD dst_unused:UNUSED_PAD src0_sel:WORD_0 src1_sel:DWORD
	v_pk_fma_f16 v12, v9, v12, v24
	v_pk_fma_f16 v22, v9, v32, v29
	;; [unrolled: 1-line block ×3, first 2 shown]
	s_waitcnt lgkmcnt(0)
	s_lshl_b32 s8, s8, 6
	v_pk_fma_f16 v9, v9, v35, v31
	v_mul_u32_u24_sdwa v29, v25, s26 dst_sel:DWORD dst_unused:UNUSED_PAD src0_sel:WORD_0 src1_sel:DWORD
	v_mul_u32_u24_sdwa v25, v25, s26 dst_sel:DWORD dst_unused:UNUSED_PAD src0_sel:WORD_1 src1_sel:DWORD
	v_mul_u32_u24_sdwa v30, v26, s26 dst_sel:DWORD dst_unused:UNUSED_PAD src0_sel:WORD_0 src1_sel:DWORD
	v_mul_u32_u24_sdwa v26, v26, s26 dst_sel:DWORD dst_unused:UNUSED_PAD src0_sel:WORD_1 src1_sel:DWORD
	;; [unrolled: 2-line block ×4, first 2 shown]
	s_add_i32 s6, s8, s6
	v_pk_fma_f16 v95, v10, v29, v11
	v_pk_fma_f16 v94, v10, v25, v12
	;; [unrolled: 1-line block ×8, first 2 shown]
	s_cmp_ge_i32 s6, s30
	s_cbranch_scc0 .LBB17_9
; %bb.10:
	buffer_load_dword v49, off, s[44:47], 0 offset:24 ; 4-byte Folded Reload
	buffer_load_dword v50, off, s[44:47], 0 offset:28 ; 4-byte Folded Reload
	;; [unrolled: 1-line block ×10, first 2 shown]
.LBB17_11:
	v_lshlrev_b32_e32 v33, 1, v62
	v_cmp_lt_i32_e32 vcc, v127, v61
	v_cndmask_b32_e32 v9, v60, v127, vcc
	v_cmp_lt_i32_e32 vcc, v66, v61
	v_lshlrev_b32_e32 v12, 2, v9
	v_cndmask_b32_e32 v9, v60, v66, vcc
	v_lshlrev_b32_e32 v20, 2, v9
	ds_bpermute_b32 v9, v12, v13
	v_cmp_lt_i32_e32 vcc, v68, v61
	v_cndmask_b32_e32 v10, v60, v68, vcc
	v_lshlrev_b32_e32 v21, 2, v10
	ds_bpermute_b32 v11, v12, v14
	s_waitcnt lgkmcnt(1)
	v_add_f32_e32 v9, v13, v9
	ds_bpermute_b32 v10, v20, v9
	ds_bpermute_b32 v22, v12, v15
	v_cmp_lt_i32_e32 vcc, v0, v61
	s_waitcnt lgkmcnt(2)
	v_add_f32_e32 v11, v14, v11
	ds_bpermute_b32 v14, v20, v11
	s_waitcnt lgkmcnt(2)
	v_add_f32_e32 v9, v9, v10
	ds_bpermute_b32 v10, v21, v9
	v_cndmask_b32_e32 v0, v60, v0, vcc
	v_lshlrev_b32_e32 v0, 2, v0
	s_waitcnt lgkmcnt(1)
	v_add_f32_e32 v11, v11, v14
	v_add_f32_e32 v15, v15, v22
	s_waitcnt lgkmcnt(0)
	v_add_f32_e32 v9, v9, v10
	ds_bpermute_b32 v10, v0, v9
	ds_bpermute_b32 v14, v21, v11
	;; [unrolled: 1-line block ×3, first 2 shown]
	v_cmp_lt_i32_e32 vcc, v46, v61
	v_cndmask_b32_e32 v13, v60, v46, vcc
	v_lshlrev_b32_e32 v13, 2, v13
	s_waitcnt lgkmcnt(2)
	v_add_f32_e32 v9, v9, v10
	s_waitcnt lgkmcnt(1)
	v_add_f32_e32 v11, v11, v14
	;; [unrolled: 2-line block ×3, first 2 shown]
	ds_bpermute_b32 v10, v13, v9
	ds_bpermute_b32 v14, v0, v11
	;; [unrolled: 1-line block ×4, first 2 shown]
	s_cmp_lg_u64 s[16:17], 0
	s_waitcnt lgkmcnt(3)
	v_add_f32_e32 v9, v9, v10
	s_waitcnt lgkmcnt(2)
	v_add_f32_e32 v10, v11, v14
	;; [unrolled: 2-line block ×4, first 2 shown]
	ds_bpermute_b32 v11, v12, v17
	ds_bpermute_b32 v16, v20, v15
	;; [unrolled: 1-line block ×4, first 2 shown]
	s_cselect_b64 s[0:1], -1, 0
	s_waitcnt lgkmcnt(3)
	v_add_f32_e32 v11, v17, v11
	s_waitcnt lgkmcnt(2)
	v_add_f32_e32 v15, v15, v16
	ds_bpermute_b32 v17, v20, v11
	ds_bpermute_b32 v16, v21, v15
	s_waitcnt lgkmcnt(3)
	v_add_f32_e32 v14, v14, v22
	ds_bpermute_b32 v22, v13, v14
	s_waitcnt lgkmcnt(3)
	v_add_f32_e32 v10, v10, v23
	s_waitcnt lgkmcnt(2)
	v_add_f32_e32 v11, v11, v17
	;; [unrolled: 2-line block ×3, first 2 shown]
	ds_bpermute_b32 v17, v21, v11
	ds_bpermute_b32 v16, v0, v15
	s_cmp_eq_u32 s7, 0
	s_cselect_b64 s[8:9], -1, 0
	s_and_b64 s[0:1], s[8:9], s[0:1]
	s_waitcnt lgkmcnt(1)
	v_add_f32_e32 v17, v11, v17
	v_add_f32_e32 v11, v14, v22
	s_waitcnt lgkmcnt(0)
	v_add_f32_e32 v14, v15, v16
	ds_bpermute_b32 v16, v12, v18
	ds_bpermute_b32 v22, v12, v19
	;; [unrolled: 1-line block ×5, first 2 shown]
	s_waitcnt lgkmcnt(4)
	v_add_f32_e32 v16, v18, v16
	s_waitcnt lgkmcnt(3)
	v_add_f32_e32 v19, v19, v22
	;; [unrolled: 2-line block ×3, first 2 shown]
	ds_bpermute_b32 v18, v20, v16
	ds_bpermute_b32 v22, v20, v19
	;; [unrolled: 1-line block ×3, first 2 shown]
	s_waitcnt lgkmcnt(4)
	v_add_f32_e32 v17, v17, v23
	ds_bpermute_b32 v23, v13, v17
	s_waitcnt lgkmcnt(3)
	v_add_f32_e32 v16, v16, v18
	s_waitcnt lgkmcnt(2)
	v_add_f32_e32 v19, v19, v22
	;; [unrolled: 2-line block ×3, first 2 shown]
	ds_bpermute_b32 v18, v21, v16
	ds_bpermute_b32 v22, v21, v19
	;; [unrolled: 1-line block ×3, first 2 shown]
	s_and_b64 vcc, exec, s[0:1]
	s_waitcnt lgkmcnt(2)
	v_add_f32_e32 v16, v16, v18
	s_waitcnt lgkmcnt(1)
	v_add_f32_e32 v19, v19, v22
	;; [unrolled: 2-line block ×3, first 2 shown]
	ds_bpermute_b32 v18, v0, v16
	ds_bpermute_b32 v21, v0, v19
	;; [unrolled: 1-line block ×3, first 2 shown]
	s_waitcnt lgkmcnt(2)
	v_add_f32_e32 v16, v16, v18
	s_waitcnt lgkmcnt(1)
	v_add_f32_e32 v19, v19, v21
	s_waitcnt lgkmcnt(0)
	v_add_f32_e32 v0, v12, v0
	ds_bpermute_b32 v18, v13, v16
	ds_bpermute_b32 v20, v13, v19
	;; [unrolled: 1-line block ×3, first 2 shown]
	v_add_f32_e32 v12, v14, v15
	v_add_f32_e32 v13, v17, v23
	s_waitcnt lgkmcnt(2)
	v_add_f32_e32 v14, v16, v18
	s_waitcnt lgkmcnt(1)
	;; [unrolled: 2-line block ×3, first 2 shown]
	v_add_f32_e32 v16, v0, v21
	s_cbranch_vccz .LBB17_13
; %bb.12:
	s_ashr_i32 s29, s28, 31
	s_lshl_b64 s[0:1], s[28:29], 2
	s_add_u32 s0, s16, s0
	s_addc_u32 s1, s17, s1
	v_mov_b32_e32 v0, 0
	global_load_dwordx4 v[21:24], v0, s[0:1]
	v_max_f32_e32 v0, v1, v1
	v_max_f32_e32 v17, v2, v2
	s_mov_b32 s6, 0x3fb8aa3b
	v_max_f32_e32 v18, v3, v3
	s_mov_b32 s1, 0xc2ce8ed0
	s_mov_b32 s0, 0x42b17218
	v_mov_b32_e32 v34, 0x7f800000
	s_waitcnt vmcnt(0)
	v_max_f32_e32 v29, v21, v21
	v_max_f32_e32 v25, v0, v29
	;; [unrolled: 1-line block ×3, first 2 shown]
	v_sub_f32_e32 v0, v1, v25
	v_max_f32_e32 v26, v17, v30
	v_sub_f32_e32 v1, v21, v25
	v_mul_f32_e32 v17, 0x3fb8aa3b, v0
	v_max_f32_e32 v31, v23, v23
	v_sub_f32_e32 v2, v2, v26
	v_mul_f32_e32 v20, 0x3fb8aa3b, v1
	v_fma_f32 v37, v0, s6, -v17
	v_rndne_f32_e32 v38, v17
	v_max_f32_e32 v27, v18, v31
	v_sub_f32_e32 v18, v22, v26
	v_mul_f32_e32 v28, 0x3fb8aa3b, v2
	v_fma_f32 v39, v1, s6, -v20
	v_rndne_f32_e32 v40, v20
	v_fmac_f32_e32 v37, 0x32a5705f, v0
	v_sub_f32_e32 v17, v17, v38
	v_sub_f32_e32 v3, v3, v27
	v_mul_f32_e32 v32, 0x3fb8aa3b, v18
	v_fma_f32 v41, v2, s6, -v28
	v_rndne_f32_e32 v42, v28
	v_fmac_f32_e32 v39, 0x32a5705f, v1
	v_sub_f32_e32 v20, v20, v40
	v_add_f32_e32 v17, v17, v37
	v_mul_f32_e32 v35, 0x3fb8aa3b, v3
	v_fma_f32 v43, v18, s6, -v32
	v_rndne_f32_e32 v44, v32
	v_cvt_i32_f32_e32 v38, v38
	v_fmac_f32_e32 v41, 0x32a5705f, v2
	v_sub_f32_e32 v28, v28, v42
	v_add_f32_e32 v20, v20, v39
	v_exp_f32_e32 v17, v17
	v_fma_f32 v45, v3, s6, -v35
	v_rndne_f32_e32 v46, v35
	v_cvt_i32_f32_e32 v40, v40
	v_fmac_f32_e32 v43, 0x32a5705f, v18
	v_sub_f32_e32 v32, v32, v44
	v_add_f32_e32 v28, v28, v41
	v_exp_f32_e32 v20, v20
	v_cvt_i32_f32_e32 v42, v42
	v_fmac_f32_e32 v45, 0x32a5705f, v3
	v_sub_f32_e32 v35, v35, v46
	v_add_f32_e32 v32, v32, v43
	v_exp_f32_e32 v28, v28
	v_cvt_i32_f32_e32 v44, v44
	v_add_f32_e32 v35, v35, v45
	v_exp_f32_e32 v32, v32
	v_cvt_i32_f32_e32 v46, v46
	v_exp_f32_e32 v35, v35
	v_ldexp_f32 v17, v17, v38
	v_cmp_ngt_f32_e32 vcc, s1, v0
	v_ldexp_f32 v20, v20, v40
	v_cndmask_b32_e32 v17, 0, v17, vcc
	v_cmp_ngt_f32_e32 vcc, s1, v1
	v_ldexp_f32 v28, v28, v42
	v_cndmask_b32_e32 v20, 0, v20, vcc
	;; [unrolled: 3-line block ×4, first 2 shown]
	v_cmp_ngt_f32_e32 vcc, s1, v3
	v_cndmask_b32_e32 v35, 0, v35, vcc
	v_cmp_nlt_f32_e32 vcc, s0, v0
	v_sub_f32_e32 v19, v23, v27
	v_cndmask_b32_e32 v0, v34, v17, vcc
	v_cmp_nlt_f32_e32 vcc, s0, v1
	v_mul_f32_e32 v36, 0x3fb8aa3b, v19
	v_cndmask_b32_e32 v17, v34, v20, vcc
	v_cmp_nlt_f32_e32 vcc, s0, v2
	v_cvt_f16_f32_e32 v2, v0
	v_fma_f32 v47, v19, s6, -v36
	v_rndne_f32_e32 v48, v36
	v_fmac_f32_e32 v47, 0x32a5705f, v19
	v_sub_f32_e32 v36, v36, v48
	v_cndmask_b32_e32 v1, v34, v28, vcc
	v_add_f32_e32 v36, v36, v47
	v_cmp_nlt_f32_e32 vcc, s0, v18
	v_cvt_f16_f32_e32 v20, v1
	v_cvt_i32_f32_e32 v48, v48
	v_exp_f32_e32 v36, v36
	v_cndmask_b32_e32 v18, v34, v32, vcc
	v_fmac_f32_e32 v17, v9, v0
	v_mul_u32_u24_e32 v0, 0x10001, v2
	v_cmp_nlt_f32_e32 vcc, s0, v3
	v_max_f32_e32 v2, v24, v24
	v_max_f32_e32 v3, v4, v4
	;; [unrolled: 1-line block ×3, first 2 shown]
	v_sub_f32_e32 v3, v4, v28
	v_fmac_f32_e32 v18, v10, v1
	v_mul_u32_u24_e32 v1, 0x10001, v20
	v_mul_f32_e32 v4, 0x3fb8aa3b, v3
	v_pk_mul_f16 v95, v95, v0
	v_pk_mul_f16 v94, v94, v1
	v_cndmask_b32_e32 v0, v34, v35, vcc
	v_ldexp_f32 v1, v36, v48
	v_cmp_ngt_f32_e32 vcc, s1, v19
	v_fma_f32 v9, v3, s6, -v4
	v_rndne_f32_e32 v10, v4
	v_cndmask_b32_e32 v1, 0, v1, vcc
	v_cmp_nlt_f32_e32 vcc, s0, v19
	v_fmac_f32_e32 v9, 0x32a5705f, v3
	v_sub_f32_e32 v4, v4, v10
	v_cndmask_b32_e32 v19, v34, v1, vcc
	v_cvt_f16_f32_e32 v1, v0
	v_add_f32_e32 v4, v4, v9
	v_exp_f32_e32 v4, v4
	v_cvt_i32_f32_e32 v9, v10
	v_fmac_f32_e32 v19, v11, v0
	v_mul_u32_u24_e32 v0, 0x10001, v1
	v_sub_f32_e32 v1, v24, v28
	v_pk_mul_f16 v93, v93, v0
	v_ldexp_f32 v0, v4, v9
	v_mul_f32_e32 v4, 0x3fb8aa3b, v1
	v_fma_f32 v9, v1, s6, -v4
	v_rndne_f32_e32 v10, v4
	v_fmac_f32_e32 v9, 0x32a5705f, v1
	v_sub_f32_e32 v4, v4, v10
	v_add_f32_e32 v4, v4, v9
	v_exp_f32_e32 v4, v4
	v_cvt_i32_f32_e32 v9, v10
	v_cmp_ngt_f32_e32 vcc, s1, v3
	v_cndmask_b32_e32 v0, 0, v0, vcc
	v_cmp_nlt_f32_e32 vcc, s0, v3
	v_cndmask_b32_e32 v0, v34, v0, vcc
	v_ldexp_f32 v3, v4, v9
	v_cmp_ngt_f32_e32 vcc, s1, v1
	v_cndmask_b32_e32 v3, 0, v3, vcc
	v_cmp_nlt_f32_e32 vcc, s0, v1
	v_cndmask_b32_e32 v20, v34, v3, vcc
	v_max_f32_e32 v3, v5, v5
	v_max_f32_e32 v29, v3, v29
	v_sub_f32_e32 v3, v5, v29
	v_mul_f32_e32 v4, 0x3fb8aa3b, v3
	v_fma_f32 v5, v3, s6, -v4
	v_rndne_f32_e32 v9, v4
	v_fmac_f32_e32 v5, 0x32a5705f, v3
	v_sub_f32_e32 v4, v4, v9
	v_cvt_f16_f32_e32 v1, v0
	v_add_f32_e32 v4, v4, v5
	v_exp_f32_e32 v4, v4
	v_cvt_i32_f32_e32 v5, v9
	v_fmac_f32_e32 v20, v12, v0
	v_mul_u32_u24_e32 v0, 0x10001, v1
	v_sub_f32_e32 v1, v21, v29
	v_pk_mul_f16 v92, v92, v0
	v_ldexp_f32 v0, v4, v5
	v_mul_f32_e32 v4, 0x3fb8aa3b, v1
	v_fma_f32 v5, v1, s6, -v4
	v_rndne_f32_e32 v9, v4
	v_fmac_f32_e32 v5, 0x32a5705f, v1
	v_sub_f32_e32 v4, v4, v9
	v_add_f32_e32 v4, v4, v5
	v_exp_f32_e32 v4, v4
	v_cvt_i32_f32_e32 v5, v9
	v_cmp_ngt_f32_e32 vcc, s1, v3
	v_cndmask_b32_e32 v0, 0, v0, vcc
	v_cmp_nlt_f32_e32 vcc, s0, v3
	v_cndmask_b32_e32 v0, v34, v0, vcc
	v_ldexp_f32 v3, v4, v5
	v_cmp_ngt_f32_e32 vcc, s1, v1
	v_cndmask_b32_e32 v3, 0, v3, vcc
	v_cmp_nlt_f32_e32 vcc, s0, v1
	v_cndmask_b32_e32 v21, v34, v3, vcc
	v_max_f32_e32 v3, v6, v6
	v_max_f32_e32 v30, v3, v30
	v_sub_f32_e32 v3, v6, v30
	v_mul_f32_e32 v4, 0x3fb8aa3b, v3
	v_fma_f32 v5, v3, s6, -v4
	v_rndne_f32_e32 v6, v4
	v_fmac_f32_e32 v5, 0x32a5705f, v3
	v_sub_f32_e32 v4, v4, v6
	;; [unrolled: 34-line block ×4, first 2 shown]
	v_cvt_f16_f32_e32 v1, v0
	v_add_f32_e32 v3, v3, v4
	v_exp_f32_e32 v3, v3
	v_cvt_i32_f32_e32 v4, v5
	v_fmac_f32_e32 v23, v15, v0
	v_mul_u32_u24_e32 v0, 0x10001, v1
	v_sub_f32_e32 v1, v24, v32
	v_pk_mul_f16 v89, v89, v0
	v_ldexp_f32 v0, v3, v4
	v_mul_f32_e32 v3, 0x3fb8aa3b, v1
	v_fma_f32 v4, v1, s6, -v3
	v_rndne_f32_e32 v5, v3
	v_fmac_f32_e32 v4, 0x32a5705f, v1
	v_sub_f32_e32 v3, v3, v5
	v_add_f32_e32 v3, v3, v4
	v_exp_f32_e32 v3, v3
	v_cvt_i32_f32_e32 v4, v5
	v_cmp_ngt_f32_e32 vcc, s1, v2
	v_cndmask_b32_e32 v0, 0, v0, vcc
	v_cmp_nlt_f32_e32 vcc, s0, v2
	v_cndmask_b32_e32 v0, v34, v0, vcc
	v_ldexp_f32 v2, v3, v4
	v_cvt_f16_f32_e32 v3, v0
	v_cmp_ngt_f32_e32 vcc, s1, v1
	v_cndmask_b32_e32 v2, 0, v2, vcc
	v_cmp_nlt_f32_e32 vcc, s0, v1
	v_cndmask_b32_e32 v24, v34, v2, vcc
	v_fmac_f32_e32 v24, v16, v0
	v_mul_u32_u24_e32 v0, 0x10001, v3
	v_mov_b32_e32 v1, v25
	v_pk_mul_f16 v88, v88, v0
	v_mov_b32_e32 v2, v26
	v_mov_b32_e32 v3, v27
	;; [unrolled: 1-line block ×15, first 2 shown]
	v_cmp_gt_i32_e32 vcc, s2, v58
	s_and_saveexec_b64 s[0:1], vcc
	s_cbranch_execnz .LBB17_14
	s_branch .LBB17_50
.LBB17_13:
	v_mov_b32_e32 v24, v16
	v_mov_b32_e32 v23, v15
	;; [unrolled: 1-line block ×8, first 2 shown]
	s_waitcnt vmcnt(0)
	v_cmp_gt_i32_e32 vcc, s2, v58
	s_and_saveexec_b64 s[0:1], vcc
	s_cbranch_execz .LBB17_50
.LBB17_14:
	s_load_dword s6, s[4:5], 0xd4
	v_mov_b32_e32 v25, 1.0
	s_waitcnt lgkmcnt(0)
	s_cmp_lg_u32 s6, 1
	s_cselect_b64 s[4:5], -1, 0
	s_cmp_eq_u32 s6, 1
	s_cselect_b64 s[8:9], -1, 0
	s_and_b64 vcc, exec, s[4:5]
	s_cbranch_vccnz .LBB17_16
; %bb.15:
	v_div_scale_f32 v0, s[0:1], v9, v9, 1.0
	v_div_scale_f32 v25, vcc, 1.0, v9, 1.0
	v_rcp_f32_e32 v26, v0
	v_fma_f32 v27, -v0, v26, 1.0
	v_fmac_f32_e32 v26, v27, v26
	v_mul_f32_e32 v27, v25, v26
	v_fma_f32 v28, -v0, v27, v25
	v_fmac_f32_e32 v27, v28, v26
	v_fma_f32 v0, -v0, v27, v25
	v_div_fmas_f32 v0, v0, v26, v27
	v_div_fixup_f32 v25, v0, v9, 1.0
.LBB17_16:
	s_mul_i32 s10, s33, s2
	s_add_i32 s10, s10, s14
	v_add_u32_e32 v0, s10, v57
	v_mul_lo_u32 v9, v0, s3
	v_cvt_f32_f16_e32 v0, v95
	v_cvt_f32_f16_sdwa v26, v95 dst_sel:DWORD dst_unused:UNUSED_PAD src0_sel:WORD_1
	v_cmp_eq_u32_e32 vcc, 0, v62
	v_add_u32_e32 v27, s28, v9
	v_mul_lo_u32 v30, s6, v27
	v_mul_f32_e32 v28, v25, v0
	v_mul_f32_e32 v29, v25, v26
	v_mov_b32_e32 v27, 0
	v_add_u32_e32 v25, s7, v30
	v_lshl_add_u32 v26, v25, 6, v33
	v_lshlrev_b64 v[26:27], 2, v[26:27]
	v_mov_b32_e32 v0, s21
	v_add_co_u32_e64 v26, s[0:1], s20, v26
	v_addc_co_u32_e64 v27, s[0:1], v0, v27, s[0:1]
	s_and_b64 s[4:5], vcc, s[4:5]
	global_store_dwordx2 v[26:27], v[28:29], off
	s_and_saveexec_b64 s[0:1], s[4:5]
	s_cbranch_execz .LBB17_18
; %bb.17:
	v_ashrrev_i32_e32 v26, 31, v25
	v_lshlrev_b64 v[25:26], 3, v[25:26]
	v_mov_b32_e32 v0, s23
	v_add_co_u32_e32 v25, vcc, s22, v25
	v_addc_co_u32_e32 v26, vcc, v0, v26, vcc
	v_mov_b32_e32 v0, v1
	v_mov_b32_e32 v1, v17
	global_store_dwordx2 v[25:26], v[0:1], off
.LBB17_18:
	s_or_b64 exec, exec, s[0:1]
	v_cndmask_b32_e64 v0, 0, 1, s[8:9]
	v_cmp_ne_u32_e64 s[0:1], 1, v0
	s_andn2_b64 vcc, exec, s[8:9]
	v_mov_b32_e32 v1, 1.0
	s_cbranch_vccnz .LBB17_20
; %bb.19:
	v_div_scale_f32 v0, s[8:9], v10, v10, 1.0
	v_div_scale_f32 v1, vcc, 1.0, v10, 1.0
	v_rcp_f32_e32 v17, v0
	v_fma_f32 v25, -v0, v17, 1.0
	v_fmac_f32_e32 v17, v25, v17
	v_mul_f32_e32 v25, v1, v17
	v_fma_f32 v26, -v0, v25, v1
	v_fmac_f32_e32 v25, v26, v17
	v_fma_f32 v0, -v0, v25, v1
	v_div_fmas_f32 v0, v0, v17, v25
	v_div_fixup_f32 v1, v0, v10, 1.0
.LBB17_20:
	s_add_i32 s13, s28, 1
	v_add_u32_e32 v0, s13, v9
	v_mul_lo_u32 v0, s6, v0
	v_cvt_f32_f16_e32 v10, v94
	v_cvt_f32_f16_sdwa v17, v94 dst_sel:DWORD dst_unused:UNUSED_PAD src0_sel:WORD_1
	v_mov_b32_e32 v28, 0
	v_add_u32_e32 v0, s7, v0
	v_lshl_add_u32 v27, v0, 6, v33
	v_lshlrev_b64 v[27:28], 2, v[27:28]
	v_mul_f32_e32 v25, v1, v10
	v_mul_f32_e32 v26, v1, v17
	v_mov_b32_e32 v1, s21
	v_add_co_u32_e32 v27, vcc, s20, v27
	v_addc_co_u32_e32 v28, vcc, v1, v28, vcc
	global_store_dwordx2 v[27:28], v[25:26], off
	s_and_saveexec_b64 s[8:9], s[4:5]
	s_cbranch_execz .LBB17_22
; %bb.21:
	v_ashrrev_i32_e32 v1, 31, v0
	v_lshlrev_b64 v[0:1], 3, v[0:1]
	v_mov_b32_e32 v10, s23
	v_add_co_u32_e32 v0, vcc, s22, v0
	v_addc_co_u32_e32 v1, vcc, v10, v1, vcc
	v_mov_b32_e32 v17, v2
	global_store_dwordx2 v[0:1], v[17:18], off
.LBB17_22:
	s_or_b64 exec, exec, s[8:9]
	s_and_b64 vcc, exec, s[0:1]
	v_mov_b32_e32 v1, 1.0
	s_cbranch_vccnz .LBB17_24
; %bb.23:
	v_div_scale_f32 v0, s[8:9], v11, v11, 1.0
	v_div_scale_f32 v1, vcc, 1.0, v11, 1.0
	v_rcp_f32_e32 v2, v0
	v_fma_f32 v10, -v0, v2, 1.0
	v_fmac_f32_e32 v2, v10, v2
	v_mul_f32_e32 v10, v1, v2
	v_fma_f32 v17, -v0, v10, v1
	v_fmac_f32_e32 v10, v17, v2
	v_fma_f32 v0, -v0, v10, v1
	v_div_fmas_f32 v0, v0, v2, v10
	v_div_fixup_f32 v1, v0, v11, 1.0
.LBB17_24:
	s_add_i32 s12, s28, 2
	v_add_u32_e32 v0, s12, v9
	v_mul_lo_u32 v0, s6, v0
	v_cvt_f32_f16_e32 v2, v93
	v_cvt_f32_f16_sdwa v11, v93 dst_sel:DWORD dst_unused:UNUSED_PAD src0_sel:WORD_1
	v_mov_b32_e32 v17, s21
	v_add_u32_e32 v0, s7, v0
	v_mul_f32_e32 v10, v1, v2
	v_mul_f32_e32 v11, v1, v11
	v_lshl_add_u32 v1, v0, 6, v33
	v_mov_b32_e32 v2, 0
	v_lshlrev_b64 v[1:2], 2, v[1:2]
	v_add_co_u32_e32 v1, vcc, s20, v1
	v_addc_co_u32_e32 v2, vcc, v17, v2, vcc
	global_store_dwordx2 v[1:2], v[10:11], off
	s_and_saveexec_b64 s[8:9], s[4:5]
	s_cbranch_execz .LBB17_26
; %bb.25:
	v_ashrrev_i32_e32 v1, 31, v0
	v_lshlrev_b64 v[0:1], 3, v[0:1]
	v_mov_b32_e32 v2, s23
	v_add_co_u32_e32 v0, vcc, s22, v0
	v_addc_co_u32_e32 v1, vcc, v2, v1, vcc
	v_mov_b32_e32 v18, v3
	global_store_dwordx2 v[0:1], v[18:19], off
.LBB17_26:
	s_or_b64 exec, exec, s[8:9]
	s_and_b64 vcc, exec, s[0:1]
	v_mov_b32_e32 v1, 1.0
	s_cbranch_vccnz .LBB17_28
; %bb.27:
	v_div_scale_f32 v0, s[8:9], v12, v12, 1.0
	v_div_scale_f32 v1, vcc, 1.0, v12, 1.0
	v_rcp_f32_e32 v2, v0
	v_fma_f32 v3, -v0, v2, 1.0
	v_fmac_f32_e32 v2, v3, v2
	v_mul_f32_e32 v3, v1, v2
	v_fma_f32 v10, -v0, v3, v1
	v_fmac_f32_e32 v3, v10, v2
	v_fma_f32 v0, -v0, v3, v1
	v_div_fmas_f32 v0, v0, v2, v3
	v_div_fixup_f32 v1, v0, v12, 1.0
.LBB17_28:
	s_add_i32 s11, s28, 3
	v_add_u32_e32 v0, s11, v9
	v_mul_lo_u32 v0, s6, v0
	v_cvt_f32_f16_e32 v2, v92
	v_cvt_f32_f16_sdwa v3, v92 dst_sel:DWORD dst_unused:UNUSED_PAD src0_sel:WORD_1
	v_mov_b32_e32 v10, 0
	v_add_u32_e32 v0, s7, v0
	v_lshl_add_u32 v9, v0, 6, v33
	v_lshlrev_b64 v[9:10], 2, v[9:10]
	v_mul_f32_e32 v2, v1, v2
	v_mul_f32_e32 v3, v1, v3
	v_mov_b32_e32 v1, s21
	v_add_co_u32_e32 v9, vcc, s20, v9
	v_addc_co_u32_e32 v10, vcc, v1, v10, vcc
	global_store_dwordx2 v[9:10], v[2:3], off
	s_and_saveexec_b64 s[8:9], s[4:5]
	s_cbranch_execz .LBB17_30
; %bb.29:
	v_ashrrev_i32_e32 v1, 31, v0
	v_lshlrev_b64 v[0:1], 3, v[0:1]
	v_mov_b32_e32 v2, s23
	v_add_co_u32_e32 v0, vcc, s22, v0
	v_addc_co_u32_e32 v1, vcc, v2, v1, vcc
	v_mov_b32_e32 v19, v4
	global_store_dwordx2 v[0:1], v[19:20], off
.LBB17_30:
	s_or_b64 exec, exec, s[8:9]
	v_cmp_gt_i32_e32 vcc, s2, v56
	s_and_b64 exec, exec, vcc
	s_cbranch_execz .LBB17_50
; %bb.31:
	s_and_b64 vcc, exec, s[0:1]
	v_mov_b32_e32 v0, 1.0
	s_cbranch_vccnz .LBB17_33
; %bb.32:
	v_div_scale_f32 v0, s[8:9], v13, v13, 1.0
	v_div_scale_f32 v1, vcc, 1.0, v13, 1.0
	v_rcp_f32_e32 v2, v0
	v_fma_f32 v3, -v0, v2, 1.0
	v_fmac_f32_e32 v2, v3, v2
	v_mul_f32_e32 v3, v1, v2
	v_fma_f32 v4, -v0, v3, v1
	v_fmac_f32_e32 v3, v4, v2
	v_fma_f32 v0, -v0, v3, v1
	v_div_fmas_f32 v0, v0, v2, v3
	v_div_fixup_f32 v0, v0, v13, 1.0
.LBB17_33:
	v_add_u32_e32 v1, s10, v55
	v_mul_lo_u32 v1, v1, s3
	v_cvt_f32_f16_e32 v3, v91
	v_cvt_f32_f16_sdwa v4, v91 dst_sel:DWORD dst_unused:UNUSED_PAD src0_sel:WORD_1
	v_mov_b32_e32 v2, 0
	v_add_u32_e32 v1, s28, v1
	v_mul_lo_u32 v1, s6, v1
	v_mul_f32_e32 v3, v0, v3
	v_mul_f32_e32 v4, v0, v4
	v_mov_b32_e32 v9, s21
	v_add_u32_e32 v0, s7, v1
	v_lshl_add_u32 v1, v0, 6, v33
	v_lshlrev_b64 v[1:2], 2, v[1:2]
	v_add_co_u32_e32 v1, vcc, s20, v1
	v_addc_co_u32_e32 v2, vcc, v9, v2, vcc
	global_store_dwordx2 v[1:2], v[3:4], off
	s_and_saveexec_b64 s[8:9], s[4:5]
	s_cbranch_execz .LBB17_35
; %bb.34:
	v_ashrrev_i32_e32 v1, 31, v0
	v_lshlrev_b64 v[0:1], 3, v[0:1]
	v_mov_b32_e32 v2, s23
	v_add_co_u32_e32 v0, vcc, s22, v0
	v_addc_co_u32_e32 v1, vcc, v2, v1, vcc
	v_mov_b32_e32 v20, v5
	global_store_dwordx2 v[0:1], v[20:21], off
.LBB17_35:
	s_or_b64 exec, exec, s[8:9]
	v_cmp_gt_i32_e32 vcc, s2, v54
	s_and_b64 exec, exec, vcc
	s_cbranch_execz .LBB17_50
; %bb.36:
	s_and_b64 vcc, exec, s[0:1]
	v_mov_b32_e32 v0, 1.0
	s_cbranch_vccnz .LBB17_38
; %bb.37:
	v_div_scale_f32 v0, s[8:9], v14, v14, 1.0
	v_div_scale_f32 v1, vcc, 1.0, v14, 1.0
	v_rcp_f32_e32 v2, v0
	v_fma_f32 v3, -v0, v2, 1.0
	v_fmac_f32_e32 v2, v3, v2
	v_mul_f32_e32 v3, v1, v2
	v_fma_f32 v4, -v0, v3, v1
	v_fmac_f32_e32 v3, v4, v2
	v_fma_f32 v0, -v0, v3, v1
	v_div_fmas_f32 v0, v0, v2, v3
	v_div_fixup_f32 v0, v0, v14, 1.0
.LBB17_38:
	v_add_u32_e32 v1, s10, v53
	v_mul_lo_u32 v1, v1, s3
	v_cvt_f32_f16_e32 v3, v90
	v_cvt_f32_f16_sdwa v4, v90 dst_sel:DWORD dst_unused:UNUSED_PAD src0_sel:WORD_1
	v_mov_b32_e32 v2, 0
	v_add_u32_e32 v1, s13, v1
	v_mul_lo_u32 v1, s6, v1
	v_mul_f32_e32 v3, v0, v3
	v_mul_f32_e32 v4, v0, v4
	v_mov_b32_e32 v5, s21
	v_add_u32_e32 v0, s7, v1
	v_lshl_add_u32 v1, v0, 6, v33
	v_lshlrev_b64 v[1:2], 2, v[1:2]
	;; [unrolled: 48-line block ×4, first 2 shown]
	v_add_co_u32_e32 v1, vcc, s20, v1
	v_addc_co_u32_e32 v2, vcc, v5, v2, vcc
	global_store_dwordx2 v[1:2], v[3:4], off
	s_and_b64 exec, exec, s[4:5]
	s_cbranch_execz .LBB17_50
; %bb.49:
	v_ashrrev_i32_e32 v1, 31, v0
	v_lshlrev_b64 v[0:1], 3, v[0:1]
	v_mov_b32_e32 v2, s23
	v_add_co_u32_e32 v0, vcc, s22, v0
	v_addc_co_u32_e32 v1, vcc, v2, v1, vcc
	v_mov_b32_e32 v23, v8
	global_store_dwordx2 v[0:1], v[23:24], off
	s_endpgm
.LBB17_50:
	s_endpgm
	.section	.rodata,"a",@progbits
	.p2align	6, 0x0
	.amdhsa_kernel _ZL15flash_attn_tileILi64ELi64ELi16ELi4ELb0EEvPKcS1_S1_S1_S1_PKiPfP15HIP_vector_typeIfLj2EEffffjfiS5_IjLj3EEiiiiiiiiiiiliiliiiiil
		.amdhsa_group_segment_fixed_size 25600
		.amdhsa_private_segment_fixed_size 68
		.amdhsa_kernarg_size 464
		.amdhsa_user_sgpr_count 6
		.amdhsa_user_sgpr_private_segment_buffer 1
		.amdhsa_user_sgpr_dispatch_ptr 0
		.amdhsa_user_sgpr_queue_ptr 0
		.amdhsa_user_sgpr_kernarg_segment_ptr 1
		.amdhsa_user_sgpr_dispatch_id 0
		.amdhsa_user_sgpr_flat_scratch_init 0
		.amdhsa_user_sgpr_private_segment_size 0
		.amdhsa_uses_dynamic_stack 0
		.amdhsa_system_sgpr_private_segment_wavefront_offset 1
		.amdhsa_system_sgpr_workgroup_id_x 1
		.amdhsa_system_sgpr_workgroup_id_y 1
		.amdhsa_system_sgpr_workgroup_id_z 1
		.amdhsa_system_sgpr_workgroup_info 0
		.amdhsa_system_vgpr_workitem_id 1
		.amdhsa_next_free_vgpr 128
		.amdhsa_next_free_sgpr 98
		.amdhsa_reserve_vcc 1
		.amdhsa_reserve_flat_scratch 0
		.amdhsa_float_round_mode_32 0
		.amdhsa_float_round_mode_16_64 0
		.amdhsa_float_denorm_mode_32 3
		.amdhsa_float_denorm_mode_16_64 3
		.amdhsa_dx10_clamp 1
		.amdhsa_ieee_mode 1
		.amdhsa_fp16_overflow 0
		.amdhsa_exception_fp_ieee_invalid_op 0
		.amdhsa_exception_fp_denorm_src 0
		.amdhsa_exception_fp_ieee_div_zero 0
		.amdhsa_exception_fp_ieee_overflow 0
		.amdhsa_exception_fp_ieee_underflow 0
		.amdhsa_exception_fp_ieee_inexact 0
		.amdhsa_exception_int_div_zero 0
	.end_amdhsa_kernel
	.section	.text._ZL15flash_attn_tileILi64ELi64ELi16ELi4ELb0EEvPKcS1_S1_S1_S1_PKiPfP15HIP_vector_typeIfLj2EEffffjfiS5_IjLj3EEiiiiiiiiiiiliiliiiiil,"axG",@progbits,_ZL15flash_attn_tileILi64ELi64ELi16ELi4ELb0EEvPKcS1_S1_S1_S1_PKiPfP15HIP_vector_typeIfLj2EEffffjfiS5_IjLj3EEiiiiiiiiiiiliiliiiiil,comdat
.Lfunc_end17:
	.size	_ZL15flash_attn_tileILi64ELi64ELi16ELi4ELb0EEvPKcS1_S1_S1_S1_PKiPfP15HIP_vector_typeIfLj2EEffffjfiS5_IjLj3EEiiiiiiiiiiiliiliiiiil, .Lfunc_end17-_ZL15flash_attn_tileILi64ELi64ELi16ELi4ELb0EEvPKcS1_S1_S1_S1_PKiPfP15HIP_vector_typeIfLj2EEffffjfiS5_IjLj3EEiiiiiiiiiiiliiliiiiil
                                        ; -- End function
	.set _ZL15flash_attn_tileILi64ELi64ELi16ELi4ELb0EEvPKcS1_S1_S1_S1_PKiPfP15HIP_vector_typeIfLj2EEffffjfiS5_IjLj3EEiiiiiiiiiiiliiliiiiil.num_vgpr, 128
	.set _ZL15flash_attn_tileILi64ELi64ELi16ELi4ELb0EEvPKcS1_S1_S1_S1_PKiPfP15HIP_vector_typeIfLj2EEffffjfiS5_IjLj3EEiiiiiiiiiiiliiliiiiil.num_agpr, 0
	.set _ZL15flash_attn_tileILi64ELi64ELi16ELi4ELb0EEvPKcS1_S1_S1_S1_PKiPfP15HIP_vector_typeIfLj2EEffffjfiS5_IjLj3EEiiiiiiiiiiiliiliiiiil.numbered_sgpr, 48
	.set _ZL15flash_attn_tileILi64ELi64ELi16ELi4ELb0EEvPKcS1_S1_S1_S1_PKiPfP15HIP_vector_typeIfLj2EEffffjfiS5_IjLj3EEiiiiiiiiiiiliiliiiiil.num_named_barrier, 0
	.set _ZL15flash_attn_tileILi64ELi64ELi16ELi4ELb0EEvPKcS1_S1_S1_S1_PKiPfP15HIP_vector_typeIfLj2EEffffjfiS5_IjLj3EEiiiiiiiiiiiliiliiiiil.private_seg_size, 68
	.set _ZL15flash_attn_tileILi64ELi64ELi16ELi4ELb0EEvPKcS1_S1_S1_S1_PKiPfP15HIP_vector_typeIfLj2EEffffjfiS5_IjLj3EEiiiiiiiiiiiliiliiiiil.uses_vcc, 1
	.set _ZL15flash_attn_tileILi64ELi64ELi16ELi4ELb0EEvPKcS1_S1_S1_S1_PKiPfP15HIP_vector_typeIfLj2EEffffjfiS5_IjLj3EEiiiiiiiiiiiliiliiiiil.uses_flat_scratch, 0
	.set _ZL15flash_attn_tileILi64ELi64ELi16ELi4ELb0EEvPKcS1_S1_S1_S1_PKiPfP15HIP_vector_typeIfLj2EEffffjfiS5_IjLj3EEiiiiiiiiiiiliiliiiiil.has_dyn_sized_stack, 0
	.set _ZL15flash_attn_tileILi64ELi64ELi16ELi4ELb0EEvPKcS1_S1_S1_S1_PKiPfP15HIP_vector_typeIfLj2EEffffjfiS5_IjLj3EEiiiiiiiiiiiliiliiiiil.has_recursion, 0
	.set _ZL15flash_attn_tileILi64ELi64ELi16ELi4ELb0EEvPKcS1_S1_S1_S1_PKiPfP15HIP_vector_typeIfLj2EEffffjfiS5_IjLj3EEiiiiiiiiiiiliiliiiiil.has_indirect_call, 0
	.section	.AMDGPU.csdata,"",@progbits
; Kernel info:
; codeLenInByte = 24920
; TotalNumSgprs: 52
; NumVgprs: 128
; ScratchSize: 68
; MemoryBound: 0
; FloatMode: 240
; IeeeMode: 1
; LDSByteSize: 25600 bytes/workgroup (compile time only)
; SGPRBlocks: 12
; VGPRBlocks: 31
; NumSGPRsForWavesPerEU: 102
; NumVGPRsForWavesPerEU: 128
; Occupancy: 2
; WaveLimiterHint : 1
; COMPUTE_PGM_RSRC2:SCRATCH_EN: 1
; COMPUTE_PGM_RSRC2:USER_SGPR: 6
; COMPUTE_PGM_RSRC2:TRAP_HANDLER: 0
; COMPUTE_PGM_RSRC2:TGID_X_EN: 1
; COMPUTE_PGM_RSRC2:TGID_Y_EN: 1
; COMPUTE_PGM_RSRC2:TGID_Z_EN: 1
; COMPUTE_PGM_RSRC2:TIDIG_COMP_CNT: 1
	.section	.text._ZL25flash_attn_mask_to_KV_maxILi16EEvPK7__half2Piiii,"axG",@progbits,_ZL25flash_attn_mask_to_KV_maxILi16EEvPK7__half2Piiii,comdat
	.globl	_ZL25flash_attn_mask_to_KV_maxILi16EEvPK7__half2Piiii ; -- Begin function _ZL25flash_attn_mask_to_KV_maxILi16EEvPK7__half2Piiii
	.p2align	8
	.type	_ZL25flash_attn_mask_to_KV_maxILi16EEvPK7__half2Piiii,@function
_ZL25flash_attn_mask_to_KV_maxILi16EEvPK7__half2Piiii: ; @_ZL25flash_attn_mask_to_KV_maxILi16EEvPK7__half2Piiii
; %bb.0:
	s_load_dwordx4 s[8:11], s[4:5], 0x0
	v_cmp_gt_u32_e32 vcc, 32, v0
	s_and_saveexec_b64 s[0:1], vcc
; %bb.1:
	v_lshlrev_b32_e32 v1, 2, v0
	v_mov_b32_e32 v2, 1
	ds_write_b32 v1, v2
; %bb.2:
	s_or_b64 exec, exec, s[0:1]
	s_load_dwordx4 s[12:15], s[4:5], 0x10
	s_load_dword s33, s[4:5], 0x20
	v_and_b32_e32 v1, 31, v0
	v_lshlrev_b32_e32 v6, 2, v1
	v_lshrrev_b32_e32 v5, 3, v0
	s_waitcnt lgkmcnt(0)
	s_mul_i32 s1, s6, s13
	s_mul_i32 s0, s14, s7
	s_lshl_b32 s1, s1, 4
	s_add_i32 s0, s0, s1
	s_ashr_i32 s1, s0, 31
	s_lshl_b64 s[0:1], s[0:1], 2
	s_add_u32 s72, s8, s0
	s_addc_u32 s73, s9, s1
	v_cmp_eq_u32_e64 s[0:1], 0, v1
	v_mbcnt_lo_u32_b32 v1, -1, 0
	s_lshl_b32 s12, s12, 8
	s_mov_b64 s[4:5], 0
	v_mov_b32_e32 v2, 0
	s_movk_i32 s74, 0x204
	v_mbcnt_hi_u32_b32 v7, -1, v1
	s_barrier
                                        ; implicit-def: $sgpr2_sgpr3
	s_branch .LBB18_5
.LBB18_3:                               ;   in Loop: Header=BB18_5 Depth=1
	s_or_b64 exec, exec, s[8:9]
	s_waitcnt lgkmcnt(0)
	s_barrier
	ds_read_b32 v10, v6
	s_waitcnt lgkmcnt(0)
	s_barrier
	ds_bpermute_b32 v1, v1, v10
	v_cmp_ne_u32_e32 vcc, 0, v10
	s_waitcnt lgkmcnt(0)
	v_cmp_ne_u32_e64 s[2:3], 0, v1
	s_and_b64 s[2:3], vcc, s[2:3]
	v_cndmask_b32_e64 v1, 0, 1, s[2:3]
	ds_bpermute_b32 v1, v3, v1
	s_waitcnt lgkmcnt(0)
	v_cmp_ne_u32_e32 vcc, 0, v1
	s_and_b64 s[2:3], vcc, s[2:3]
	v_cndmask_b32_e64 v1, 0, 1, s[2:3]
	ds_bpermute_b32 v1, v4, v1
	s_waitcnt lgkmcnt(0)
	v_cmp_ne_u32_e32 vcc, 0, v1
	;; [unrolled: 5-line block ×3, first 2 shown]
	s_and_b64 s[2:3], vcc, s[2:3]
	v_cndmask_b32_e64 v1, 0, 1, s[2:3]
	ds_bpermute_b32 v1, v9, v1
	s_xor_b64 s[2:3], s[2:3], -1
	s_waitcnt lgkmcnt(0)
	v_cmp_eq_u32_e32 vcc, 0, v1
	s_or_b64 s[2:3], vcc, s[2:3]
.LBB18_4:                               ;   in Loop: Header=BB18_5 Depth=1
	s_and_b64 s[8:9], exec, s[2:3]
	s_or_b64 s[4:5], s[8:9], s[4:5]
	v_mov_b32_e32 v1, s12
	s_mov_b32 s12, s75
	s_andn2_b64 exec, exec, s[4:5]
	s_cbranch_execz .LBB18_68
.LBB18_5:                               ; =>This Inner Loop Header: Depth=1
	s_add_i32 s75, s12, 0xffffff00
	s_or_b64 s[2:3], s[2:3], exec
	s_cmp_lt_i32 s75, 0
	s_cbranch_scc1 .LBB18_4
; %bb.6:                                ;   in Loop: Header=BB18_5 Depth=1
	s_lshr_b32 s2, s75, 1
	v_add_u32_e32 v1, s2, v0
	v_lshlrev_b64 v[3:4], 2, v[1:2]
	v_mov_b32_e32 v8, s73
	v_add_co_u32_e32 v3, vcc, s72, v3
	v_addc_co_u32_e32 v4, vcc, v8, v4, vcc
	global_load_dword v3, v[3:4], off
	v_mov_b32_e32 v4, 0
	s_waitcnt vmcnt(0)
	v_cmp_class_f16_e64 s[2:3], v3, s74
	v_cmp_class_f16_sdwa s[8:9], v3, s74 src0_sel:WORD_1 src1_sel:DWORD
	s_and_b64 s[8:9], s[2:3], s[8:9]
	s_and_saveexec_b64 s[2:3], s[8:9]
	s_cbranch_execz .LBB18_66
; %bb.7:                                ;   in Loop: Header=BB18_5 Depth=1
	v_add_u32_e32 v3, s13, v1
	v_ashrrev_i32_e32 v4, 31, v3
	v_lshlrev_b64 v[8:9], 2, v[3:4]
	v_mov_b32_e32 v1, s73
	v_add_co_u32_e32 v8, vcc, s72, v8
	v_addc_co_u32_e32 v9, vcc, v1, v9, vcc
	global_load_dword v1, v[8:9], off
	v_mov_b32_e32 v4, 0
	s_waitcnt vmcnt(0)
	v_cmp_class_f16_e64 s[14:15], v1, s74
	s_and_saveexec_b64 s[8:9], s[14:15]
	s_cbranch_execz .LBB18_65
; %bb.8:                                ;   in Loop: Header=BB18_5 Depth=1
	v_cmp_class_f16_sdwa s[16:17], v1, s74 src0_sel:WORD_1 src1_sel:DWORD
	v_mov_b32_e32 v4, 0
	s_and_saveexec_b64 s[14:15], s[16:17]
	s_cbranch_execz .LBB18_64
; %bb.9:                                ;   in Loop: Header=BB18_5 Depth=1
	v_add_u32_e32 v3, s13, v3
	v_ashrrev_i32_e32 v4, 31, v3
	v_lshlrev_b64 v[8:9], 2, v[3:4]
	v_mov_b32_e32 v1, s73
	v_add_co_u32_e32 v8, vcc, s72, v8
	v_addc_co_u32_e32 v9, vcc, v1, v9, vcc
	global_load_dword v1, v[8:9], off
	v_mov_b32_e32 v4, 0
	s_waitcnt vmcnt(0)
	v_cmp_class_f16_e64 s[18:19], v1, s74
	s_and_saveexec_b64 s[16:17], s[18:19]
	s_cbranch_execz .LBB18_63
; %bb.10:                               ;   in Loop: Header=BB18_5 Depth=1
	v_cmp_class_f16_sdwa s[20:21], v1, s74 src0_sel:WORD_1 src1_sel:DWORD
	v_mov_b32_e32 v4, 0
	s_and_saveexec_b64 s[18:19], s[20:21]
	s_cbranch_execz .LBB18_62
; %bb.11:                               ;   in Loop: Header=BB18_5 Depth=1
	v_add_u32_e32 v3, s13, v3
	v_ashrrev_i32_e32 v4, 31, v3
	v_lshlrev_b64 v[8:9], 2, v[3:4]
	v_mov_b32_e32 v1, s73
	v_add_co_u32_e32 v8, vcc, s72, v8
	v_addc_co_u32_e32 v9, vcc, v1, v9, vcc
	global_load_dword v1, v[8:9], off
	v_mov_b32_e32 v4, 0
	s_waitcnt vmcnt(0)
	v_cmp_class_f16_e64 s[22:23], v1, s74
	s_and_saveexec_b64 s[20:21], s[22:23]
	s_cbranch_execz .LBB18_61
; %bb.12:                               ;   in Loop: Header=BB18_5 Depth=1
	v_cmp_class_f16_sdwa s[24:25], v1, s74 src0_sel:WORD_1 src1_sel:DWORD
	v_mov_b32_e32 v4, 0
	s_and_saveexec_b64 s[22:23], s[24:25]
	s_cbranch_execz .LBB18_60
; %bb.13:                               ;   in Loop: Header=BB18_5 Depth=1
	;; [unrolled: 18-line block ×13, first 2 shown]
	v_add_u32_e32 v3, s13, v3
	v_ashrrev_i32_e32 v4, 31, v3
	v_lshlrev_b64 v[3:4], 2, v[3:4]
	v_mov_b32_e32 v1, s73
	v_add_co_u32_e32 v3, vcc, s72, v3
	v_addc_co_u32_e32 v4, vcc, v1, v4, vcc
	global_load_dword v1, v[3:4], off
	v_mov_b32_e32 v4, 0
	s_waitcnt vmcnt(0)
	v_cmp_class_f16_e64 s[76:77], v1, s74
	s_and_saveexec_b64 s[70:71], s[76:77]
; %bb.36:                               ;   in Loop: Header=BB18_5 Depth=1
	v_cmp_class_f16_sdwa s[76:77], v1, s74 src0_sel:WORD_1 src1_sel:DWORD
	v_cndmask_b32_e64 v4, 0, 1, s[76:77]
; %bb.37:                               ;   in Loop: Header=BB18_5 Depth=1
	s_or_b64 exec, exec, s[70:71]
.LBB18_38:                              ;   in Loop: Header=BB18_5 Depth=1
	s_or_b64 exec, exec, s[68:69]
.LBB18_39:                              ;   in Loop: Header=BB18_5 Depth=1
	s_or_b64 exec, exec, s[66:67]
.LBB18_40:                              ;   in Loop: Header=BB18_5 Depth=1
	s_or_b64 exec, exec, s[64:65]
.LBB18_41:                              ;   in Loop: Header=BB18_5 Depth=1
	s_or_b64 exec, exec, s[62:63]
.LBB18_42:                              ;   in Loop: Header=BB18_5 Depth=1
	s_or_b64 exec, exec, s[60:61]
.LBB18_43:                              ;   in Loop: Header=BB18_5 Depth=1
	s_or_b64 exec, exec, s[58:59]
.LBB18_44:                              ;   in Loop: Header=BB18_5 Depth=1
	s_or_b64 exec, exec, s[56:57]
.LBB18_45:                              ;   in Loop: Header=BB18_5 Depth=1
	s_or_b64 exec, exec, s[54:55]
.LBB18_46:                              ;   in Loop: Header=BB18_5 Depth=1
	s_or_b64 exec, exec, s[52:53]
.LBB18_47:                              ;   in Loop: Header=BB18_5 Depth=1
	s_or_b64 exec, exec, s[50:51]
.LBB18_48:                              ;   in Loop: Header=BB18_5 Depth=1
	s_or_b64 exec, exec, s[48:49]
.LBB18_49:                              ;   in Loop: Header=BB18_5 Depth=1
	s_or_b64 exec, exec, s[46:47]
.LBB18_50:                              ;   in Loop: Header=BB18_5 Depth=1
	s_or_b64 exec, exec, s[44:45]
.LBB18_51:                              ;   in Loop: Header=BB18_5 Depth=1
	s_or_b64 exec, exec, s[42:43]
.LBB18_52:                              ;   in Loop: Header=BB18_5 Depth=1
	s_or_b64 exec, exec, s[40:41]
.LBB18_53:                              ;   in Loop: Header=BB18_5 Depth=1
	s_or_b64 exec, exec, s[38:39]
.LBB18_54:                              ;   in Loop: Header=BB18_5 Depth=1
	s_or_b64 exec, exec, s[36:37]
.LBB18_55:                              ;   in Loop: Header=BB18_5 Depth=1
	s_or_b64 exec, exec, s[34:35]
.LBB18_56:                              ;   in Loop: Header=BB18_5 Depth=1
	s_or_b64 exec, exec, s[30:31]
.LBB18_57:                              ;   in Loop: Header=BB18_5 Depth=1
	s_or_b64 exec, exec, s[28:29]
.LBB18_58:                              ;   in Loop: Header=BB18_5 Depth=1
	s_or_b64 exec, exec, s[26:27]
.LBB18_59:                              ;   in Loop: Header=BB18_5 Depth=1
	s_or_b64 exec, exec, s[24:25]
.LBB18_60:                              ;   in Loop: Header=BB18_5 Depth=1
	s_or_b64 exec, exec, s[22:23]
.LBB18_61:                              ;   in Loop: Header=BB18_5 Depth=1
	s_or_b64 exec, exec, s[20:21]
.LBB18_62:                              ;   in Loop: Header=BB18_5 Depth=1
	s_or_b64 exec, exec, s[18:19]
.LBB18_63:                              ;   in Loop: Header=BB18_5 Depth=1
	s_or_b64 exec, exec, s[16:17]
.LBB18_64:                              ;   in Loop: Header=BB18_5 Depth=1
	s_or_b64 exec, exec, s[14:15]
.LBB18_65:                              ;   in Loop: Header=BB18_5 Depth=1
	s_or_b64 exec, exec, s[8:9]
.LBB18_66:                              ;   in Loop: Header=BB18_5 Depth=1
	s_or_b64 exec, exec, s[2:3]
	v_and_b32_e32 v1, 0x60, v7
	v_add_u32_e32 v9, 32, v1
	v_xor_b32_e32 v1, 16, v7
	v_cmp_lt_i32_e32 vcc, v1, v9
	v_cndmask_b32_e32 v1, v7, v1, vcc
	v_lshlrev_b32_e32 v1, 2, v1
	ds_bpermute_b32 v3, v1, v4
	v_cmp_ne_u32_e32 vcc, 0, v4
	v_xor_b32_e32 v11, 1, v7
	s_waitcnt lgkmcnt(0)
	v_cmp_ne_u32_e64 s[2:3], 0, v3
	v_xor_b32_e32 v3, 8, v7
	s_and_b64 s[2:3], vcc, s[2:3]
	v_cmp_lt_i32_e32 vcc, v3, v9
	v_cndmask_b32_e32 v3, v7, v3, vcc
	v_cndmask_b32_e64 v4, 0, 1, s[2:3]
	v_lshlrev_b32_e32 v3, 2, v3
	ds_bpermute_b32 v4, v3, v4
	s_waitcnt lgkmcnt(0)
	v_cmp_ne_u32_e32 vcc, 0, v4
	v_xor_b32_e32 v4, 4, v7
	s_and_b64 s[2:3], vcc, s[2:3]
	v_cmp_lt_i32_e32 vcc, v4, v9
	v_cndmask_b32_e32 v4, v7, v4, vcc
	v_cndmask_b32_e64 v8, 0, 1, s[2:3]
	v_lshlrev_b32_e32 v4, 2, v4
	ds_bpermute_b32 v8, v4, v8
	s_waitcnt lgkmcnt(0)
	v_cmp_ne_u32_e32 vcc, 0, v8
	;; [unrolled: 9-line block ×3, first 2 shown]
	s_and_b64 s[2:3], vcc, s[2:3]
	v_cmp_lt_i32_e32 vcc, v11, v9
	v_cndmask_b32_e32 v9, v7, v11, vcc
	v_cndmask_b32_e64 v10, 0, 1, s[2:3]
	v_lshlrev_b32_e32 v9, 2, v9
	ds_bpermute_b32 v10, v9, v10
	s_and_saveexec_b64 s[8:9], s[0:1]
	s_cbranch_execz .LBB18_3
; %bb.67:                               ;   in Loop: Header=BB18_5 Depth=1
	s_waitcnt lgkmcnt(0)
	v_cmp_ne_u32_e32 vcc, 0, v10
	s_and_b64 s[2:3], vcc, s[2:3]
	v_cndmask_b32_e64 v10, 0, 1, s[2:3]
	ds_write_b32 v5, v10
	s_branch .LBB18_3
.LBB18_68:
	s_or_b64 exec, exec, s[4:5]
	v_cmp_eq_u32_e32 vcc, 0, v0
	s_and_saveexec_b64 s[0:1], vcc
	s_cbranch_execz .LBB18_70
; %bb.69:
	s_mul_i32 s0, s33, s7
	s_add_i32 s0, s0, s6
	s_ashr_i32 s1, s0, 31
	s_lshl_b64 s[0:1], s[0:1], 2
	s_add_u32 s0, s10, s0
	s_addc_u32 s1, s11, s1
	v_mov_b32_e32 v0, 0
	global_store_dword v0, v1, s[0:1]
.LBB18_70:
	s_endpgm
	.section	.rodata,"a",@progbits
	.p2align	6, 0x0
	.amdhsa_kernel _ZL25flash_attn_mask_to_KV_maxILi16EEvPK7__half2Piiii
		.amdhsa_group_segment_fixed_size 128
		.amdhsa_private_segment_fixed_size 0
		.amdhsa_kernarg_size 288
		.amdhsa_user_sgpr_count 6
		.amdhsa_user_sgpr_private_segment_buffer 1
		.amdhsa_user_sgpr_dispatch_ptr 0
		.amdhsa_user_sgpr_queue_ptr 0
		.amdhsa_user_sgpr_kernarg_segment_ptr 1
		.amdhsa_user_sgpr_dispatch_id 0
		.amdhsa_user_sgpr_flat_scratch_init 0
		.amdhsa_user_sgpr_private_segment_size 0
		.amdhsa_uses_dynamic_stack 0
		.amdhsa_system_sgpr_private_segment_wavefront_offset 0
		.amdhsa_system_sgpr_workgroup_id_x 1
		.amdhsa_system_sgpr_workgroup_id_y 1
		.amdhsa_system_sgpr_workgroup_id_z 0
		.amdhsa_system_sgpr_workgroup_info 0
		.amdhsa_system_vgpr_workitem_id 0
		.amdhsa_next_free_vgpr 12
		.amdhsa_next_free_sgpr 78
		.amdhsa_reserve_vcc 1
		.amdhsa_reserve_flat_scratch 0
		.amdhsa_float_round_mode_32 0
		.amdhsa_float_round_mode_16_64 0
		.amdhsa_float_denorm_mode_32 3
		.amdhsa_float_denorm_mode_16_64 3
		.amdhsa_dx10_clamp 1
		.amdhsa_ieee_mode 1
		.amdhsa_fp16_overflow 0
		.amdhsa_exception_fp_ieee_invalid_op 0
		.amdhsa_exception_fp_denorm_src 0
		.amdhsa_exception_fp_ieee_div_zero 0
		.amdhsa_exception_fp_ieee_overflow 0
		.amdhsa_exception_fp_ieee_underflow 0
		.amdhsa_exception_fp_ieee_inexact 0
		.amdhsa_exception_int_div_zero 0
	.end_amdhsa_kernel
	.section	.text._ZL25flash_attn_mask_to_KV_maxILi16EEvPK7__half2Piiii,"axG",@progbits,_ZL25flash_attn_mask_to_KV_maxILi16EEvPK7__half2Piiii,comdat
.Lfunc_end18:
	.size	_ZL25flash_attn_mask_to_KV_maxILi16EEvPK7__half2Piiii, .Lfunc_end18-_ZL25flash_attn_mask_to_KV_maxILi16EEvPK7__half2Piiii
                                        ; -- End function
	.set _ZL25flash_attn_mask_to_KV_maxILi16EEvPK7__half2Piiii.num_vgpr, 12
	.set _ZL25flash_attn_mask_to_KV_maxILi16EEvPK7__half2Piiii.num_agpr, 0
	.set _ZL25flash_attn_mask_to_KV_maxILi16EEvPK7__half2Piiii.numbered_sgpr, 78
	.set _ZL25flash_attn_mask_to_KV_maxILi16EEvPK7__half2Piiii.num_named_barrier, 0
	.set _ZL25flash_attn_mask_to_KV_maxILi16EEvPK7__half2Piiii.private_seg_size, 0
	.set _ZL25flash_attn_mask_to_KV_maxILi16EEvPK7__half2Piiii.uses_vcc, 1
	.set _ZL25flash_attn_mask_to_KV_maxILi16EEvPK7__half2Piiii.uses_flat_scratch, 0
	.set _ZL25flash_attn_mask_to_KV_maxILi16EEvPK7__half2Piiii.has_dyn_sized_stack, 0
	.set _ZL25flash_attn_mask_to_KV_maxILi16EEvPK7__half2Piiii.has_recursion, 0
	.set _ZL25flash_attn_mask_to_KV_maxILi16EEvPK7__half2Piiii.has_indirect_call, 0
	.section	.AMDGPU.csdata,"",@progbits
; Kernel info:
; codeLenInByte = 2064
; TotalNumSgprs: 82
; NumVgprs: 12
; ScratchSize: 0
; MemoryBound: 0
; FloatMode: 240
; IeeeMode: 1
; LDSByteSize: 128 bytes/workgroup (compile time only)
; SGPRBlocks: 10
; VGPRBlocks: 2
; NumSGPRsForWavesPerEU: 82
; NumVGPRsForWavesPerEU: 12
; Occupancy: 9
; WaveLimiterHint : 0
; COMPUTE_PGM_RSRC2:SCRATCH_EN: 0
; COMPUTE_PGM_RSRC2:USER_SGPR: 6
; COMPUTE_PGM_RSRC2:TRAP_HANDLER: 0
; COMPUTE_PGM_RSRC2:TGID_X_EN: 1
; COMPUTE_PGM_RSRC2:TGID_Y_EN: 1
; COMPUTE_PGM_RSRC2:TGID_Z_EN: 0
; COMPUTE_PGM_RSRC2:TIDIG_COMP_CNT: 0
	.section	.text._ZL33flash_attn_stream_k_fixup_uniformILi64ELi16ELi4EEvPfPK15HIP_vector_typeIfLj2EEiiiiiiS1_IjLj3EES5_S5_,"axG",@progbits,_ZL33flash_attn_stream_k_fixup_uniformILi64ELi16ELi4EEvPfPK15HIP_vector_typeIfLj2EEiiiiiiS1_IjLj3EES5_S5_,comdat
	.globl	_ZL33flash_attn_stream_k_fixup_uniformILi64ELi16ELi4EEvPfPK15HIP_vector_typeIfLj2EEiiiiiiS1_IjLj3EES5_S5_ ; -- Begin function _ZL33flash_attn_stream_k_fixup_uniformILi64ELi16ELi4EEvPfPK15HIP_vector_typeIfLj2EEiiiiiiS1_IjLj3EES5_S5_
	.p2align	8
	.type	_ZL33flash_attn_stream_k_fixup_uniformILi64ELi16ELi4EEvPfPK15HIP_vector_typeIfLj2EEiiiiiiS1_IjLj3EES5_S5_,@function
_ZL33flash_attn_stream_k_fixup_uniformILi64ELi16ELi4EEvPfPK15HIP_vector_typeIfLj2EEiiiiiiS1_IjLj3EES5_S5_: ; @_ZL33flash_attn_stream_k_fixup_uniformILi64ELi16ELi4EEvPfPK15HIP_vector_typeIfLj2EEiiiiiiS1_IjLj3EES5_S5_
; %bb.0:
	s_load_dwordx8 s[12:19], s[4:5], 0x1c
	s_load_dwordx2 s[10:11], s[4:5], 0x10
	s_load_dwordx4 s[0:3], s[4:5], 0x3c
	s_waitcnt lgkmcnt(0)
	s_mul_hi_u32 s9, s15, s6
	s_add_i32 s9, s6, s9
	s_lshr_b32 s9, s9, s16
	s_mul_i32 s15, s9, s17
	s_sub_i32 s15, s6, s15
	s_mul_hi_u32 s16, s15, s18
	s_add_i32 s16, s15, s16
	s_lshr_b32 s16, s16, s19
	s_mul_i32 s0, s16, s0
	s_sub_i32 s0, s15, s0
	;; [unrolled: 5-line block ×3, first 2 shown]
	s_lshl_b32 s0, s17, 4
	s_lshl_b32 s15, s1, 2
	s_add_i32 s0, s0, s7
	s_cmp_lt_i32 s0, s10
	s_cselect_b64 s[0:1], -1, 0
	s_add_i32 s2, s15, s8
	s_cmp_lt_i32 s2, s13
	s_cselect_b64 s[2:3], -1, 0
	s_and_b64 s[0:1], s[0:1], s[2:3]
	s_andn2_b64 vcc, exec, s[0:1]
	s_cbranch_vccnz .LBB19_6
; %bb.1:
	s_load_dwordx4 s[0:3], s[4:5], 0x0
	s_mul_i32 s4, s9, s10
	s_add_i32 s4, s4, s7
	s_mul_i32 s4, s4, s11
	s_mul_i32 s16, s16, s13
	s_add_i32 s4, s4, s8
	s_add_i32 s4, s4, s16
	s_mul_i32 s5, s11, s17
	s_add_i32 s4, s4, s15
	s_lshl_b32 s5, s5, 10
	s_lshl_b32 s4, s4, 6
	s_add_i32 s5, s5, s4
	v_or_b32_e32 v1, s5, v0
	v_ashrrev_i32_e32 v2, 31, v1
	v_lshlrev_b64 v[1:2], 2, v[1:2]
	s_waitcnt lgkmcnt(0)
	v_mov_b32_e32 v3, s1
	v_add_co_u32_e32 v1, vcc, s0, v1
	v_addc_co_u32_e32 v2, vcc, v3, v2, vcc
	global_load_dword v8, v[1:2], off
	s_mul_i32 s9, s14, s6
	s_lshl_b32 s4, s7, 2
	s_add_i32 s11, s9, s14
	s_add_i32 s0, s4, s8
	s_lshl_b32 s1, s11, 6
	s_add_i32 s0, s0, s1
	s_sub_i32 s0, s0, 64
	s_ashr_i32 s1, s0, 31
	s_lshl_b64 s[0:1], s[0:1], 3
	s_add_u32 s0, s2, s0
	s_addc_u32 s1, s3, s1
	s_load_dword s5, s[0:1], 0x4
	s_add_i32 s10, s11, -2
	s_cmp_lt_i32 s10, s9
	s_cbranch_scc1 .LBB19_4
; %bb.2:
	s_lshl_b32 s16, s12, 8
	s_ashr_i32 s17, s16, 31
	s_lshl_b64 s[16:17], s[16:17], 2
	s_add_u32 s10, s2, s16
	s_addc_u32 s13, s3, s17
	s_add_i32 s6, s6, 1
	s_load_dword s0, s[0:1], 0x0
	s_mul_i32 s1, s14, s6
	s_lshl_b32 s7, s7, 8
	s_lshl_b32 s14, s8, 6
	;; [unrolled: 1-line block ×3, first 2 shown]
	s_add_i32 s7, s14, s7
	s_lshl_b32 s1, s1, 6
	s_add_i32 s7, s7, s6
	s_add_i32 s1, s8, s1
	s_lshl_b32 s6, s12, 6
	s_add_i32 s1, s1, s6
	v_or_b32_e32 v0, s7, v0
	s_add_i32 s1, s1, s4
	s_add_i32 s11, s11, -1
	v_add_u32_e32 v3, 0xffffe000, v0
	s_add_i32 s4, s1, 0xffffff80
	s_waitcnt lgkmcnt(0)
	v_mov_b32_e32 v7, s5
	v_mov_b32_e32 v6, s0
	;; [unrolled: 1-line block ×3, first 2 shown]
	s_mov_b32 s6, 0x3fb8aa3b
	s_mov_b32 s7, 0xc2ce8ed0
	;; [unrolled: 1-line block ×3, first 2 shown]
	v_mov_b32_e32 v5, 0x7f800000
	s_mov_b32 s12, 0xc1a00000
.LBB19_3:                               ; =>This Inner Loop Header: Depth=1
	v_ashrrev_i32_e32 v4, 31, v3
	v_lshlrev_b64 v[9:10], 2, v[3:4]
	s_ashr_i32 s5, s4, 31
	v_add_co_u32_e32 v9, vcc, s10, v9
	v_addc_co_u32_e32 v10, vcc, v0, v10, vcc
	global_load_dword v4, v[9:10], off
	s_lshl_b64 s[0:1], s[4:5], 3
	s_add_u32 s0, s2, s0
	s_addc_u32 s1, s3, s1
	s_load_dwordx2 s[14:15], s[0:1], 0x0
	s_waitcnt vmcnt(1)
	v_mov_b32_e32 v9, v8
	v_max_f32_e32 v8, v6, v6
	v_mov_b32_e32 v10, v7
	s_add_i32 s11, s11, -1
	s_waitcnt lgkmcnt(0)
	v_max_f32_e64 v7, s14, s14
	v_max_f32_e32 v7, v8, v7
	v_sub_f32_e32 v11, s14, v7
	v_sub_f32_e32 v8, v6, v7
	v_mul_f32_e32 v12, 0x3fb8aa3b, v11
	v_mov_b32_e32 v6, v7
	v_mul_f32_e32 v7, 0x3fb8aa3b, v8
	v_fma_f32 v15, v11, s6, -v12
	v_rndne_f32_e32 v16, v12
	v_fma_f32 v13, v8, s6, -v7
	v_rndne_f32_e32 v14, v7
	v_fmac_f32_e32 v15, 0x32a5705f, v11
	v_sub_f32_e32 v12, v12, v16
	v_fmac_f32_e32 v13, 0x32a5705f, v8
	v_sub_f32_e32 v7, v7, v14
	v_add_f32_e32 v12, v12, v15
	v_cvt_i32_f32_e32 v16, v16
	v_add_f32_e32 v7, v7, v13
	v_exp_f32_e32 v12, v12
	v_cvt_i32_f32_e32 v14, v14
	v_exp_f32_e32 v7, v7
	v_cmp_ngt_f32_e32 vcc, s7, v11
	v_ldexp_f32 v12, v12, v16
	v_cmp_ngt_f32_e64 s[0:1], s7, v8
	v_ldexp_f32 v7, v7, v14
	v_cndmask_b32_e32 v12, 0, v12, vcc
	v_cmp_nlt_f32_e32 vcc, s8, v11
	v_cndmask_b32_e64 v7, 0, v7, s[0:1]
	v_cmp_nlt_f32_e64 s[0:1], s8, v8
	v_cndmask_b32_e32 v12, v5, v12, vcc
	v_cmp_le_f32_e32 vcc, s12, v11
	v_cndmask_b32_e64 v7, v5, v7, s[0:1]
	v_cmp_le_f32_e64 s[0:1], s12, v8
	v_cndmask_b32_e32 v8, 0, v12, vcc
	s_sub_i32 s4, s4, 64
	v_cndmask_b32_e64 v11, 0, v7, s[0:1]
	v_mul_f32_e32 v7, s15, v8
	v_add_u32_e32 v3, 0xfffff000, v3
	s_cmp_le_i32 s11, s9
	v_fmac_f32_e32 v7, v10, v11
	s_waitcnt vmcnt(0)
	v_mul_f32_e32 v8, v4, v8
	v_fmac_f32_e32 v8, v9, v11
	s_cbranch_scc0 .LBB19_3
	s_branch .LBB19_5
.LBB19_4:
	s_waitcnt lgkmcnt(0)
	v_mov_b32_e32 v7, s5
.LBB19_5:
	s_waitcnt vmcnt(0)
	v_div_scale_f32 v0, s[0:1], v7, v7, v8
	v_div_scale_f32 v3, vcc, v8, v7, v8
	v_rcp_f32_e32 v4, v0
	v_fma_f32 v5, -v0, v4, 1.0
	v_fmac_f32_e32 v4, v5, v4
	v_mul_f32_e32 v5, v3, v4
	v_fma_f32 v6, -v0, v5, v3
	v_fmac_f32_e32 v5, v6, v4
	v_fma_f32 v0, -v0, v5, v3
	v_div_fmas_f32 v0, v0, v4, v5
	v_div_fixup_f32 v0, v0, v7, v8
	global_store_dword v[1:2], v0, off
.LBB19_6:
	s_endpgm
	.section	.rodata,"a",@progbits
	.p2align	6, 0x0
	.amdhsa_kernel _ZL33flash_attn_stream_k_fixup_uniformILi64ELi16ELi4EEvPfPK15HIP_vector_typeIfLj2EEiiiiiiS1_IjLj3EES5_S5_
		.amdhsa_group_segment_fixed_size 0
		.amdhsa_private_segment_fixed_size 0
		.amdhsa_kernarg_size 76
		.amdhsa_user_sgpr_count 6
		.amdhsa_user_sgpr_private_segment_buffer 1
		.amdhsa_user_sgpr_dispatch_ptr 0
		.amdhsa_user_sgpr_queue_ptr 0
		.amdhsa_user_sgpr_kernarg_segment_ptr 1
		.amdhsa_user_sgpr_dispatch_id 0
		.amdhsa_user_sgpr_flat_scratch_init 0
		.amdhsa_user_sgpr_private_segment_size 0
		.amdhsa_uses_dynamic_stack 0
		.amdhsa_system_sgpr_private_segment_wavefront_offset 0
		.amdhsa_system_sgpr_workgroup_id_x 1
		.amdhsa_system_sgpr_workgroup_id_y 1
		.amdhsa_system_sgpr_workgroup_id_z 1
		.amdhsa_system_sgpr_workgroup_info 0
		.amdhsa_system_vgpr_workitem_id 0
		.amdhsa_next_free_vgpr 17
		.amdhsa_next_free_sgpr 20
		.amdhsa_reserve_vcc 1
		.amdhsa_reserve_flat_scratch 0
		.amdhsa_float_round_mode_32 0
		.amdhsa_float_round_mode_16_64 0
		.amdhsa_float_denorm_mode_32 3
		.amdhsa_float_denorm_mode_16_64 3
		.amdhsa_dx10_clamp 1
		.amdhsa_ieee_mode 1
		.amdhsa_fp16_overflow 0
		.amdhsa_exception_fp_ieee_invalid_op 0
		.amdhsa_exception_fp_denorm_src 0
		.amdhsa_exception_fp_ieee_div_zero 0
		.amdhsa_exception_fp_ieee_overflow 0
		.amdhsa_exception_fp_ieee_underflow 0
		.amdhsa_exception_fp_ieee_inexact 0
		.amdhsa_exception_int_div_zero 0
	.end_amdhsa_kernel
	.section	.text._ZL33flash_attn_stream_k_fixup_uniformILi64ELi16ELi4EEvPfPK15HIP_vector_typeIfLj2EEiiiiiiS1_IjLj3EES5_S5_,"axG",@progbits,_ZL33flash_attn_stream_k_fixup_uniformILi64ELi16ELi4EEvPfPK15HIP_vector_typeIfLj2EEiiiiiiS1_IjLj3EES5_S5_,comdat
.Lfunc_end19:
	.size	_ZL33flash_attn_stream_k_fixup_uniformILi64ELi16ELi4EEvPfPK15HIP_vector_typeIfLj2EEiiiiiiS1_IjLj3EES5_S5_, .Lfunc_end19-_ZL33flash_attn_stream_k_fixup_uniformILi64ELi16ELi4EEvPfPK15HIP_vector_typeIfLj2EEiiiiiiS1_IjLj3EES5_S5_
                                        ; -- End function
	.set _ZL33flash_attn_stream_k_fixup_uniformILi64ELi16ELi4EEvPfPK15HIP_vector_typeIfLj2EEiiiiiiS1_IjLj3EES5_S5_.num_vgpr, 17
	.set _ZL33flash_attn_stream_k_fixup_uniformILi64ELi16ELi4EEvPfPK15HIP_vector_typeIfLj2EEiiiiiiS1_IjLj3EES5_S5_.num_agpr, 0
	.set _ZL33flash_attn_stream_k_fixup_uniformILi64ELi16ELi4EEvPfPK15HIP_vector_typeIfLj2EEiiiiiiS1_IjLj3EES5_S5_.numbered_sgpr, 20
	.set _ZL33flash_attn_stream_k_fixup_uniformILi64ELi16ELi4EEvPfPK15HIP_vector_typeIfLj2EEiiiiiiS1_IjLj3EES5_S5_.num_named_barrier, 0
	.set _ZL33flash_attn_stream_k_fixup_uniformILi64ELi16ELi4EEvPfPK15HIP_vector_typeIfLj2EEiiiiiiS1_IjLj3EES5_S5_.private_seg_size, 0
	.set _ZL33flash_attn_stream_k_fixup_uniformILi64ELi16ELi4EEvPfPK15HIP_vector_typeIfLj2EEiiiiiiS1_IjLj3EES5_S5_.uses_vcc, 1
	.set _ZL33flash_attn_stream_k_fixup_uniformILi64ELi16ELi4EEvPfPK15HIP_vector_typeIfLj2EEiiiiiiS1_IjLj3EES5_S5_.uses_flat_scratch, 0
	.set _ZL33flash_attn_stream_k_fixup_uniformILi64ELi16ELi4EEvPfPK15HIP_vector_typeIfLj2EEiiiiiiS1_IjLj3EES5_S5_.has_dyn_sized_stack, 0
	.set _ZL33flash_attn_stream_k_fixup_uniformILi64ELi16ELi4EEvPfPK15HIP_vector_typeIfLj2EEiiiiiiS1_IjLj3EES5_S5_.has_recursion, 0
	.set _ZL33flash_attn_stream_k_fixup_uniformILi64ELi16ELi4EEvPfPK15HIP_vector_typeIfLj2EEiiiiiiS1_IjLj3EES5_S5_.has_indirect_call, 0
	.section	.AMDGPU.csdata,"",@progbits
; Kernel info:
; codeLenInByte = 860
; TotalNumSgprs: 24
; NumVgprs: 17
; ScratchSize: 0
; MemoryBound: 0
; FloatMode: 240
; IeeeMode: 1
; LDSByteSize: 0 bytes/workgroup (compile time only)
; SGPRBlocks: 2
; VGPRBlocks: 4
; NumSGPRsForWavesPerEU: 24
; NumVGPRsForWavesPerEU: 17
; Occupancy: 10
; WaveLimiterHint : 0
; COMPUTE_PGM_RSRC2:SCRATCH_EN: 0
; COMPUTE_PGM_RSRC2:USER_SGPR: 6
; COMPUTE_PGM_RSRC2:TRAP_HANDLER: 0
; COMPUTE_PGM_RSRC2:TGID_X_EN: 1
; COMPUTE_PGM_RSRC2:TGID_Y_EN: 1
; COMPUTE_PGM_RSRC2:TGID_Z_EN: 1
; COMPUTE_PGM_RSRC2:TIDIG_COMP_CNT: 0
	.section	.text._ZL33flash_attn_stream_k_fixup_generalILi64ELi16ELi4EEvPfPK15HIP_vector_typeIfLj2EEiiiiS1_IjLj3EES5_S5_S5_,"axG",@progbits,_ZL33flash_attn_stream_k_fixup_generalILi64ELi16ELi4EEvPfPK15HIP_vector_typeIfLj2EEiiiiS1_IjLj3EES5_S5_S5_,comdat
	.globl	_ZL33flash_attn_stream_k_fixup_generalILi64ELi16ELi4EEvPfPK15HIP_vector_typeIfLj2EEiiiiS1_IjLj3EES5_S5_S5_ ; -- Begin function _ZL33flash_attn_stream_k_fixup_generalILi64ELi16ELi4EEvPfPK15HIP_vector_typeIfLj2EEiiiiS1_IjLj3EES5_S5_S5_
	.p2align	8
	.type	_ZL33flash_attn_stream_k_fixup_generalILi64ELi16ELi4EEvPfPK15HIP_vector_typeIfLj2EEiiiiS1_IjLj3EES5_S5_S5_,@function
_ZL33flash_attn_stream_k_fixup_generalILi64ELi16ELi4EEvPfPK15HIP_vector_typeIfLj2EEiiiiS1_IjLj3EES5_S5_S5_: ; @_ZL33flash_attn_stream_k_fixup_generalILi64ELi16ELi4EEvPfPK15HIP_vector_typeIfLj2EEiiiiS1_IjLj3EES5_S5_S5_
; %bb.0:
	s_load_dwordx4 s[0:3], s[4:5], 0x10
	s_load_dword s22, s[4:5], 0x50
	s_mov_b32 s12, 0
	s_waitcnt lgkmcnt(0)
	s_mul_hi_i32 s13, s3, s6
	s_cmp_lg_u64 s[12:13], 0
	s_mul_i32 s9, s3, s6
	s_cbranch_scc0 .LBB20_20
; %bb.1:
	s_add_u32 s10, s22, 0
	s_addc_u32 s11, 0, 0
	s_xor_b64 s[10:11], s[10:11], 0
	v_cvt_f32_u32_e32 v1, s10
	v_cvt_f32_u32_e32 v2, s11
	s_sub_u32 s12, 0, s10
	s_subb_u32 s18, 0, s11
	v_madmk_f32 v1, v2, 0x4f800000, v1
	v_rcp_f32_e32 v1, v1
	v_mul_f32_e32 v1, 0x5f7ffffc, v1
	v_mul_f32_e32 v2, 0x2f800000, v1
	v_trunc_f32_e32 v2, v2
	v_madmk_f32 v1, v2, 0xcf800000, v1
	v_cvt_u32_f32_e32 v2, v2
	v_cvt_u32_f32_e32 v1, v1
	v_readfirstlane_b32 s19, v2
	v_readfirstlane_b32 s14, v1
	s_mul_i32 s15, s12, s19
	s_mul_hi_u32 s21, s12, s14
	s_mul_i32 s20, s18, s14
	s_add_i32 s15, s21, s15
	s_add_i32 s15, s15, s20
	s_mul_i32 s23, s12, s14
	s_mul_i32 s21, s14, s15
	s_mul_hi_u32 s24, s14, s23
	s_mul_hi_u32 s20, s14, s15
	s_add_u32 s21, s24, s21
	s_addc_u32 s20, 0, s20
	s_mul_hi_u32 s25, s19, s23
	s_mul_i32 s23, s19, s23
	s_add_u32 s21, s21, s23
	s_mul_hi_u32 s24, s19, s15
	s_addc_u32 s20, s20, s25
	s_addc_u32 s21, s24, 0
	s_mul_i32 s15, s19, s15
	s_add_u32 s15, s20, s15
	s_addc_u32 s20, 0, s21
	s_add_u32 s21, s14, s15
	s_cselect_b64 s[14:15], -1, 0
	s_cmp_lg_u64 s[14:15], 0
	s_addc_u32 s19, s19, s20
	s_mul_i32 s14, s12, s19
	s_mul_hi_u32 s15, s12, s21
	s_add_i32 s14, s15, s14
	s_mul_i32 s18, s18, s21
	s_add_i32 s14, s14, s18
	s_mul_i32 s12, s12, s21
	s_mul_hi_u32 s18, s19, s12
	s_mul_i32 s20, s19, s12
	s_mul_i32 s24, s21, s14
	s_mul_hi_u32 s12, s21, s12
	s_mul_hi_u32 s23, s21, s14
	s_add_u32 s12, s12, s24
	s_addc_u32 s23, 0, s23
	s_add_u32 s12, s12, s20
	s_mul_hi_u32 s15, s19, s14
	s_addc_u32 s12, s23, s18
	s_addc_u32 s15, s15, 0
	s_mul_i32 s14, s19, s14
	s_add_u32 s12, s12, s14
	s_addc_u32 s18, 0, s15
	s_add_u32 s20, s21, s12
	s_cselect_b64 s[14:15], -1, 0
	s_cmp_lg_u64 s[14:15], 0
	s_addc_u32 s18, s19, s18
	s_ashr_i32 s14, s13, 31
	s_add_u32 s12, s9, s14
	s_mov_b32 s15, s14
	s_addc_u32 s13, s13, s14
	s_xor_b64 s[12:13], s[12:13], s[14:15]
	s_mul_i32 s21, s12, s18
	s_mul_hi_u32 s23, s12, s20
	s_mul_hi_u32 s19, s12, s18
	s_add_u32 s21, s23, s21
	s_addc_u32 s19, 0, s19
	s_mul_hi_u32 s24, s13, s20
	s_mul_i32 s20, s13, s20
	s_add_u32 s20, s21, s20
	s_mul_hi_u32 s23, s13, s18
	s_addc_u32 s19, s19, s24
	s_addc_u32 s20, s23, 0
	s_mul_i32 s18, s13, s18
	s_add_u32 s23, s19, s18
	s_addc_u32 s24, 0, s20
	s_mul_i32 s18, s10, s24
	s_mul_hi_u32 s19, s10, s23
	s_add_i32 s18, s19, s18
	s_mul_i32 s19, s11, s23
	s_add_i32 s25, s18, s19
	s_sub_i32 s20, s13, s25
	s_mul_i32 s18, s10, s23
	s_sub_u32 s12, s12, s18
	s_cselect_b64 s[18:19], -1, 0
	s_cmp_lg_u64 s[18:19], 0
	s_subb_u32 s26, s20, s11
	s_sub_u32 s27, s12, s10
	s_cselect_b64 s[20:21], -1, 0
	s_cmp_lg_u64 s[20:21], 0
	s_subb_u32 s20, s26, 0
	s_cmp_ge_u32 s20, s11
	s_cselect_b32 s21, -1, 0
	s_cmp_ge_u32 s27, s10
	s_cselect_b32 s26, -1, 0
	s_cmp_eq_u32 s20, s11
	s_cselect_b32 s20, s26, s21
	s_add_u32 s21, s23, 1
	s_addc_u32 s26, s24, 0
	s_add_u32 s27, s23, 2
	s_addc_u32 s28, s24, 0
	s_cmp_lg_u32 s20, 0
	s_cselect_b32 s20, s27, s21
	s_cselect_b32 s21, s28, s26
	s_cmp_lg_u64 s[18:19], 0
	s_subb_u32 s13, s13, s25
	s_cmp_ge_u32 s13, s11
	s_cselect_b32 s18, -1, 0
	s_cmp_ge_u32 s12, s10
	s_cselect_b32 s10, -1, 0
	s_cmp_eq_u32 s13, s11
	s_cselect_b32 s10, s10, s18
	s_cmp_lg_u32 s10, 0
	s_cselect_b32 s11, s21, s24
	s_cselect_b32 s10, s20, s23
	s_xor_b64 s[12:13], s[14:15], 0
	s_xor_b64 s[10:11], s[10:11], s[12:13]
	s_sub_u32 s10, s10, s12
	s_load_dwordx4 s[12:15], s[4:5], 0x44
	s_cbranch_execnz .LBB20_3
.LBB20_2:
	v_cvt_f32_u32_e32 v1, s22
	s_sub_i32 s10, 0, s22
	v_rcp_iflag_f32_e32 v1, v1
	v_mul_f32_e32 v1, 0x4f7ffffe, v1
	v_cvt_u32_f32_e32 v1, v1
	v_readfirstlane_b32 s11, v1
	s_mul_i32 s10, s10, s11
	s_mul_hi_u32 s10, s11, s10
	s_add_i32 s11, s11, s10
	s_mul_hi_u32 s10, s9, s11
	s_waitcnt lgkmcnt(0)
	s_mul_i32 s15, s10, s22
	s_sub_i32 s9, s9, s15
	s_add_i32 s11, s10, 1
	s_sub_i32 s15, s9, s22
	s_cmp_ge_u32 s9, s22
	s_cselect_b32 s10, s11, s10
	s_cselect_b32 s9, s15, s9
	s_add_i32 s11, s10, 1
	s_cmp_ge_u32 s9, s22
	s_cselect_b32 s10, s11, s10
.LBB20_3:
	s_add_i32 s9, s6, 1
	s_mul_hi_i32 s21, s3, s9
	s_mov_b32 s20, 0
	s_cmp_lg_u64 s[20:21], 0
	s_mul_i32 s9, s3, s9
	s_cbranch_scc0 .LBB20_21
; %bb.4:
	s_add_u32 s16, s22, 0
	s_addc_u32 s17, 0, 0
	s_xor_b64 s[18:19], s[16:17], 0
	v_cvt_f32_u32_e32 v1, s18
	v_cvt_f32_u32_e32 v2, s19
	s_sub_u32 s11, 0, s18
	s_waitcnt lgkmcnt(0)
	s_subb_u32 s15, 0, s19
	v_madmk_f32 v1, v2, 0x4f800000, v1
	v_rcp_f32_e32 v1, v1
	v_mul_f32_e32 v1, 0x5f7ffffc, v1
	v_mul_f32_e32 v2, 0x2f800000, v1
	v_trunc_f32_e32 v2, v2
	v_madmk_f32 v1, v2, 0xcf800000, v1
	v_cvt_u32_f32_e32 v2, v2
	v_cvt_u32_f32_e32 v1, v1
	v_readfirstlane_b32 s20, v2
	v_readfirstlane_b32 s23, v1
	s_mul_i32 s24, s11, s20
	s_mul_hi_u32 s26, s11, s23
	s_mul_i32 s25, s15, s23
	s_add_i32 s24, s26, s24
	s_add_i32 s24, s24, s25
	s_mul_i32 s27, s11, s23
	s_mul_i32 s26, s23, s24
	s_mul_hi_u32 s28, s23, s27
	s_mul_hi_u32 s25, s23, s24
	s_add_u32 s26, s28, s26
	s_addc_u32 s25, 0, s25
	s_mul_hi_u32 s29, s20, s27
	s_mul_i32 s27, s20, s27
	s_add_u32 s26, s26, s27
	s_mul_hi_u32 s28, s20, s24
	s_addc_u32 s25, s25, s29
	s_addc_u32 s26, s28, 0
	s_mul_i32 s24, s20, s24
	s_add_u32 s24, s25, s24
	s_addc_u32 s26, 0, s26
	s_add_u32 s23, s23, s24
	s_cselect_b64 s[24:25], -1, 0
	s_cmp_lg_u64 s[24:25], 0
	s_addc_u32 s20, s20, s26
	s_mul_i32 s24, s11, s20
	s_mul_hi_u32 s25, s11, s23
	s_add_i32 s24, s25, s24
	s_mul_i32 s15, s15, s23
	s_add_i32 s24, s24, s15
	s_mul_i32 s11, s11, s23
	s_mul_hi_u32 s25, s20, s11
	s_mul_i32 s26, s20, s11
	s_mul_i32 s28, s23, s24
	s_mul_hi_u32 s11, s23, s11
	s_mul_hi_u32 s27, s23, s24
	s_add_u32 s11, s11, s28
	s_addc_u32 s27, 0, s27
	s_add_u32 s11, s11, s26
	s_mul_hi_u32 s15, s20, s24
	s_addc_u32 s11, s27, s25
	s_addc_u32 s15, s15, 0
	s_mul_i32 s24, s20, s24
	s_add_u32 s11, s11, s24
	s_addc_u32 s15, 0, s15
	s_add_u32 s11, s23, s11
	s_cselect_b64 s[24:25], -1, 0
	s_cmp_lg_u64 s[24:25], 0
	s_addc_u32 s15, s20, s15
	s_ashr_i32 s24, s21, 31
	s_add_u32 s20, s9, s24
	s_mov_b32 s25, s24
	s_addc_u32 s21, s21, s24
	s_xor_b64 s[20:21], s[20:21], s[24:25]
	s_mul_i32 s26, s20, s15
	s_mul_hi_u32 s27, s20, s11
	s_mul_hi_u32 s23, s20, s15
	s_add_u32 s26, s27, s26
	s_addc_u32 s23, 0, s23
	s_mul_hi_u32 s28, s21, s11
	s_mul_i32 s11, s21, s11
	s_add_u32 s11, s26, s11
	s_mul_hi_u32 s27, s21, s15
	s_addc_u32 s11, s23, s28
	s_addc_u32 s23, s27, 0
	s_mul_i32 s15, s21, s15
	s_add_u32 s11, s11, s15
	s_addc_u32 s15, 0, s23
	s_mul_i32 s23, s18, s15
	s_mul_hi_u32 s26, s18, s11
	s_add_i32 s23, s26, s23
	s_mul_i32 s26, s19, s11
	s_add_i32 s23, s23, s26
	s_sub_i32 s28, s21, s23
	s_mul_i32 s26, s18, s11
	s_sub_u32 s20, s20, s26
	s_cselect_b64 s[26:27], -1, 0
	s_cmp_lg_u64 s[26:27], 0
	s_subb_u32 s30, s28, s19
	s_sub_u32 s31, s20, s18
	s_cselect_b64 s[28:29], -1, 0
	s_cmp_lg_u64 s[28:29], 0
	s_subb_u32 s28, s30, 0
	s_cmp_ge_u32 s28, s19
	s_cselect_b32 s29, -1, 0
	s_cmp_ge_u32 s31, s18
	s_cselect_b32 s30, -1, 0
	s_cmp_eq_u32 s28, s19
	s_cselect_b32 s28, s30, s29
	s_add_u32 s29, s11, 1
	s_addc_u32 s30, s15, 0
	s_add_u32 s31, s11, 2
	s_addc_u32 s33, s15, 0
	s_cmp_lg_u32 s28, 0
	s_cselect_b32 s28, s31, s29
	s_cselect_b32 s29, s33, s30
	s_cmp_lg_u64 s[26:27], 0
	s_subb_u32 s21, s21, s23
	s_cmp_ge_u32 s21, s19
	s_cselect_b32 s23, -1, 0
	s_cmp_ge_u32 s20, s18
	s_cselect_b32 s18, -1, 0
	s_cmp_eq_u32 s21, s19
	s_cselect_b32 s18, s18, s23
	s_cmp_lg_u32 s18, 0
	s_cselect_b32 s19, s29, s15
	s_cselect_b32 s18, s28, s11
	s_xor_b64 s[20:21], s[24:25], 0
	s_xor_b64 s[18:19], s[18:19], s[20:21]
	s_sub_u32 s18, s18, s20
	s_cbranch_execnz .LBB20_6
.LBB20_5:
	v_cvt_f32_u32_e32 v1, s22
	s_sub_i32 s11, 0, s22
	v_rcp_iflag_f32_e32 v1, v1
	v_mul_f32_e32 v1, 0x4f7ffffe, v1
	v_cvt_u32_f32_e32 v1, v1
	s_waitcnt lgkmcnt(0)
	v_readfirstlane_b32 s15, v1
	s_mul_i32 s11, s11, s15
	s_mul_hi_u32 s11, s15, s11
	s_add_i32 s15, s15, s11
	s_mul_hi_u32 s11, s9, s15
	s_mul_i32 s16, s11, s22
	s_sub_i32 s9, s9, s16
	s_add_i32 s15, s11, 1
	s_sub_i32 s16, s9, s22
	s_cmp_ge_u32 s9, s22
	s_cselect_b32 s11, s15, s11
	s_cselect_b32 s9, s16, s9
	s_add_i32 s15, s11, 1
	s_cmp_ge_u32 s9, s22
	s_cselect_b32 s18, s15, s11
.LBB20_6:
	s_cmp_eq_u32 s10, s18
	s_waitcnt lgkmcnt(0)
	s_mul_hi_u32 s9, s10, s12
	s_cselect_b64 s[16:17], -1, 0
	s_add_i32 s9, s9, s10
	s_lshr_b32 s11, s9, s13
	s_mul_i32 s9, s11, s14
	s_cmp_eq_u32 s9, s10
	s_mul_hi_u32 s9, s18, s12
	s_cselect_b64 s[20:21], -1, 0
	s_add_i32 s9, s9, s18
	s_lshr_b32 s9, s9, s13
	s_cmp_eq_u32 s11, s9
	s_mul_i32 s9, s9, s14
	s_cselect_b64 s[24:25], -1, 0
	s_cmp_lg_u32 s9, s18
	s_cselect_b64 s[18:19], -1, 0
	s_and_b64 s[18:19], s[24:25], s[18:19]
	s_or_b64 s[16:17], s[16:17], s[20:21]
	s_or_b64 s[16:17], s[16:17], s[18:19]
	s_and_b64 vcc, exec, s[16:17]
	s_cbranch_vccnz .LBB20_23
; %bb.7:
	s_load_dwordx8 s[24:31], s[4:5], 0x20
	s_load_dword s15, s[4:5], 0x40
	s_waitcnt lgkmcnt(0)
	s_mul_hi_u32 s9, s10, s24
	s_add_i32 s9, s9, s10
	s_lshr_b32 s9, s9, s25
	s_mul_i32 s16, s9, s26
	s_sub_i32 s16, s10, s16
	s_mul_hi_u32 s17, s16, s27
	s_add_i32 s17, s16, s17
	s_lshr_b32 s23, s17, s28
	s_mul_i32 s17, s23, s29
	s_sub_i32 s16, s16, s17
	;; [unrolled: 5-line block ×3, first 2 shown]
	s_mul_hi_u32 s16, s15, s12
	s_add_i32 s15, s15, s16
	s_lshr_b32 s25, s15, s13
	s_lshl_b32 s15, s25, 4
	s_lshl_b32 s24, s17, 2
	s_add_i32 s15, s15, s7
	s_cmp_lt_i32 s15, s0
	s_cselect_b64 s[16:17], -1, 0
	s_add_i32 s15, s24, s8
	s_cmp_lt_i32 s15, s2
	s_cselect_b64 s[18:19], -1, 0
	s_and_b64 s[16:17], s[16:17], s[18:19]
	s_andn2_b64 vcc, exec, s[16:17]
	s_cbranch_vccnz .LBB20_23
; %bb.8:
	s_load_dwordx4 s[16:19], s[4:5], 0x0
	s_mov_b32 s4, 0
	s_lshl_b32 s15, s7, 2
	s_lshl_b32 s20, s22, 8
	s_mov_b32 s21, s4
	s_add_i32 s15, s15, s8
	s_lshl_b64 s[20:21], s[20:21], 2
	s_waitcnt lgkmcnt(0)
	s_add_u32 s20, s18, s20
	s_mul_i32 s0, s9, s0
	s_addc_u32 s21, s19, s21
	s_add_i32 s0, s0, s7
	s_mul_i32 s0, s0, s1
	s_mul_i32 s23, s23, s2
	s_add_i32 s0, s0, s8
	s_add_i32 s0, s0, s23
	s_mul_i32 s2, s1, s25
	s_add_i32 s0, s0, s24
	s_lshl_b32 s2, s2, 10
	s_lshl_b32 s0, s0, 6
	s_add_i32 s2, s2, s0
	v_or_b32_e32 v1, s2, v0
	v_ashrrev_i32_e32 v2, 31, v1
	v_lshlrev_b64 v[1:2], 2, v[1:2]
	v_mov_b32_e32 v3, s17
	v_add_co_u32_e32 v1, vcc, s16, v1
	v_addc_co_u32_e32 v2, vcc, v3, v2, vcc
	global_load_dword v3, v[1:2], off
	v_cvt_f32_u32_e32 v4, s22
	s_lshl_b32 s0, s6, 6
	s_add_i32 s0, s15, s0
	s_ashr_i32 s1, s0, 31
	s_lshl_b64 s[0:1], s[0:1], 3
	v_rcp_iflag_f32_e32 v4, v4
	s_add_u32 s0, s18, s0
	s_addc_u32 s1, s19, s1
	s_load_dwordx2 s[0:1], s[0:1], 0x0
	v_mul_f32_e32 v4, 0x4f7ffffe, v4
	v_cvt_u32_f32_e32 v4, v4
	s_add_i32 s24, s6, -1
	v_lshl_or_b32 v0, s15, 6, v0
	s_waitcnt lgkmcnt(0)
	v_mov_b32_e32 v6, s1
	v_mov_b32_e32 v7, s0
	s_mov_b32 s2, 0x3fb8aa3b
	s_mov_b32 s16, 0xc2ce8ed0
	;; [unrolled: 1-line block ×4, first 2 shown]
	v_mov_b32_e32 v5, 0x7f800000
	s_mul_hi_i32 s5, s24, s3
	s_cmp_lg_u64 s[4:5], 0
	s_mul_i32 s8, s24, s3
	s_cbranch_scc0 .LBB20_19
.LBB20_9:
	s_add_u32 s0, s22, 0
	s_addc_u32 s1, 0, 0
	s_xor_b64 s[0:1], s[0:1], 0
	v_cvt_f32_u32_e32 v8, s0
	v_cvt_f32_u32_e32 v9, s1
	s_sub_u32 s9, 0, s0
	s_subb_u32 s25, 0, s1
	v_mac_f32_e32 v8, 0x4f800000, v9
	v_rcp_f32_e32 v8, v8
	v_mul_f32_e32 v8, 0x5f7ffffc, v8
	v_mul_f32_e32 v9, 0x2f800000, v8
	v_trunc_f32_e32 v9, v9
	v_mac_f32_e32 v8, 0xcf800000, v9
	v_cvt_u32_f32_e32 v9, v9
	v_cvt_u32_f32_e32 v8, v8
	v_readfirstlane_b32 s26, v9
	v_readfirstlane_b32 s6, v8
	s_mul_i32 s7, s9, s26
	s_mul_hi_u32 s28, s9, s6
	s_mul_i32 s27, s25, s6
	s_add_i32 s7, s28, s7
	s_mul_i32 s29, s9, s6
	s_add_i32 s7, s7, s27
	s_mul_i32 s28, s6, s7
	s_mul_hi_u32 s30, s6, s29
	s_mul_hi_u32 s27, s6, s7
	s_add_u32 s28, s30, s28
	s_addc_u32 s27, 0, s27
	s_mul_hi_u32 s31, s26, s29
	s_mul_i32 s29, s26, s29
	s_add_u32 s28, s28, s29
	s_mul_hi_u32 s30, s26, s7
	s_addc_u32 s27, s27, s31
	s_addc_u32 s28, s30, 0
	s_mul_i32 s7, s26, s7
	s_add_u32 s7, s27, s7
	s_addc_u32 s27, 0, s28
	s_add_u32 s28, s6, s7
	s_cselect_b64 s[6:7], -1, 0
	s_cmp_lg_u64 s[6:7], 0
	s_addc_u32 s26, s26, s27
	s_mul_i32 s6, s9, s26
	s_mul_hi_u32 s7, s9, s28
	s_add_i32 s6, s7, s6
	s_mul_i32 s25, s25, s28
	s_add_i32 s6, s6, s25
	s_mul_i32 s9, s9, s28
	s_mul_hi_u32 s25, s26, s9
	s_mul_i32 s27, s26, s9
	s_mul_i32 s30, s28, s6
	s_mul_hi_u32 s9, s28, s9
	s_mul_hi_u32 s29, s28, s6
	s_add_u32 s9, s9, s30
	s_addc_u32 s29, 0, s29
	s_add_u32 s9, s9, s27
	s_mul_hi_u32 s7, s26, s6
	s_addc_u32 s9, s29, s25
	s_addc_u32 s7, s7, 0
	s_mul_i32 s6, s26, s6
	s_add_u32 s6, s9, s6
	s_addc_u32 s9, 0, s7
	s_add_u32 s25, s28, s6
	s_cselect_b64 s[6:7], -1, 0
	s_cmp_lg_u64 s[6:7], 0
	s_addc_u32 s9, s26, s9
	s_ashr_i32 s6, s5, 31
	s_add_u32 s26, s8, s6
	s_mov_b32 s7, s6
	s_addc_u32 s27, s5, s6
	s_xor_b64 s[26:27], s[26:27], s[6:7]
	s_mul_i32 s28, s26, s9
	s_mul_hi_u32 s29, s26, s25
	s_mul_hi_u32 s5, s26, s9
	s_add_u32 s28, s29, s28
	s_addc_u32 s5, 0, s5
	s_mul_hi_u32 s30, s27, s25
	s_mul_i32 s25, s27, s25
	s_add_u32 s25, s28, s25
	s_mul_hi_u32 s29, s27, s9
	s_addc_u32 s5, s5, s30
	s_addc_u32 s25, s29, 0
	s_mul_i32 s9, s27, s9
	s_add_u32 s5, s5, s9
	s_addc_u32 s9, 0, s25
	s_mul_i32 s25, s0, s9
	s_mul_hi_u32 s28, s0, s5
	s_add_i32 s25, s28, s25
	s_mul_i32 s28, s1, s5
	s_add_i32 s25, s25, s28
	s_sub_i32 s30, s27, s25
	s_mul_i32 s28, s0, s5
	s_sub_u32 s26, s26, s28
	s_cselect_b64 s[28:29], -1, 0
	s_cmp_lg_u64 s[28:29], 0
	s_subb_u32 s33, s30, s1
	s_sub_u32 s34, s26, s0
	s_cselect_b64 s[30:31], -1, 0
	s_cmp_lg_u64 s[30:31], 0
	s_subb_u32 s30, s33, 0
	s_cmp_ge_u32 s30, s1
	s_cselect_b32 s31, -1, 0
	s_cmp_ge_u32 s34, s0
	s_cselect_b32 s33, -1, 0
	s_cmp_eq_u32 s30, s1
	s_cselect_b32 s30, s33, s31
	s_add_u32 s31, s5, 1
	s_addc_u32 s33, s9, 0
	s_add_u32 s34, s5, 2
	s_addc_u32 s35, s9, 0
	s_cmp_lg_u32 s30, 0
	s_cselect_b32 s30, s34, s31
	s_cselect_b32 s31, s35, s33
	s_cmp_lg_u64 s[28:29], 0
	s_subb_u32 s25, s27, s25
	s_cmp_ge_u32 s25, s1
	s_cselect_b32 s27, -1, 0
	s_cmp_ge_u32 s26, s0
	s_cselect_b32 s0, -1, 0
	s_cmp_eq_u32 s25, s1
	s_cselect_b32 s0, s0, s27
	s_cmp_lg_u32 s0, 0
	s_cselect_b32 s1, s31, s9
	s_cselect_b32 s0, s30, s5
	s_xor_b64 s[6:7], s[6:7], 0
	s_xor_b64 s[0:1], s[0:1], s[6:7]
	s_sub_u32 s6, s0, s6
	s_cbranch_execnz .LBB20_11
.LBB20_10:
	s_sub_i32 s0, 0, s22
	v_readfirstlane_b32 s1, v4
	s_mul_i32 s0, s0, s1
	s_mul_hi_u32 s0, s1, s0
	s_add_i32 s1, s1, s0
	s_mul_hi_u32 s0, s8, s1
	s_mul_i32 s5, s0, s22
	s_sub_i32 s5, s8, s5
	s_add_i32 s1, s0, 1
	s_sub_i32 s6, s5, s22
	s_cmp_ge_u32 s5, s22
	s_cselect_b32 s0, s1, s0
	s_cselect_b32 s5, s6, s5
	s_add_i32 s1, s0, 1
	s_cmp_ge_u32 s5, s22
	s_cselect_b32 s6, s1, s0
.LBB20_11:
	s_cmp_lg_u32 s10, s6
	s_mov_b64 s[8:9], -1
                                        ; implicit-def: $sgpr0_sgpr1
                                        ; implicit-def: $vgpr10
                                        ; implicit-def: $vgpr8
                                        ; implicit-def: $vgpr9
                                        ; implicit-def: $sgpr5
                                        ; implicit-def: $sgpr7
	s_cbranch_scc1 .LBB20_14
; %bb.12:
	s_andn2_b64 vcc, exec, s[8:9]
	s_cbranch_vccz .LBB20_17
.LBB20_13:
	s_andn2_b64 vcc, exec, s[0:1]
	s_cbranch_vccnz .LBB20_18
	s_branch .LBB20_22
.LBB20_14:
	s_add_i32 s0, s24, s22
	s_lshl_b32 s0, s0, 6
	s_add_i32 s0, s0, s15
	s_mov_b32 s1, s4
	s_lshl_b64 s[0:1], s[0:1], 3
	s_add_u32 s8, s18, s0
	s_mul_hi_u32 s0, s6, s12
	s_addc_u32 s9, s19, s1
	s_add_i32 s0, s0, s6
	s_lshr_b32 s5, s0, s13
	s_mul_i32 s0, s5, s14
	s_cmp_eq_u32 s0, s6
	s_cselect_b64 s[0:1], -1, 0
	s_cmp_lt_u32 s5, s11
	s_cselect_b64 s[26:27], -1, 0
	s_or_b64 s[26:27], s[26:27], s[0:1]
	s_mov_b64 s[0:1], -1
	s_and_b64 vcc, exec, s[26:27]
	s_mov_b32 s5, s24
	s_mov_b32 s7, s10
	s_cbranch_vccnz .LBB20_16
; %bb.15:
	s_add_i32 s5, s24, -1
	s_mov_b64 s[0:1], 0
	s_mov_b32 s7, s6
.LBB20_16:
	v_lshl_add_u32 v8, s24, 12, v0
	v_ashrrev_i32_e32 v9, 31, v8
	v_lshlrev_b64 v[8:9], 2, v[8:9]
	v_mov_b32_e32 v10, s21
	v_add_co_u32_e32 v8, vcc, s20, v8
	v_addc_co_u32_e32 v9, vcc, v10, v9, vcc
	global_load_dword v10, v[8:9], off
	s_load_dwordx2 s[8:9], s[8:9], 0x0
	v_max_f32_e32 v8, v7, v7
	s_waitcnt lgkmcnt(0)
	v_max_f32_e64 v9, s8, s8
	v_max_f32_e32 v8, v8, v9
	v_sub_f32_e32 v9, v7, v8
	v_sub_f32_e32 v11, s8, v8
	v_mul_f32_e32 v12, 0x3fb8aa3b, v9
	v_mul_f32_e32 v13, 0x3fb8aa3b, v11
	v_fma_f32 v14, v9, s2, -v12
	v_rndne_f32_e32 v15, v12
	v_fma_f32 v16, v11, s2, -v13
	v_rndne_f32_e32 v17, v13
	v_fmac_f32_e32 v14, 0x32a5705f, v9
	v_sub_f32_e32 v12, v12, v15
	v_fmac_f32_e32 v16, 0x32a5705f, v11
	v_sub_f32_e32 v13, v13, v17
	v_add_f32_e32 v12, v12, v14
	v_cvt_i32_f32_e32 v15, v15
	v_add_f32_e32 v13, v13, v16
	v_exp_f32_e32 v12, v12
	v_cvt_i32_f32_e32 v17, v17
	v_exp_f32_e32 v13, v13
	v_cmp_ngt_f32_e32 vcc, s16, v9
	v_ldexp_f32 v12, v12, v15
	v_cndmask_b32_e32 v12, 0, v12, vcc
	v_ldexp_f32 v13, v13, v17
	v_cmp_ngt_f32_e32 vcc, s16, v11
	v_cndmask_b32_e32 v13, 0, v13, vcc
	v_cmp_nlt_f32_e32 vcc, s17, v9
	v_cndmask_b32_e32 v12, v5, v12, vcc
	v_cmp_nlt_f32_e32 vcc, s17, v11
	v_cndmask_b32_e32 v13, v5, v13, vcc
	v_cmp_le_f32_e32 vcc, s23, v9
	v_cndmask_b32_e32 v12, 0, v12, vcc
	v_cmp_le_f32_e32 vcc, s23, v11
	v_cndmask_b32_e32 v11, 0, v13, vcc
	v_mul_f32_e32 v9, s9, v11
	v_fmac_f32_e32 v9, v6, v12
	s_waitcnt vmcnt(0)
	v_mul_f32_e32 v10, v10, v11
	v_fmac_f32_e32 v10, v3, v12
	s_cbranch_execnz .LBB20_13
.LBB20_17:
	s_add_i32 s5, s24, -1
	s_mov_b32 s7, s10
	v_mov_b32_e32 v9, v6
	v_mov_b32_e32 v8, v7
	s_waitcnt vmcnt(0)
	v_mov_b32_e32 v10, v3
	s_cbranch_execz .LBB20_22
.LBB20_18:
	s_mov_b32 s10, s7
	s_mov_b32 s24, s5
	v_mov_b32_e32 v6, v9
	v_mov_b32_e32 v7, v8
	s_waitcnt vmcnt(0)
	v_mov_b32_e32 v3, v10
	s_mul_hi_i32 s5, s24, s3
	s_cmp_lg_u64 s[4:5], 0
	s_mul_i32 s8, s24, s3
	s_cbranch_scc1 .LBB20_9
.LBB20_19:
                                        ; implicit-def: $sgpr6_sgpr7
	s_branch .LBB20_10
.LBB20_20:
                                        ; implicit-def: $sgpr10_sgpr11
	s_load_dwordx4 s[12:15], s[4:5], 0x44
	s_branch .LBB20_2
.LBB20_21:
                                        ; implicit-def: $sgpr18_sgpr19
	s_branch .LBB20_5
.LBB20_22:
	v_div_scale_f32 v0, s[0:1], v9, v9, v10
	s_waitcnt vmcnt(0)
	v_div_scale_f32 v3, vcc, v10, v9, v10
	v_rcp_f32_e32 v4, v0
	v_fma_f32 v5, -v0, v4, 1.0
	v_fmac_f32_e32 v4, v5, v4
	v_mul_f32_e32 v5, v3, v4
	v_fma_f32 v6, -v0, v5, v3
	v_fmac_f32_e32 v5, v6, v4
	v_fma_f32 v0, -v0, v5, v3
	v_div_fmas_f32 v0, v0, v4, v5
	v_div_fixup_f32 v0, v0, v9, v10
	global_store_dword v[1:2], v0, off
.LBB20_23:
	s_endpgm
	.section	.rodata,"a",@progbits
	.p2align	6, 0x0
	.amdhsa_kernel _ZL33flash_attn_stream_k_fixup_generalILi64ELi16ELi4EEvPfPK15HIP_vector_typeIfLj2EEiiiiS1_IjLj3EES5_S5_S5_
		.amdhsa_group_segment_fixed_size 0
		.amdhsa_private_segment_fixed_size 0
		.amdhsa_kernarg_size 336
		.amdhsa_user_sgpr_count 6
		.amdhsa_user_sgpr_private_segment_buffer 1
		.amdhsa_user_sgpr_dispatch_ptr 0
		.amdhsa_user_sgpr_queue_ptr 0
		.amdhsa_user_sgpr_kernarg_segment_ptr 1
		.amdhsa_user_sgpr_dispatch_id 0
		.amdhsa_user_sgpr_flat_scratch_init 0
		.amdhsa_user_sgpr_private_segment_size 0
		.amdhsa_uses_dynamic_stack 0
		.amdhsa_system_sgpr_private_segment_wavefront_offset 0
		.amdhsa_system_sgpr_workgroup_id_x 1
		.amdhsa_system_sgpr_workgroup_id_y 1
		.amdhsa_system_sgpr_workgroup_id_z 1
		.amdhsa_system_sgpr_workgroup_info 0
		.amdhsa_system_vgpr_workitem_id 0
		.amdhsa_next_free_vgpr 18
		.amdhsa_next_free_sgpr 36
		.amdhsa_reserve_vcc 1
		.amdhsa_reserve_flat_scratch 0
		.amdhsa_float_round_mode_32 0
		.amdhsa_float_round_mode_16_64 0
		.amdhsa_float_denorm_mode_32 3
		.amdhsa_float_denorm_mode_16_64 3
		.amdhsa_dx10_clamp 1
		.amdhsa_ieee_mode 1
		.amdhsa_fp16_overflow 0
		.amdhsa_exception_fp_ieee_invalid_op 0
		.amdhsa_exception_fp_denorm_src 0
		.amdhsa_exception_fp_ieee_div_zero 0
		.amdhsa_exception_fp_ieee_overflow 0
		.amdhsa_exception_fp_ieee_underflow 0
		.amdhsa_exception_fp_ieee_inexact 0
		.amdhsa_exception_int_div_zero 0
	.end_amdhsa_kernel
	.section	.text._ZL33flash_attn_stream_k_fixup_generalILi64ELi16ELi4EEvPfPK15HIP_vector_typeIfLj2EEiiiiS1_IjLj3EES5_S5_S5_,"axG",@progbits,_ZL33flash_attn_stream_k_fixup_generalILi64ELi16ELi4EEvPfPK15HIP_vector_typeIfLj2EEiiiiS1_IjLj3EES5_S5_S5_,comdat
.Lfunc_end20:
	.size	_ZL33flash_attn_stream_k_fixup_generalILi64ELi16ELi4EEvPfPK15HIP_vector_typeIfLj2EEiiiiS1_IjLj3EES5_S5_S5_, .Lfunc_end20-_ZL33flash_attn_stream_k_fixup_generalILi64ELi16ELi4EEvPfPK15HIP_vector_typeIfLj2EEiiiiS1_IjLj3EES5_S5_S5_
                                        ; -- End function
	.set _ZL33flash_attn_stream_k_fixup_generalILi64ELi16ELi4EEvPfPK15HIP_vector_typeIfLj2EEiiiiS1_IjLj3EES5_S5_S5_.num_vgpr, 18
	.set _ZL33flash_attn_stream_k_fixup_generalILi64ELi16ELi4EEvPfPK15HIP_vector_typeIfLj2EEiiiiS1_IjLj3EES5_S5_S5_.num_agpr, 0
	.set _ZL33flash_attn_stream_k_fixup_generalILi64ELi16ELi4EEvPfPK15HIP_vector_typeIfLj2EEiiiiS1_IjLj3EES5_S5_S5_.numbered_sgpr, 36
	.set _ZL33flash_attn_stream_k_fixup_generalILi64ELi16ELi4EEvPfPK15HIP_vector_typeIfLj2EEiiiiS1_IjLj3EES5_S5_S5_.num_named_barrier, 0
	.set _ZL33flash_attn_stream_k_fixup_generalILi64ELi16ELi4EEvPfPK15HIP_vector_typeIfLj2EEiiiiS1_IjLj3EES5_S5_S5_.private_seg_size, 0
	.set _ZL33flash_attn_stream_k_fixup_generalILi64ELi16ELi4EEvPfPK15HIP_vector_typeIfLj2EEiiiiS1_IjLj3EES5_S5_S5_.uses_vcc, 1
	.set _ZL33flash_attn_stream_k_fixup_generalILi64ELi16ELi4EEvPfPK15HIP_vector_typeIfLj2EEiiiiS1_IjLj3EES5_S5_S5_.uses_flat_scratch, 0
	.set _ZL33flash_attn_stream_k_fixup_generalILi64ELi16ELi4EEvPfPK15HIP_vector_typeIfLj2EEiiiiS1_IjLj3EES5_S5_S5_.has_dyn_sized_stack, 0
	.set _ZL33flash_attn_stream_k_fixup_generalILi64ELi16ELi4EEvPfPK15HIP_vector_typeIfLj2EEiiiiS1_IjLj3EES5_S5_S5_.has_recursion, 0
	.set _ZL33flash_attn_stream_k_fixup_generalILi64ELi16ELi4EEvPfPK15HIP_vector_typeIfLj2EEiiiiS1_IjLj3EES5_S5_S5_.has_indirect_call, 0
	.section	.AMDGPU.csdata,"",@progbits
; Kernel info:
; codeLenInByte = 2940
; TotalNumSgprs: 40
; NumVgprs: 18
; ScratchSize: 0
; MemoryBound: 0
; FloatMode: 240
; IeeeMode: 1
; LDSByteSize: 0 bytes/workgroup (compile time only)
; SGPRBlocks: 4
; VGPRBlocks: 4
; NumSGPRsForWavesPerEU: 40
; NumVGPRsForWavesPerEU: 18
; Occupancy: 10
; WaveLimiterHint : 0
; COMPUTE_PGM_RSRC2:SCRATCH_EN: 0
; COMPUTE_PGM_RSRC2:USER_SGPR: 6
; COMPUTE_PGM_RSRC2:TRAP_HANDLER: 0
; COMPUTE_PGM_RSRC2:TGID_X_EN: 1
; COMPUTE_PGM_RSRC2:TGID_Y_EN: 1
; COMPUTE_PGM_RSRC2:TGID_Z_EN: 1
; COMPUTE_PGM_RSRC2:TIDIG_COMP_CNT: 0
	.section	.text._ZL15flash_attn_tileILi64ELi64ELi8ELi4ELb0EEvPKcS1_S1_S1_S1_PKiPfP15HIP_vector_typeIfLj2EEffffjfiS5_IjLj3EEiiiiiiiiiiiliiliiiiil,"axG",@progbits,_ZL15flash_attn_tileILi64ELi64ELi8ELi4ELb0EEvPKcS1_S1_S1_S1_PKiPfP15HIP_vector_typeIfLj2EEffffjfiS5_IjLj3EEiiiiiiiiiiiliiliiiiil,comdat
	.globl	_ZL15flash_attn_tileILi64ELi64ELi8ELi4ELb0EEvPKcS1_S1_S1_S1_PKiPfP15HIP_vector_typeIfLj2EEffffjfiS5_IjLj3EEiiiiiiiiiiiliiliiiiil ; -- Begin function _ZL15flash_attn_tileILi64ELi64ELi8ELi4ELb0EEvPKcS1_S1_S1_S1_PKiPfP15HIP_vector_typeIfLj2EEffffjfiS5_IjLj3EEiiiiiiiiiiiliiliiiiil
	.p2align	8
	.type	_ZL15flash_attn_tileILi64ELi64ELi8ELi4ELb0EEvPKcS1_S1_S1_S1_PKiPfP15HIP_vector_typeIfLj2EEffffjfiS5_IjLj3EEiiiiiiiiiiiliiliiiiil,@function
_ZL15flash_attn_tileILi64ELi64ELi8ELi4ELb0EEvPKcS1_S1_S1_S1_PKiPfP15HIP_vector_typeIfLj2EEffffjfiS5_IjLj3EEiiiiiiiiiiiliiliiiiil: ; @_ZL15flash_attn_tileILi64ELi64ELi8ELi4ELb0EEvPKcS1_S1_S1_S1_PKiPfP15HIP_vector_typeIfLj2EEffffjfiS5_IjLj3EEiiiiiiiiiiiliiliiiiil
; %bb.0:
	s_load_dwordx4 s[0:3], s[4:5], 0x5c
	s_load_dwordx2 s[30:31], s[4:5], 0x80
	s_load_dwordx2 s[36:37], s[4:5], 0xb8
	s_mov_b64 s[34:35], 0
	s_waitcnt lgkmcnt(0)
	s_ashr_i32 s9, s3, 31
	s_lshr_b32 s9, s9, 30
	s_add_i32 s9, s3, s9
	s_ashr_i32 s9, s9, 2
	v_cvt_f32_u32_e32 v2, s9
	s_sub_i32 s10, 0, s9
	v_rcp_iflag_f32_e32 v2, v2
	v_mul_f32_e32 v2, 0x4f7ffffe, v2
	v_cvt_u32_f32_e32 v2, v2
	v_readfirstlane_b32 s11, v2
	s_mul_i32 s10, s10, s11
	s_mul_hi_u32 s10, s11, s10
	s_add_i32 s11, s11, s10
	s_mul_hi_u32 s10, s8, s11
	s_mul_i32 s11, s10, s9
	s_sub_i32 s11, s8, s11
	s_add_i32 s12, s10, 1
	s_sub_i32 s13, s11, s9
	s_cmp_ge_u32 s11, s9
	s_cselect_b32 s10, s12, s10
	s_cselect_b32 s11, s13, s11
	s_add_i32 s12, s10, 1
	s_cmp_ge_u32 s11, s9
	s_cselect_b32 s33, s12, s10
	s_abs_i32 s9, s31
	v_cvt_f32_u32_e32 v2, s9
	s_lshl_b32 s8, s8, 2
	s_mul_i32 s12, s33, s3
	s_sub_i32 s13, 0, s9
	v_rcp_iflag_f32_e32 v2, v2
	s_sub_i32 s28, s8, s12
	s_abs_i32 s11, s3
	s_xor_b32 s10, s3, s31
	v_mul_f32_e32 v2, 0x4f7ffffe, v2
	v_cvt_u32_f32_e32 v2, v2
	s_ashr_i32 s10, s10, 31
	v_readfirstlane_b32 s8, v2
	s_mul_i32 s13, s13, s8
	s_mul_hi_u32 s12, s8, s13
	s_add_i32 s8, s8, s12
	s_mul_hi_u32 s8, s11, s8
	s_mul_i32 s12, s8, s9
	s_sub_i32 s11, s11, s12
	s_add_i32 s13, s8, 1
	s_sub_i32 s12, s11, s9
	s_cmp_ge_u32 s11, s9
	s_cselect_b32 s8, s13, s8
	s_cselect_b32 s11, s12, s11
	s_add_i32 s12, s8, 1
	s_cmp_ge_u32 s11, s9
	s_cselect_b32 s8, s12, s8
	s_xor_b32 s8, s8, s10
	s_sub_i32 s31, s8, s10
	s_abs_i32 s29, s31
	v_cvt_f32_u32_e32 v2, s29
	s_load_dwordx16 s[8:23], s[4:5], 0x0
	v_rcp_iflag_f32_e32 v2, v2
	s_waitcnt lgkmcnt(0)
	s_cmp_eq_u64 s[14:15], 0
	v_mul_f32_e32 v2, 0x4f7ffffe, v2
	v_cvt_u32_f32_e32 v2, v2
	v_readfirstlane_b32 s38, v2
	s_cbranch_scc1 .LBB21_2
; %bb.1:
	s_abs_i32 s26, s36
	v_cvt_f32_u32_e32 v2, s26
	s_sub_i32 s35, 0, s26
	s_abs_i32 s34, s33
	s_ashr_i32 s27, s33, 31
	v_rcp_iflag_f32_e32 v2, v2
	s_load_dwordx2 s[24:25], s[4:5], 0xc8
	v_mul_f32_e32 v2, 0x4f7ffffe, v2
	v_cvt_u32_f32_e32 v2, v2
	v_readfirstlane_b32 s36, v2
	s_mul_i32 s35, s35, s36
	s_mul_hi_u32 s35, s36, s35
	s_add_i32 s36, s36, s35
	s_mul_hi_u32 s35, s34, s36
	s_mul_i32 s35, s35, s26
	s_sub_i32 s34, s34, s35
	s_sub_i32 s35, s34, s26
	s_cmp_ge_u32 s34, s26
	s_cselect_b32 s34, s35, s34
	s_sub_i32 s35, s34, s26
	s_cmp_ge_u32 s34, s26
	s_cselect_b32 s26, s35, s34
	s_xor_b32 s26, s26, s27
	s_sub_i32 s26, s26, s27
	s_ashr_i32 s27, s26, 31
	s_waitcnt lgkmcnt(0)
	s_mul_hi_u32 s34, s24, s26
	s_mul_i32 s27, s24, s27
	s_mul_i32 s25, s25, s26
	s_add_i32 s27, s34, s27
	s_add_i32 s27, s27, s25
	s_mul_i32 s24, s24, s26
	s_add_u32 s34, s14, s24
	s_addc_u32 s35, s15, s27
.LBB21_2:
	s_load_dwordx4 s[24:27], s[4:5], 0x70
	v_lshl_add_u32 v18, s6, 3, v1
	v_mul_hi_u32 v2, s0, v18
	s_waitcnt lgkmcnt(0)
	s_mul_i32 s0, s33, s26
	v_add_u32_e32 v2, v18, v2
	s_ashr_i32 s15, s0, 31
	v_lshrrev_b32_e32 v2, s1, v2
	s_mul_i32 s14, s28, s25
	s_add_u32 s0, s8, s0
	v_mul_lo_u32 v2, v2, s2
	s_addc_u32 s8, s9, s15
	s_ashr_i32 s1, s14, 31
	s_add_u32 s14, s0, s14
	s_addc_u32 s15, s8, s1
	s_ashr_i32 s1, s24, 31
	s_mov_b32 s0, s24
	v_sub_u32_e32 v3, v18, v2
	s_lshr_b64 s[8:9], s[0:1], 2
	v_mad_u64_u32 v[4:5], s[8:9], s8, v3, 0
	s_lshr_b32 s0, s1, 2
	v_mov_b32_e32 v2, v5
	v_mad_u64_u32 v[5:6], s[0:1], s0, v3, v[2:3]
	v_mov_b32_e32 v2, s15
	s_ashr_i32 s1, s25, 31
	v_lshlrev_b64 v[4:5], 2, v[4:5]
	s_mov_b32 s0, s25
	v_add_co_u32_e32 v4, vcc, s14, v4
	v_addc_co_u32_e32 v5, vcc, v2, v5, vcc
	v_lshlrev_b32_e32 v2, 3, v0
	v_add_co_u32_e32 v4, vcc, v4, v2
	s_lshr_b64 s[8:9], s[0:1], 2
	v_addc_co_u32_e32 v5, vcc, 0, v5, vcc
	s_and_b32 s0, s25, -4
	v_mov_b32_e32 v7, s1
	v_add_co_u32_e32 v6, vcc, s0, v4
	v_addc_co_u32_e32 v7, vcc, v5, v7, vcc
	global_load_dwordx2 v[8:9], v[4:5], off
	global_load_dwordx2 v[10:11], v[6:7], off
	s_lshl_b64 s[14:15], s[8:9], 3
	v_mad_u64_u32 v[6:7], s[8:9], s8, 12, v[4:5]
	v_mov_b32_e32 v12, s15
	v_add_co_u32_e32 v4, vcc, s14, v4
	v_addc_co_u32_e32 v5, vcc, v5, v12, vcc
	global_load_dwordx2 v[12:13], v[4:5], off
	v_mov_b32_e32 v4, v7
	v_mad_u64_u32 v[4:5], s[0:1], s1, 12, v[4:5]
	s_load_dword s0, s[4:5], 0x40
	s_cmp_eq_u64 s[18:19], 0
	v_mov_b32_e32 v7, v4
	global_load_dwordx2 v[5:6], v[6:7], off
	v_lshlrev_b32_e32 v4, 9, v1
	v_add_u32_e32 v19, 0x3400, v4
	v_lshl_add_u32 v7, v0, 2, v19
	s_waitcnt vmcnt(3) lgkmcnt(0)
	v_fma_mixlo_f16 v9, s0, v9, 0
	v_fma_mixlo_f16 v8, s0, v8, 0
	v_lshlrev_b32_e32 v9, 16, v9
	s_waitcnt vmcnt(2)
	v_fma_mixlo_f16 v11, s0, v11, 0
	v_fma_mixlo_f16 v10, s0, v10, 0
	v_or_b32_sdwa v8, v9, v8 dst_sel:DWORD dst_unused:UNUSED_PAD src0_sel:DWORD src1_sel:WORD_0
	v_lshlrev_b32_e32 v9, 16, v11
	v_or_b32_sdwa v9, v9, v10 dst_sel:DWORD dst_unused:UNUSED_PAD src0_sel:DWORD src1_sel:WORD_0
	ds_write2_b32 v7, v8, v9 offset1:32
	s_waitcnt vmcnt(1)
	v_fma_mixlo_f16 v13, s0, v13, 0
	v_fma_mixlo_f16 v12, s0, v12, 0
	v_lshlrev_b32_e32 v11, 16, v13
	v_or_b32_sdwa v10, v11, v12 dst_sel:DWORD dst_unused:UNUSED_PAD src0_sel:DWORD src1_sel:WORD_0
	s_waitcnt vmcnt(0)
	v_fma_mixlo_f16 v6, s0, v6, 0
	v_fma_mixlo_f16 v5, s0, v5, 0
	v_lshlrev_b32_e32 v6, 16, v6
	v_or_b32_sdwa v5, v6, v5 dst_sel:DWORD dst_unused:UNUSED_PAD src0_sel:DWORD src1_sel:WORD_0
	ds_write2_b32 v7, v10, v5 offset0:64 offset1:96
	s_waitcnt lgkmcnt(0)
	s_barrier
	s_cbranch_scc1 .LBB21_4
; %bb.3:
	s_load_dword s0, s[4:5], 0xd0
	s_mov_b32 s1, 0
	s_waitcnt lgkmcnt(0)
	s_mul_i32 s0, s0, s33
	s_add_i32 s0, s0, s6
	s_lshl_b64 s[0:1], s[0:1], 2
	s_add_u32 s0, s18, s0
	s_addc_u32 s1, s19, s1
	s_load_dword s30, s[0:1], 0x0
.LBB21_4:
	s_lshl_b32 s6, s7, 6
	s_waitcnt lgkmcnt(0)
	s_cmp_lt_i32 s6, s30
	v_mbcnt_lo_u32_b32 v5, -1, 0
	s_cbranch_scc1 .LBB21_7
; %bb.5:
	v_mbcnt_hi_u32_b32 v20, -1, v5
	v_and_b32_e32 v6, 0x60, v20
	v_add_u32_e32 v21, 32, v6
	v_xor_b32_e32 v26, 16, v20
	v_xor_b32_e32 v25, 8, v20
	;; [unrolled: 1-line block ×5, first 2 shown]
	s_cbranch_execz .LBB21_8
; %bb.6:
	v_mov_b32_e32 v48, 0
	v_mov_b32_e32 v27, 0
	;; [unrolled: 1-line block ×12, first 2 shown]
	s_branch .LBB21_10
.LBB21_7:
                                        ; implicit-def: $vgpr20
                                        ; implicit-def: $vgpr21
                                        ; implicit-def: $vgpr26
                                        ; implicit-def: $vgpr25
                                        ; implicit-def: $vgpr24
                                        ; implicit-def: $vgpr22
                                        ; implicit-def: $vgpr23
.LBB21_8:
	s_sub_i32 s0, 0, s29
	s_mul_i32 s0, s0, s38
	s_mul_hi_u32 s0, s38, s0
	s_add_i32 s38, s38, s0
	s_load_dwordx2 s[0:1], s[4:5], 0x8c
	s_load_dwordx4 s[24:27], s[4:5], 0x98
	s_abs_i32 s18, s28
	s_mul_hi_u32 s19, s18, s38
	s_ashr_i32 s36, s28, 31
	s_waitcnt lgkmcnt(0)
	s_ashr_i32 s9, s0, 2
	s_ashr_i32 s0, s33, 31
	;; [unrolled: 1-line block ×4, first 2 shown]
	s_mul_hi_u32 s37, s24, s33
	s_mul_i32 s38, s24, s0
	s_add_i32 s37, s37, s38
	s_mul_i32 s25, s25, s33
	s_ashr_i32 s31, s31, 31
	s_add_i32 s37, s37, s25
	s_mul_i32 s24, s24, s33
	s_add_u32 s10, s10, s24
	s_mul_i32 s25, s19, s29
	s_addc_u32 s11, s11, s37
	s_sub_i32 s18, s18, s25
	s_xor_b32 s24, s36, s31
	s_add_i32 s25, s19, 1
	s_sub_i32 s31, s18, s29
	s_cmp_ge_u32 s18, s29
	s_cselect_b32 s19, s25, s19
	s_cselect_b32 s18, s31, s18
	s_add_i32 s25, s19, 1
	s_cmp_ge_u32 s18, s29
	s_load_dwordx2 s[14:15], s[4:5], 0xa8
	s_cselect_b32 s18, s25, s19
	s_xor_b32 s18, s18, s24
	s_sub_i32 s18, s18, s24
	s_mul_i32 s1, s18, s1
	s_ashr_i32 s19, s1, 31
	s_add_u32 s10, s10, s1
	s_waitcnt lgkmcnt(0)
	s_mul_hi_u32 s1, s14, s33
	s_mul_i32 s0, s14, s0
	s_addc_u32 s11, s11, s19
	s_add_i32 s0, s1, s0
	s_mul_i32 s1, s15, s33
	v_lshrrev_b32_e32 v6, 3, v0
	s_add_i32 s0, s0, s1
	s_mul_i32 s1, s14, s33
	v_lshl_add_u32 v1, v1, 2, v6
	s_add_u32 s1, s12, s1
	s_mul_i32 s18, s18, s27
	v_mul_lo_u32 v6, s9, v1
	v_mul_lo_u32 v14, s8, v1
	s_addc_u32 s0, s13, s0
	s_ashr_i32 s13, s18, 31
	v_lshlrev_b32_e32 v28, 2, v0
	s_add_u32 s12, s1, s18
	v_and_b32_e32 v8, 28, v28
	s_addc_u32 s13, s0, s13
	v_lshlrev_b32_e32 v11, 2, v8
	s_movk_i32 s0, 0x90
	v_mad_u32_u24 v29, v1, s0, v11
	v_lshl_add_u32 v12, s9, 5, v6
	v_mad_u64_u32 v[9:10], s[0:1], v3, s26, v[0:1]
	v_lshl_add_u32 v3, s8, 5, v14
	v_ashrrev_i32_e32 v7, 31, v6
	v_ashrrev_i32_e32 v13, 31, v12
	v_add_u32_e32 v32, 0x2400, v4
	v_ashrrev_i32_e32 v15, 31, v14
	v_ashrrev_i32_e32 v4, 31, v3
	v_mbcnt_hi_u32_b32 v20, -1, v5
	v_lshl_or_b32 v33, v1, 7, v11
	s_add_u32 s0, s4, 0xd0
	v_lshlrev_b64 v[10:11], 2, v[6:7]
	v_lshlrev_b64 v[12:13], 2, v[12:13]
	v_and_b32_e32 v5, 0x60, v20
	v_lshlrev_b64 v[14:15], 2, v[14:15]
	v_lshlrev_b64 v[16:17], 2, v[3:4]
	v_mov_b32_e32 v52, 0
	v_add_u32_e32 v30, 0x1200, v29
	v_mul_u32_u24_e32 v31, 0x90, v0
	v_add_u32_e32 v34, 0x1000, v33
	s_addc_u32 s1, s5, 0
	v_mov_b32_e32 v1, 0xfeffffff
	v_lshlrev_b32_e32 v35, 2, v8
	v_add_u32_e32 v21, 32, v5
	v_xor_b32_e32 v26, 16, v20
	v_xor_b32_e32 v25, 8, v20
	;; [unrolled: 1-line block ×5, first 2 shown]
	v_mov_b32_e32 v36, s35
	s_mov_b32 s14, 0x3fb8aa3b
	s_mov_b32 s15, 0xc2ce8ed0
	;; [unrolled: 1-line block ×3, first 2 shown]
	v_mov_b32_e32 v37, 0x7f800000
	s_mov_b32 s19, 0x10001
	v_add_u32_e32 v38, v32, v2
	v_add_u32_e32 v39, 0x400, v28
	;; [unrolled: 1-line block ×8, first 2 shown]
	v_mov_b32_e32 v46, 0
	v_mov_b32_e32 v47, 0
	;; [unrolled: 1-line block ×10, first 2 shown]
.LBB21_9:                               ; =>This Inner Loop Header: Depth=1
	s_mul_hi_i32 s25, s6, s9
	s_mul_i32 s24, s6, s9
	s_lshl_b64 s[24:25], s[24:25], 2
	s_add_u32 s24, s10, s24
	s_addc_u32 s25, s11, s25
	v_mov_b32_e32 v55, v50
	v_mov_b32_e32 v56, v49
	;; [unrolled: 1-line block ×4, first 2 shown]
	v_add_co_u32_e32 v1, vcc, s24, v10
	v_mov_b32_e32 v2, s25
	v_addc_co_u32_e32 v2, vcc, v2, v11, vcc
	v_add_co_u32_e32 v1, vcc, v1, v35
	v_addc_co_u32_e32 v2, vcc, 0, v2, vcc
	v_mov_b32_e32 v54, v51
	v_mov_b32_e32 v53, v4
	;; [unrolled: 1-line block ×3, first 2 shown]
	global_load_dwordx4 v[1:4], v[1:2], off
	v_mov_b32_e32 v57, 0
	v_mov_b32_e32 v59, 0
	v_mov_b32_e32 v60, 0
	v_mov_b32_e32 v58, 0
	s_waitcnt vmcnt(0)
	ds_write_b128 v29, v[1:4]
	v_add_co_u32_e32 v1, vcc, s24, v12
	v_mov_b32_e32 v2, s25
	v_addc_co_u32_e32 v2, vcc, v2, v13, vcc
	v_add_co_u32_e32 v1, vcc, v1, v35
	v_addc_co_u32_e32 v2, vcc, 0, v2, vcc
	global_load_dwordx4 v[1:4], v[1:2], off
	v_cmp_lt_i32_e32 vcc, v26, v21
	s_mul_hi_i32 s25, s6, s8
	s_mul_i32 s24, s6, s8
	s_lshl_b64 s[24:25], s[24:25], 2
	s_add_u32 s24, s12, s24
	s_addc_u32 s25, s13, s25
	s_waitcnt vmcnt(0)
	ds_write_b128 v30, v[1:4]
	s_waitcnt lgkmcnt(0)
	s_barrier
	ds_read_b128 v[61:64], v31
	ds_read_b128 v[1:4], v31 offset:4608
	ds_read_b128 v[65:68], v19
	ds_read_b128 v[69:72], v19 offset:128
	ds_read_b128 v[73:76], v19 offset:256
	ds_read_b128 v[5:8], v19 offset:384
	s_waitcnt lgkmcnt(3)
	;;#ASMSTART
	v_dot2_f32_f16 v57, v61, v65, v57
	;;#ASMEND
	;;#ASMSTART
	v_dot2_f32_f16 v57, v62, v66, v57
	;;#ASMEND
	;;#ASMSTART
	v_dot2_f32_f16 v57, v63, v67, v57
	;;#ASMEND
	;;#ASMSTART
	v_dot2_f32_f16 v57, v64, v68, v57
	;;#ASMEND
	s_waitcnt lgkmcnt(2)
	;;#ASMSTART
	v_dot2_f32_f16 v59, v61, v69, v59
	;;#ASMEND
	;;#ASMSTART
	v_dot2_f32_f16 v59, v62, v70, v59
	;;#ASMEND
	;;#ASMSTART
	v_dot2_f32_f16 v59, v63, v71, v59
	;;#ASMEND
	;;#ASMSTART
	v_dot2_f32_f16 v59, v64, v72, v59
	;;#ASMEND
	;; [unrolled: 13-line block ×4, first 2 shown]
	v_mov_b32_e32 v64, 0
	;;#ASMSTART
	v_dot2_f32_f16 v64, v1, v65, v64
	;;#ASMEND
	;;#ASMSTART
	v_dot2_f32_f16 v64, v2, v66, v64
	;;#ASMEND
	;;#ASMSTART
	v_dot2_f32_f16 v64, v3, v67, v64
	;;#ASMEND
	v_mov_b32_e32 v62, 0
	;;#ASMSTART
	v_dot2_f32_f16 v64, v4, v68, v64
	;;#ASMEND
	;;#ASMSTART
	v_dot2_f32_f16 v62, v1, v69, v62
	;;#ASMEND
	;;#ASMSTART
	v_dot2_f32_f16 v62, v2, v70, v62
	;;#ASMEND
	;;#ASMSTART
	v_dot2_f32_f16 v62, v3, v71, v62
	;;#ASMEND
	v_mov_b32_e32 v63, 0
	;;#ASMSTART
	v_dot2_f32_f16 v62, v4, v72, v62
	;;#ASMEND
	;; [unrolled: 13-line block ×3, first 2 shown]
	;;#ASMSTART
	v_dot2_f32_f16 v61, v1, v5, v61
	;;#ASMEND
	;;#ASMSTART
	v_dot2_f32_f16 v61, v2, v6, v61
	;;#ASMEND
	;; [unrolled: 3-line block ×4, first 2 shown]
	ds_read_b128 v[1:4], v31 offset:16
	ds_read_b128 v[5:8], v31 offset:4624
	;; [unrolled: 1-line block ×6, first 2 shown]
	s_waitcnt lgkmcnt(3)
	;;#ASMSTART
	v_dot2_f32_f16 v57, v1, v65, v57
	;;#ASMEND
	;;#ASMSTART
	v_dot2_f32_f16 v57, v2, v66, v57
	;;#ASMEND
	;;#ASMSTART
	v_dot2_f32_f16 v57, v3, v67, v57
	;;#ASMEND
	;;#ASMSTART
	v_dot2_f32_f16 v57, v4, v68, v57
	;;#ASMEND
	s_waitcnt lgkmcnt(2)
	;;#ASMSTART
	v_dot2_f32_f16 v59, v1, v69, v59
	;;#ASMEND
	;;#ASMSTART
	v_dot2_f32_f16 v59, v2, v70, v59
	;;#ASMEND
	;;#ASMSTART
	v_dot2_f32_f16 v59, v3, v71, v59
	;;#ASMEND
	;;#ASMSTART
	v_dot2_f32_f16 v59, v4, v72, v59
	;;#ASMEND
	;; [unrolled: 13-line block ×4, first 2 shown]
	;;#ASMSTART
	v_dot2_f32_f16 v64, v5, v65, v64
	;;#ASMEND
	;;#ASMSTART
	v_dot2_f32_f16 v64, v6, v66, v64
	;;#ASMEND
	;; [unrolled: 3-line block ×16, first 2 shown]
	ds_read_b128 v[1:4], v31 offset:32
	ds_read_b128 v[5:8], v31 offset:4640
	;; [unrolled: 1-line block ×6, first 2 shown]
	s_waitcnt lgkmcnt(3)
	;;#ASMSTART
	v_dot2_f32_f16 v57, v1, v65, v57
	;;#ASMEND
	;;#ASMSTART
	v_dot2_f32_f16 v57, v2, v66, v57
	;;#ASMEND
	;;#ASMSTART
	v_dot2_f32_f16 v57, v3, v67, v57
	;;#ASMEND
	;;#ASMSTART
	v_dot2_f32_f16 v57, v4, v68, v57
	;;#ASMEND
	s_waitcnt lgkmcnt(2)
	;;#ASMSTART
	v_dot2_f32_f16 v59, v1, v69, v59
	;;#ASMEND
	;;#ASMSTART
	v_dot2_f32_f16 v59, v2, v70, v59
	;;#ASMEND
	;;#ASMSTART
	v_dot2_f32_f16 v59, v3, v71, v59
	;;#ASMEND
	;;#ASMSTART
	v_dot2_f32_f16 v59, v4, v72, v59
	;;#ASMEND
	;; [unrolled: 13-line block ×4, first 2 shown]
	;;#ASMSTART
	v_dot2_f32_f16 v64, v5, v65, v64
	;;#ASMEND
	;;#ASMSTART
	v_dot2_f32_f16 v64, v6, v66, v64
	;;#ASMEND
	;; [unrolled: 3-line block ×16, first 2 shown]
	ds_read_b128 v[1:4], v31 offset:48
	ds_read_b128 v[5:8], v31 offset:4656
	;; [unrolled: 1-line block ×6, first 2 shown]
	s_waitcnt lgkmcnt(3)
	;;#ASMSTART
	v_dot2_f32_f16 v57, v1, v65, v57
	;;#ASMEND
	;;#ASMSTART
	v_dot2_f32_f16 v57, v2, v66, v57
	;;#ASMEND
	;;#ASMSTART
	v_dot2_f32_f16 v57, v3, v67, v57
	;;#ASMEND
	;;#ASMSTART
	v_dot2_f32_f16 v57, v4, v68, v57
	;;#ASMEND
	s_waitcnt lgkmcnt(2)
	;;#ASMSTART
	v_dot2_f32_f16 v59, v1, v69, v59
	;;#ASMEND
	;;#ASMSTART
	v_dot2_f32_f16 v59, v2, v70, v59
	;;#ASMEND
	;;#ASMSTART
	v_dot2_f32_f16 v59, v3, v71, v59
	;;#ASMEND
	;;#ASMSTART
	v_dot2_f32_f16 v59, v4, v72, v59
	;;#ASMEND
	;; [unrolled: 13-line block ×4, first 2 shown]
	;;#ASMSTART
	v_dot2_f32_f16 v64, v5, v65, v64
	;;#ASMEND
	;;#ASMSTART
	v_dot2_f32_f16 v64, v6, v66, v64
	;;#ASMEND
	;; [unrolled: 3-line block ×16, first 2 shown]
	ds_read_b128 v[1:4], v31 offset:64
	ds_read_b128 v[5:8], v31 offset:4672
	;; [unrolled: 1-line block ×6, first 2 shown]
	s_waitcnt lgkmcnt(3)
	;;#ASMSTART
	v_dot2_f32_f16 v57, v1, v65, v57
	;;#ASMEND
	;;#ASMSTART
	v_dot2_f32_f16 v57, v2, v66, v57
	;;#ASMEND
	;;#ASMSTART
	v_dot2_f32_f16 v57, v3, v67, v57
	;;#ASMEND
	;;#ASMSTART
	v_dot2_f32_f16 v57, v4, v68, v57
	;;#ASMEND
	s_waitcnt lgkmcnt(2)
	;;#ASMSTART
	v_dot2_f32_f16 v59, v1, v69, v59
	;;#ASMEND
	;;#ASMSTART
	v_dot2_f32_f16 v59, v2, v70, v59
	;;#ASMEND
	;;#ASMSTART
	v_dot2_f32_f16 v59, v3, v71, v59
	;;#ASMEND
	;;#ASMSTART
	v_dot2_f32_f16 v59, v4, v72, v59
	;;#ASMEND
	;; [unrolled: 13-line block ×4, first 2 shown]
	;;#ASMSTART
	v_dot2_f32_f16 v64, v5, v65, v64
	;;#ASMEND
	;;#ASMSTART
	v_dot2_f32_f16 v64, v6, v66, v64
	;;#ASMEND
	;; [unrolled: 3-line block ×16, first 2 shown]
	ds_read_b128 v[1:4], v31 offset:80
	ds_read_b128 v[5:8], v31 offset:4688
	;; [unrolled: 1-line block ×6, first 2 shown]
	s_waitcnt lgkmcnt(3)
	;;#ASMSTART
	v_dot2_f32_f16 v57, v1, v65, v57
	;;#ASMEND
	;;#ASMSTART
	v_dot2_f32_f16 v57, v2, v66, v57
	;;#ASMEND
	;;#ASMSTART
	v_dot2_f32_f16 v57, v3, v67, v57
	;;#ASMEND
	;;#ASMSTART
	v_dot2_f32_f16 v57, v4, v68, v57
	;;#ASMEND
	s_waitcnt lgkmcnt(2)
	;;#ASMSTART
	v_dot2_f32_f16 v59, v1, v69, v59
	;;#ASMEND
	;;#ASMSTART
	v_dot2_f32_f16 v59, v2, v70, v59
	;;#ASMEND
	;;#ASMSTART
	v_dot2_f32_f16 v59, v3, v71, v59
	;;#ASMEND
	;;#ASMSTART
	v_dot2_f32_f16 v59, v4, v72, v59
	;;#ASMEND
	;; [unrolled: 13-line block ×4, first 2 shown]
	;;#ASMSTART
	v_dot2_f32_f16 v64, v5, v65, v64
	;;#ASMEND
	;;#ASMSTART
	v_dot2_f32_f16 v64, v6, v66, v64
	;;#ASMEND
	;; [unrolled: 3-line block ×16, first 2 shown]
	ds_read_b128 v[1:4], v31 offset:96
	ds_read_b128 v[5:8], v31 offset:4704
	;; [unrolled: 1-line block ×6, first 2 shown]
	s_waitcnt lgkmcnt(3)
	;;#ASMSTART
	v_dot2_f32_f16 v57, v1, v65, v57
	;;#ASMEND
	;;#ASMSTART
	v_dot2_f32_f16 v57, v2, v66, v57
	;;#ASMEND
	;;#ASMSTART
	v_dot2_f32_f16 v57, v3, v67, v57
	;;#ASMEND
	;;#ASMSTART
	v_dot2_f32_f16 v57, v4, v68, v57
	;;#ASMEND
	s_waitcnt lgkmcnt(2)
	;;#ASMSTART
	v_dot2_f32_f16 v59, v1, v69, v59
	;;#ASMEND
	;;#ASMSTART
	v_dot2_f32_f16 v59, v2, v70, v59
	;;#ASMEND
	;;#ASMSTART
	v_dot2_f32_f16 v59, v3, v71, v59
	;;#ASMEND
	;;#ASMSTART
	v_dot2_f32_f16 v59, v4, v72, v59
	;;#ASMEND
	;; [unrolled: 13-line block ×4, first 2 shown]
	;;#ASMSTART
	v_dot2_f32_f16 v64, v5, v65, v64
	;;#ASMEND
	;;#ASMSTART
	v_dot2_f32_f16 v64, v6, v66, v64
	;;#ASMEND
	;; [unrolled: 3-line block ×16, first 2 shown]
	ds_read_b128 v[1:4], v31 offset:112
	ds_read_b128 v[5:8], v31 offset:4720
	;; [unrolled: 1-line block ×6, first 2 shown]
	s_waitcnt lgkmcnt(3)
	;;#ASMSTART
	v_dot2_f32_f16 v57, v1, v65, v57
	;;#ASMEND
	;;#ASMSTART
	v_dot2_f32_f16 v57, v2, v66, v57
	;;#ASMEND
	;;#ASMSTART
	v_dot2_f32_f16 v57, v3, v67, v57
	;;#ASMEND
	;;#ASMSTART
	v_dot2_f32_f16 v57, v4, v68, v57
	;;#ASMEND
	s_waitcnt lgkmcnt(2)
	;;#ASMSTART
	v_dot2_f32_f16 v59, v1, v69, v59
	;;#ASMEND
	;;#ASMSTART
	v_dot2_f32_f16 v59, v2, v70, v59
	;;#ASMEND
	;;#ASMSTART
	v_dot2_f32_f16 v59, v3, v71, v59
	;;#ASMEND
	;;#ASMSTART
	v_dot2_f32_f16 v59, v4, v72, v59
	;;#ASMEND
	s_waitcnt lgkmcnt(1)
	;;#ASMSTART
	v_dot2_f32_f16 v60, v1, v73, v60
	;;#ASMEND
	;;#ASMSTART
	v_dot2_f32_f16 v60, v2, v74, v60
	;;#ASMEND
	;;#ASMSTART
	v_dot2_f32_f16 v60, v3, v75, v60
	;;#ASMEND
	;;#ASMSTART
	v_dot2_f32_f16 v60, v4, v76, v60
	;;#ASMEND
	s_waitcnt lgkmcnt(0)
	;;#ASMSTART
	v_dot2_f32_f16 v58, v1, v77, v58
	;;#ASMEND
	;;#ASMSTART
	v_dot2_f32_f16 v58, v2, v78, v58
	;;#ASMEND
	;;#ASMSTART
	v_dot2_f32_f16 v58, v3, v79, v58
	;;#ASMEND
	;;#ASMSTART
	v_dot2_f32_f16 v58, v4, v80, v58
	;;#ASMEND
	;;#ASMSTART
	v_dot2_f32_f16 v64, v5, v65, v64
	;;#ASMEND
	;;#ASMSTART
	v_dot2_f32_f16 v64, v6, v66, v64
	;;#ASMEND
	;; [unrolled: 3-line block ×10, first 2 shown]
	v_cndmask_b32_e32 v2, v20, v26, vcc
	v_cmp_lt_i32_e32 vcc, v25, v21
	;;#ASMSTART
	v_dot2_f32_f16 v63, v7, v75, v63
	;;#ASMEND
	v_lshlrev_b32_e32 v4, 2, v2
	v_cndmask_b32_e32 v2, v20, v25, vcc
	v_cmp_lt_i32_e32 vcc, v24, v21
	;;#ASMSTART
	v_dot2_f32_f16 v63, v8, v76, v63
	;;#ASMEND
	;;#ASMSTART
	v_dot2_f32_f16 v61, v5, v77, v61
	;;#ASMEND
	v_lshlrev_b32_e32 v5, 2, v2
	v_cndmask_b32_e32 v2, v20, v24, vcc
	v_cmp_lt_i32_e32 vcc, v22, v21
	;;#ASMSTART
	v_dot2_f32_f16 v61, v6, v78, v61
	;;#ASMEND
	v_lshlrev_b32_e32 v6, 2, v2
	v_cndmask_b32_e32 v2, v20, v22, vcc
	v_cmp_lt_i32_e32 vcc, v23, v21
	;;#ASMSTART
	v_dot2_f32_f16 v61, v7, v79, v61
	;;#ASMEND
	v_add_u32_e32 v1, s6, v9
	v_lshlrev_b32_e32 v7, 2, v2
	v_cndmask_b32_e32 v2, v20, v23, vcc
	;;#ASMSTART
	v_dot2_f32_f16 v61, v8, v80, v61
	;;#ASMEND
	v_lshlrev_b32_e32 v8, 2, v2
	v_ashrrev_i32_e32 v2, 31, v1
	v_lshlrev_b64 v[1:2], 1, v[1:2]
	v_add_co_u32_e32 v1, vcc, s34, v1
	v_addc_co_u32_e32 v2, vcc, v36, v2, vcc
	global_load_ushort v3, v[1:2], off
	s_waitcnt vmcnt(0)
	v_cvt_f32_f16_e32 v65, v3
	global_load_ushort v1, v[1:2], off offset:64
	s_waitcnt vmcnt(0)
	s_barrier
	v_add_f32_e32 v57, v57, v65
	v_add_f32_e32 v3, 0x40051340, v57
	;; [unrolled: 1-line block ×6, first 2 shown]
	v_cvt_f32_f16_e32 v66, v1
	v_add_f32_e32 v64, v64, v66
	v_add_f32_e32 v1, 0x40051340, v64
	v_max3_f32 v1, v49, v3, v1
	ds_bpermute_b32 v2, v4, v1
	v_add_f32_e32 v62, v62, v66
	v_add_f32_e32 v3, 0x40051340, v62
	;; [unrolled: 1-line block ×4, first 2 shown]
	s_waitcnt lgkmcnt(0)
	v_max_f32_e32 v2, v2, v2
	v_max_f32_e32 v1, v1, v2
	ds_bpermute_b32 v2, v5, v1
	v_add_f32_e32 v67, 0x40051340, v63
	v_add_f32_e32 v66, 0x40051340, v61
	v_max3_f32 v65, v53, v65, v66
	s_waitcnt lgkmcnt(0)
	v_max_f32_e32 v2, v2, v2
	v_max_f32_e32 v1, v1, v2
	ds_bpermute_b32 v2, v6, v1
	s_waitcnt lgkmcnt(0)
	v_max_f32_e32 v2, v2, v2
	v_max_f32_e32 v1, v1, v2
	ds_bpermute_b32 v2, v7, v1
	;; [unrolled: 4-line block ×3, first 2 shown]
	s_waitcnt lgkmcnt(0)
	v_max_f32_e32 v2, v2, v2
	v_max_f32_e32 v1, v1, v2
	v_add_f32_e32 v2, 0x40051340, v59
	v_max3_f32 v2, v50, v2, v3
	ds_bpermute_b32 v3, v4, v2
	s_waitcnt lgkmcnt(0)
	v_max_f32_e32 v3, v3, v3
	v_max_f32_e32 v2, v2, v3
	ds_bpermute_b32 v3, v5, v2
	s_waitcnt lgkmcnt(0)
	v_max_f32_e32 v3, v3, v3
	v_max_f32_e32 v2, v2, v3
	;; [unrolled: 4-line block ×5, first 2 shown]
	v_add_f32_e32 v3, 0x40051340, v60
	v_max3_f32 v3, v51, v3, v67
	ds_bpermute_b32 v67, v4, v3
	ds_bpermute_b32 v4, v4, v65
	s_waitcnt lgkmcnt(1)
	v_max_f32_e32 v67, v67, v67
	s_waitcnt lgkmcnt(0)
	v_max_f32_e32 v4, v4, v4
	v_max_f32_e32 v3, v3, v67
	;; [unrolled: 1-line block ×3, first 2 shown]
	ds_bpermute_b32 v67, v5, v3
	ds_bpermute_b32 v5, v5, v4
	s_waitcnt lgkmcnt(1)
	v_max_f32_e32 v67, v67, v67
	s_waitcnt lgkmcnt(0)
	v_max_f32_e32 v5, v5, v5
	v_max_f32_e32 v4, v4, v5
	ds_bpermute_b32 v5, v6, v4
	v_max_f32_e32 v3, v3, v67
	ds_bpermute_b32 v67, v6, v3
	v_sub_f32_e32 v6, v57, v1
	v_cmp_ngt_f32_e32 vcc, s15, v6
	s_waitcnt lgkmcnt(1)
	v_max_f32_e32 v5, v5, v5
	v_max_f32_e32 v4, v4, v5
	ds_bpermute_b32 v5, v7, v4
	s_waitcnt lgkmcnt(1)
	v_max_f32_e32 v67, v67, v67
	v_max_f32_e32 v3, v3, v67
	ds_bpermute_b32 v67, v7, v3
	v_mul_f32_e32 v7, 0x3fb8aa3b, v6
	s_waitcnt lgkmcnt(1)
	v_max_f32_e32 v5, v5, v5
	v_max_f32_e32 v4, v4, v5
	ds_bpermute_b32 v5, v8, v4
	s_waitcnt lgkmcnt(1)
	v_max_f32_e32 v67, v67, v67
	v_max_f32_e32 v3, v3, v67
	ds_bpermute_b32 v67, v8, v3
	v_fma_f32 v8, v6, s14, -v7
	s_waitcnt lgkmcnt(1)
	v_max_f32_e32 v5, v5, v5
	v_max_f32_e32 v4, v4, v5
	v_sub_f32_e32 v5, v49, v1
	v_rndne_f32_e32 v49, v7
	v_fmac_f32_e32 v8, 0x32a5705f, v6
	v_sub_f32_e32 v7, v7, v49
	v_add_f32_e32 v7, v7, v8
	v_exp_f32_e32 v7, v7
	v_cvt_i32_f32_e32 v8, v49
	s_waitcnt lgkmcnt(0)
	v_max_f32_e32 v67, v67, v67
	v_max_f32_e32 v3, v3, v67
	v_ldexp_f32 v7, v7, v8
	v_sub_f32_e32 v8, v64, v1
	v_mul_f32_e32 v49, 0x3fb8aa3b, v8
	v_fma_f32 v57, v8, s14, -v49
	v_rndne_f32_e32 v64, v49
	v_fmac_f32_e32 v57, 0x32a5705f, v8
	v_sub_f32_e32 v49, v49, v64
	v_add_f32_e32 v49, v49, v57
	v_exp_f32_e32 v49, v49
	v_cvt_i32_f32_e32 v57, v64
	v_cndmask_b32_e32 v7, 0, v7, vcc
	v_cmp_nlt_f32_e32 vcc, s18, v6
	v_cndmask_b32_e32 v6, v37, v7, vcc
	v_ldexp_f32 v49, v49, v57
	v_cmp_ngt_f32_e32 vcc, s15, v8
	v_cndmask_b32_e32 v49, 0, v49, vcc
	v_cmp_nlt_f32_e32 vcc, s18, v8
	v_cndmask_b32_e32 v8, v37, v49, vcc
	v_cvt_f16_f32_e32 v7, v6
	v_add_f32_e32 v49, v6, v8
	v_mul_f32_e32 v6, 0x3fb8aa3b, v5
	v_cvt_f16_f32_e32 v57, v8
	v_fma_f32 v8, v5, s14, -v6
	v_rndne_f32_e32 v64, v6
	v_fmac_f32_e32 v8, 0x32a5705f, v5
	v_sub_f32_e32 v6, v6, v64
	v_add_f32_e32 v6, v6, v8
	v_exp_f32_e32 v6, v6
	v_cvt_i32_f32_e32 v8, v64
	v_cmp_ngt_f32_e32 vcc, s15, v5
	v_ldexp_f32 v6, v6, v8
	v_cndmask_b32_e32 v6, 0, v6, vcc
	v_cmp_nlt_f32_e32 vcc, s18, v5
	v_cndmask_b32_e32 v5, v37, v6, vcc
	v_fmac_f32_e32 v49, v56, v5
	v_cvt_f16_f32_e32 v5, v5
	v_sub_f32_e32 v6, v59, v2
	v_mul_f32_e32 v8, 0x3fb8aa3b, v6
	v_rndne_f32_e32 v59, v8
	v_mul_u32_u24_e32 v56, 0x10001, v5
	v_sub_f32_e32 v5, v50, v2
	v_fma_f32 v50, v6, s14, -v8
	v_fmac_f32_e32 v50, 0x32a5705f, v6
	v_sub_f32_e32 v8, v8, v59
	v_add_f32_e32 v8, v8, v50
	v_exp_f32_e32 v8, v8
	v_cvt_i32_f32_e32 v50, v59
	v_cmp_ngt_f32_e32 vcc, s15, v6
	v_ldexp_f32 v8, v8, v50
	v_sub_f32_e32 v50, v62, v2
	v_mul_f32_e32 v59, 0x3fb8aa3b, v50
	v_fma_f32 v62, v50, s14, -v59
	v_rndne_f32_e32 v64, v59
	v_fmac_f32_e32 v62, 0x32a5705f, v50
	v_sub_f32_e32 v59, v59, v64
	v_add_f32_e32 v59, v59, v62
	v_exp_f32_e32 v59, v59
	v_cvt_i32_f32_e32 v62, v64
	v_cndmask_b32_e32 v8, 0, v8, vcc
	v_cmp_nlt_f32_e32 vcc, s18, v6
	v_cndmask_b32_e32 v6, v37, v8, vcc
	v_ldexp_f32 v59, v59, v62
	v_cmp_ngt_f32_e32 vcc, s15, v50
	v_cndmask_b32_e32 v59, 0, v59, vcc
	v_cmp_nlt_f32_e32 vcc, s18, v50
	v_cndmask_b32_e32 v59, v37, v59, vcc
	v_cvt_f16_f32_e32 v8, v6
	v_add_f32_e32 v50, v6, v59
	v_mul_f32_e32 v6, 0x3fb8aa3b, v5
	v_fma_f32 v62, v5, s14, -v6
	v_rndne_f32_e32 v64, v6
	v_fmac_f32_e32 v62, 0x32a5705f, v5
	v_sub_f32_e32 v6, v6, v64
	v_add_f32_e32 v6, v6, v62
	v_exp_f32_e32 v6, v6
	v_cvt_i32_f32_e32 v62, v64
	v_cmp_ngt_f32_e32 vcc, s15, v5
	v_cvt_f16_f32_e32 v59, v59
	v_ldexp_f32 v6, v6, v62
	v_cndmask_b32_e32 v6, 0, v6, vcc
	v_cmp_nlt_f32_e32 vcc, s18, v5
	v_cndmask_b32_e32 v5, v37, v6, vcc
	v_fmac_f32_e32 v50, v55, v5
	v_cvt_f16_f32_e32 v5, v5
	v_sub_f32_e32 v6, v60, v3
	v_cmp_ngt_f32_e32 vcc, s15, v6
	v_mul_u32_u24_e32 v55, 0x10001, v5
	v_sub_f32_e32 v5, v51, v3
	v_mul_f32_e32 v51, 0x3fb8aa3b, v6
	v_fma_f32 v60, v6, s14, -v51
	v_rndne_f32_e32 v62, v51
	v_fmac_f32_e32 v60, 0x32a5705f, v6
	v_sub_f32_e32 v51, v51, v62
	v_add_f32_e32 v51, v51, v60
	v_exp_f32_e32 v51, v51
	v_cvt_i32_f32_e32 v60, v62
	v_ldexp_f32 v51, v51, v60
	v_cndmask_b32_e32 v51, 0, v51, vcc
	v_cmp_nlt_f32_e32 vcc, s18, v6
	v_cndmask_b32_e32 v6, v37, v51, vcc
	v_sub_f32_e32 v51, v63, v3
	v_mul_f32_e32 v62, 0x3fb8aa3b, v51
	v_fma_f32 v63, v51, s14, -v62
	v_rndne_f32_e32 v64, v62
	v_fmac_f32_e32 v63, 0x32a5705f, v51
	v_sub_f32_e32 v62, v62, v64
	v_add_f32_e32 v62, v62, v63
	v_exp_f32_e32 v62, v62
	v_cvt_i32_f32_e32 v63, v64
	v_cmp_ngt_f32_e32 vcc, s15, v51
	v_cvt_f16_f32_e32 v60, v6
	v_ldexp_f32 v62, v62, v63
	v_cndmask_b32_e32 v62, 0, v62, vcc
	v_cmp_nlt_f32_e32 vcc, s18, v51
	v_cndmask_b32_e32 v62, v37, v62, vcc
	v_add_f32_e32 v51, v6, v62
	v_mul_f32_e32 v6, 0x3fb8aa3b, v5
	v_fma_f32 v63, v5, s14, -v6
	v_rndne_f32_e32 v64, v6
	v_fmac_f32_e32 v63, 0x32a5705f, v5
	v_sub_f32_e32 v6, v6, v64
	v_add_f32_e32 v6, v6, v63
	v_exp_f32_e32 v6, v6
	v_cvt_i32_f32_e32 v63, v64
	v_cmp_ngt_f32_e32 vcc, s15, v5
	v_cvt_f16_f32_e32 v62, v62
	v_ldexp_f32 v6, v6, v63
	v_cndmask_b32_e32 v6, 0, v6, vcc
	v_cmp_nlt_f32_e32 vcc, s18, v5
	v_cndmask_b32_e32 v5, v37, v6, vcc
	v_fmac_f32_e32 v51, v54, v5
	v_cvt_f16_f32_e32 v5, v5
	v_sub_f32_e32 v6, v58, v4
	v_cmp_ngt_f32_e32 vcc, s15, v6
	v_mul_u32_u24_e32 v54, 0x10001, v5
	v_sub_f32_e32 v5, v53, v4
	v_mul_f32_e32 v53, 0x3fb8aa3b, v6
	v_fma_f32 v58, v6, s14, -v53
	v_rndne_f32_e32 v63, v53
	v_fmac_f32_e32 v58, 0x32a5705f, v6
	v_sub_f32_e32 v53, v53, v63
	v_add_f32_e32 v53, v53, v58
	v_exp_f32_e32 v53, v53
	v_cvt_i32_f32_e32 v58, v63
	v_ldexp_f32 v53, v53, v58
	v_sub_f32_e32 v58, v61, v4
	v_mul_f32_e32 v61, 0x3fb8aa3b, v58
	v_fma_f32 v63, v58, s14, -v61
	v_rndne_f32_e32 v64, v61
	v_fmac_f32_e32 v63, 0x32a5705f, v58
	v_sub_f32_e32 v61, v61, v64
	v_add_f32_e32 v61, v61, v63
	v_exp_f32_e32 v61, v61
	v_cvt_i32_f32_e32 v63, v64
	v_cndmask_b32_e32 v53, 0, v53, vcc
	v_cmp_nlt_f32_e32 vcc, s18, v6
	v_cndmask_b32_e32 v6, v37, v53, vcc
	v_ldexp_f32 v61, v61, v63
	v_cmp_ngt_f32_e32 vcc, s15, v58
	v_cndmask_b32_e32 v61, 0, v61, vcc
	v_cmp_nlt_f32_e32 vcc, s18, v58
	v_cndmask_b32_e32 v58, v37, v61, vcc
	v_mul_f32_e32 v61, 0x3fb8aa3b, v5
	v_fma_f32 v63, v5, s14, -v61
	v_rndne_f32_e32 v64, v61
	v_fmac_f32_e32 v63, 0x32a5705f, v5
	v_sub_f32_e32 v61, v61, v64
	v_add_f32_e32 v61, v61, v63
	v_exp_f32_e32 v61, v61
	v_cvt_i32_f32_e32 v63, v64
	v_cmp_ngt_f32_e32 vcc, s15, v5
	v_cvt_f16_f32_e32 v53, v6
	v_add_f32_e32 v6, v6, v58
	v_ldexp_f32 v61, v61, v63
	v_cndmask_b32_e32 v61, 0, v61, vcc
	v_cmp_nlt_f32_e32 vcc, s18, v5
	v_cndmask_b32_e32 v5, v37, v61, vcc
	v_mov_b32_e32 v61, v27
	v_mov_b32_e32 v27, v6
	v_fmac_f32_e32 v27, v61, v5
	v_cvt_f16_f32_e32 v5, v5
	v_cvt_f16_f32_e32 v58, v58
	v_pack_b32_f16 v6, v60, v53
	v_mul_u32_u24_e32 v5, 0x10001, v5
	v_pk_mul_f16 v52, v52, v5
	v_pack_b32_f16 v5, v7, v8
	v_pack_b32_f16 v8, v62, v58
	;; [unrolled: 1-line block ×3, first 2 shown]
	ds_write2_b64 v38, v[5:6], v[7:8] offset1:32
	v_add_co_u32_e32 v5, vcc, s24, v14
	v_mov_b32_e32 v6, s25
	v_addc_co_u32_e32 v6, vcc, v6, v15, vcc
	v_add_co_u32_e32 v7, vcc, v5, v35
	v_addc_co_u32_e32 v8, vcc, 0, v6, vcc
	v_add_co_u32_e32 v5, vcc, s24, v16
	v_mov_b32_e32 v6, s25
	v_addc_co_u32_e32 v6, vcc, v6, v17, vcc
	v_add_co_u32_e32 v5, vcc, v5, v35
	v_addc_co_u32_e32 v6, vcc, 0, v6, vcc
	global_load_dwordx4 v[57:60], v[7:8], off
	s_waitcnt vmcnt(0)
	ds_write_b128 v33, v[57:60]
	global_load_dwordx4 v[5:8], v[5:6], off
	s_waitcnt vmcnt(0)
	ds_write_b128 v34, v[5:8]
	s_waitcnt lgkmcnt(0)
	s_barrier
	ds_read2_b32 v[69:70], v28 offset1:32
	ds_read_b128 v[5:8], v32
	ds_read_b128 v[57:60], v32 offset:16
	ds_read_b128 v[61:64], v32 offset:32
	;; [unrolled: 1-line block ×3, first 2 shown]
	s_waitcnt lgkmcnt(3)
	v_mul_u32_u24_sdwa v53, v5, s19 dst_sel:DWORD dst_unused:UNUSED_PAD src0_sel:WORD_0 src1_sel:DWORD
	v_mul_u32_u24_sdwa v5, v5, s19 dst_sel:DWORD dst_unused:UNUSED_PAD src0_sel:WORD_1 src1_sel:DWORD
	v_mul_u32_u24_sdwa v71, v6, s19 dst_sel:DWORD dst_unused:UNUSED_PAD src0_sel:WORD_0 src1_sel:DWORD
	v_pk_mul_f16 v5, v69, v5
	v_mul_u32_u24_sdwa v6, v6, s19 dst_sel:DWORD dst_unused:UNUSED_PAD src0_sel:WORD_1 src1_sel:DWORD
	v_pk_fma_f16 v5, v47, v55, v5
	v_pk_mul_f16 v47, v69, v71
	v_pk_fma_f16 v46, v46, v54, v47
	v_pk_fma_f16 v6, v69, v6, v52
	v_mul_u32_u24_sdwa v47, v7, s19 dst_sel:DWORD dst_unused:UNUSED_PAD src0_sel:WORD_0 src1_sel:DWORD
	v_mul_u32_u24_sdwa v7, v7, s19 dst_sel:DWORD dst_unused:UNUSED_PAD src0_sel:WORD_1 src1_sel:DWORD
	v_mul_u32_u24_sdwa v52, v8, s19 dst_sel:DWORD dst_unused:UNUSED_PAD src0_sel:WORD_0 src1_sel:DWORD
	v_mul_u32_u24_sdwa v8, v8, s19 dst_sel:DWORD dst_unused:UNUSED_PAD src0_sel:WORD_1 src1_sel:DWORD
	v_pk_fma_f16 v7, v70, v7, v5
	v_pk_fma_f16 v8, v70, v8, v6
	ds_read2_b32 v[5:6], v28 offset0:64 offset1:96
	v_pk_mul_f16 v53, v69, v53
	v_pk_fma_f16 v48, v48, v56, v53
	v_pk_fma_f16 v47, v70, v47, v48
	;; [unrolled: 1-line block ×3, first 2 shown]
	s_waitcnt lgkmcnt(3)
	v_mul_u32_u24_sdwa v48, v57, s19 dst_sel:DWORD dst_unused:UNUSED_PAD src0_sel:WORD_0 src1_sel:DWORD
	v_mul_u32_u24_sdwa v52, v57, s19 dst_sel:DWORD dst_unused:UNUSED_PAD src0_sel:WORD_1 src1_sel:DWORD
	v_mul_u32_u24_sdwa v53, v58, s19 dst_sel:DWORD dst_unused:UNUSED_PAD src0_sel:WORD_0 src1_sel:DWORD
	v_mul_u32_u24_sdwa v54, v58, s19 dst_sel:DWORD dst_unused:UNUSED_PAD src0_sel:WORD_1 src1_sel:DWORD
	s_waitcnt lgkmcnt(0)
	v_pk_fma_f16 v47, v5, v48, v47
	v_pk_fma_f16 v7, v5, v52, v7
	;; [unrolled: 1-line block ×4, first 2 shown]
	v_mul_u32_u24_sdwa v8, v59, s19 dst_sel:DWORD dst_unused:UNUSED_PAD src0_sel:WORD_0 src1_sel:DWORD
	v_mul_u32_u24_sdwa v48, v59, s19 dst_sel:DWORD dst_unused:UNUSED_PAD src0_sel:WORD_1 src1_sel:DWORD
	v_mul_u32_u24_sdwa v52, v60, s19 dst_sel:DWORD dst_unused:UNUSED_PAD src0_sel:WORD_0 src1_sel:DWORD
	v_mul_u32_u24_sdwa v53, v60, s19 dst_sel:DWORD dst_unused:UNUSED_PAD src0_sel:WORD_1 src1_sel:DWORD
	v_pk_fma_f16 v8, v6, v8, v47
	v_pk_fma_f16 v7, v6, v48, v7
	;; [unrolled: 1-line block ×4, first 2 shown]
	ds_read2_b32 v[5:6], v28 offset0:128 offset1:160
	v_mul_u32_u24_sdwa v48, v61, s19 dst_sel:DWORD dst_unused:UNUSED_PAD src0_sel:WORD_0 src1_sel:DWORD
	v_mul_u32_u24_sdwa v52, v61, s19 dst_sel:DWORD dst_unused:UNUSED_PAD src0_sel:WORD_1 src1_sel:DWORD
	v_mul_u32_u24_sdwa v53, v62, s19 dst_sel:DWORD dst_unused:UNUSED_PAD src0_sel:WORD_0 src1_sel:DWORD
	v_mul_u32_u24_sdwa v54, v62, s19 dst_sel:DWORD dst_unused:UNUSED_PAD src0_sel:WORD_1 src1_sel:DWORD
	s_waitcnt lgkmcnt(0)
	v_pk_fma_f16 v8, v5, v48, v8
	v_pk_fma_f16 v7, v5, v52, v7
	v_pk_fma_f16 v46, v5, v53, v46
	v_pk_fma_f16 v5, v5, v54, v47
	v_mul_u32_u24_sdwa v47, v63, s19 dst_sel:DWORD dst_unused:UNUSED_PAD src0_sel:WORD_0 src1_sel:DWORD
	v_mul_u32_u24_sdwa v48, v63, s19 dst_sel:DWORD dst_unused:UNUSED_PAD src0_sel:WORD_1 src1_sel:DWORD
	v_mul_u32_u24_sdwa v52, v64, s19 dst_sel:DWORD dst_unused:UNUSED_PAD src0_sel:WORD_0 src1_sel:DWORD
	v_mul_u32_u24_sdwa v53, v64, s19 dst_sel:DWORD dst_unused:UNUSED_PAD src0_sel:WORD_1 src1_sel:DWORD
	v_pk_fma_f16 v8, v6, v47, v8
	v_pk_fma_f16 v7, v6, v48, v7
	;; [unrolled: 1-line block ×4, first 2 shown]
	ds_read2_b32 v[5:6], v28 offset0:192 offset1:224
	v_mul_u32_u24_sdwa v48, v65, s19 dst_sel:DWORD dst_unused:UNUSED_PAD src0_sel:WORD_0 src1_sel:DWORD
	v_mul_u32_u24_sdwa v52, v65, s19 dst_sel:DWORD dst_unused:UNUSED_PAD src0_sel:WORD_1 src1_sel:DWORD
	v_mul_u32_u24_sdwa v53, v66, s19 dst_sel:DWORD dst_unused:UNUSED_PAD src0_sel:WORD_0 src1_sel:DWORD
	v_mul_u32_u24_sdwa v54, v66, s19 dst_sel:DWORD dst_unused:UNUSED_PAD src0_sel:WORD_1 src1_sel:DWORD
	s_waitcnt lgkmcnt(0)
	v_pk_fma_f16 v8, v5, v48, v8
	v_pk_fma_f16 v7, v5, v52, v7
	;; [unrolled: 1-line block ×4, first 2 shown]
	v_mul_u32_u24_sdwa v47, v67, s19 dst_sel:DWORD dst_unused:UNUSED_PAD src0_sel:WORD_0 src1_sel:DWORD
	v_mul_u32_u24_sdwa v48, v67, s19 dst_sel:DWORD dst_unused:UNUSED_PAD src0_sel:WORD_1 src1_sel:DWORD
	v_mul_u32_u24_sdwa v52, v68, s19 dst_sel:DWORD dst_unused:UNUSED_PAD src0_sel:WORD_0 src1_sel:DWORD
	v_mul_u32_u24_sdwa v53, v68, s19 dst_sel:DWORD dst_unused:UNUSED_PAD src0_sel:WORD_1 src1_sel:DWORD
	v_pk_fma_f16 v54, v6, v47, v8
	v_pk_fma_f16 v48, v6, v48, v7
	;; [unrolled: 1-line block ×4, first 2 shown]
	ds_read2_b32 v[46:47], v39 offset1:32
	ds_read_b128 v[5:8], v32 offset:64
	s_waitcnt lgkmcnt(0)
	v_mul_u32_u24_sdwa v55, v5, s19 dst_sel:DWORD dst_unused:UNUSED_PAD src0_sel:WORD_0 src1_sel:DWORD
	v_mul_u32_u24_sdwa v5, v5, s19 dst_sel:DWORD dst_unused:UNUSED_PAD src0_sel:WORD_1 src1_sel:DWORD
	v_mul_u32_u24_sdwa v56, v6, s19 dst_sel:DWORD dst_unused:UNUSED_PAD src0_sel:WORD_0 src1_sel:DWORD
	v_mul_u32_u24_sdwa v6, v6, s19 dst_sel:DWORD dst_unused:UNUSED_PAD src0_sel:WORD_1 src1_sel:DWORD
	v_pk_fma_f16 v54, v46, v55, v54
	v_pk_fma_f16 v5, v46, v5, v48
	v_pk_fma_f16 v48, v46, v56, v52
	v_pk_fma_f16 v6, v46, v6, v53
	v_mul_u32_u24_sdwa v46, v7, s19 dst_sel:DWORD dst_unused:UNUSED_PAD src0_sel:WORD_0 src1_sel:DWORD
	v_mul_u32_u24_sdwa v7, v7, s19 dst_sel:DWORD dst_unused:UNUSED_PAD src0_sel:WORD_1 src1_sel:DWORD
	v_mul_u32_u24_sdwa v52, v8, s19 dst_sel:DWORD dst_unused:UNUSED_PAD src0_sel:WORD_0 src1_sel:DWORD
	v_mul_u32_u24_sdwa v8, v8, s19 dst_sel:DWORD dst_unused:UNUSED_PAD src0_sel:WORD_1 src1_sel:DWORD
	v_pk_fma_f16 v53, v47, v46, v54
	v_pk_fma_f16 v54, v47, v7, v5
	v_pk_fma_f16 v48, v47, v52, v48
	v_pk_fma_f16 v52, v47, v8, v6
	ds_read2_b32 v[46:47], v39 offset0:64 offset1:96
	ds_read_b128 v[5:8], v32 offset:80
	s_waitcnt lgkmcnt(0)
	v_mul_u32_u24_sdwa v55, v5, s19 dst_sel:DWORD dst_unused:UNUSED_PAD src0_sel:WORD_0 src1_sel:DWORD
	v_mul_u32_u24_sdwa v5, v5, s19 dst_sel:DWORD dst_unused:UNUSED_PAD src0_sel:WORD_1 src1_sel:DWORD
	v_mul_u32_u24_sdwa v56, v6, s19 dst_sel:DWORD dst_unused:UNUSED_PAD src0_sel:WORD_0 src1_sel:DWORD
	v_mul_u32_u24_sdwa v6, v6, s19 dst_sel:DWORD dst_unused:UNUSED_PAD src0_sel:WORD_1 src1_sel:DWORD
	v_pk_fma_f16 v53, v46, v55, v53
	v_pk_fma_f16 v5, v46, v5, v54
	v_pk_fma_f16 v48, v46, v56, v48
	v_pk_fma_f16 v6, v46, v6, v52
	v_mul_u32_u24_sdwa v46, v7, s19 dst_sel:DWORD dst_unused:UNUSED_PAD src0_sel:WORD_0 src1_sel:DWORD
	v_mul_u32_u24_sdwa v7, v7, s19 dst_sel:DWORD dst_unused:UNUSED_PAD src0_sel:WORD_1 src1_sel:DWORD
	v_mul_u32_u24_sdwa v52, v8, s19 dst_sel:DWORD dst_unused:UNUSED_PAD src0_sel:WORD_0 src1_sel:DWORD
	v_mul_u32_u24_sdwa v8, v8, s19 dst_sel:DWORD dst_unused:UNUSED_PAD src0_sel:WORD_1 src1_sel:DWORD
	v_pk_fma_f16 v53, v47, v46, v53
	v_pk_fma_f16 v54, v47, v7, v5
	v_pk_fma_f16 v48, v47, v52, v48
	v_pk_fma_f16 v52, v47, v8, v6
	ds_read2_b32 v[46:47], v39 offset0:128 offset1:160
	;; [unrolled: 19-line block ×3, first 2 shown]
	ds_read_b128 v[5:8], v32 offset:112
	s_waitcnt lgkmcnt(0)
	v_mul_u32_u24_sdwa v55, v5, s19 dst_sel:DWORD dst_unused:UNUSED_PAD src0_sel:WORD_0 src1_sel:DWORD
	v_mul_u32_u24_sdwa v5, v5, s19 dst_sel:DWORD dst_unused:UNUSED_PAD src0_sel:WORD_1 src1_sel:DWORD
	v_mul_u32_u24_sdwa v56, v6, s19 dst_sel:DWORD dst_unused:UNUSED_PAD src0_sel:WORD_0 src1_sel:DWORD
	v_mul_u32_u24_sdwa v6, v6, s19 dst_sel:DWORD dst_unused:UNUSED_PAD src0_sel:WORD_1 src1_sel:DWORD
	v_pk_fma_f16 v53, v46, v55, v53
	v_pk_fma_f16 v5, v46, v5, v54
	;; [unrolled: 1-line block ×4, first 2 shown]
	v_mul_u32_u24_sdwa v46, v7, s19 dst_sel:DWORD dst_unused:UNUSED_PAD src0_sel:WORD_0 src1_sel:DWORD
	v_mul_u32_u24_sdwa v7, v7, s19 dst_sel:DWORD dst_unused:UNUSED_PAD src0_sel:WORD_1 src1_sel:DWORD
	v_mul_u32_u24_sdwa v52, v8, s19 dst_sel:DWORD dst_unused:UNUSED_PAD src0_sel:WORD_0 src1_sel:DWORD
	v_mul_u32_u24_sdwa v8, v8, s19 dst_sel:DWORD dst_unused:UNUSED_PAD src0_sel:WORD_1 src1_sel:DWORD
	v_pk_fma_f16 v53, v47, v46, v53
	v_pk_fma_f16 v54, v47, v7, v5
	;; [unrolled: 1-line block ×4, first 2 shown]
	ds_read2_b32 v[46:47], v40 offset1:32
	ds_read_b128 v[5:8], v32 offset:128
	s_waitcnt lgkmcnt(0)
	v_mul_u32_u24_sdwa v55, v5, s19 dst_sel:DWORD dst_unused:UNUSED_PAD src0_sel:WORD_0 src1_sel:DWORD
	v_mul_u32_u24_sdwa v5, v5, s19 dst_sel:DWORD dst_unused:UNUSED_PAD src0_sel:WORD_1 src1_sel:DWORD
	v_mul_u32_u24_sdwa v56, v6, s19 dst_sel:DWORD dst_unused:UNUSED_PAD src0_sel:WORD_0 src1_sel:DWORD
	v_mul_u32_u24_sdwa v6, v6, s19 dst_sel:DWORD dst_unused:UNUSED_PAD src0_sel:WORD_1 src1_sel:DWORD
	v_pk_fma_f16 v53, v46, v55, v53
	v_pk_fma_f16 v5, v46, v5, v54
	v_pk_fma_f16 v48, v46, v56, v48
	v_pk_fma_f16 v6, v46, v6, v52
	v_mul_u32_u24_sdwa v46, v7, s19 dst_sel:DWORD dst_unused:UNUSED_PAD src0_sel:WORD_0 src1_sel:DWORD
	v_mul_u32_u24_sdwa v7, v7, s19 dst_sel:DWORD dst_unused:UNUSED_PAD src0_sel:WORD_1 src1_sel:DWORD
	v_mul_u32_u24_sdwa v52, v8, s19 dst_sel:DWORD dst_unused:UNUSED_PAD src0_sel:WORD_0 src1_sel:DWORD
	v_mul_u32_u24_sdwa v8, v8, s19 dst_sel:DWORD dst_unused:UNUSED_PAD src0_sel:WORD_1 src1_sel:DWORD
	v_pk_fma_f16 v53, v47, v46, v53
	v_pk_fma_f16 v54, v47, v7, v5
	v_pk_fma_f16 v48, v47, v52, v48
	v_pk_fma_f16 v52, v47, v8, v6
	ds_read2_b32 v[46:47], v40 offset0:64 offset1:96
	ds_read_b128 v[5:8], v32 offset:144
	s_waitcnt lgkmcnt(0)
	v_mul_u32_u24_sdwa v55, v5, s19 dst_sel:DWORD dst_unused:UNUSED_PAD src0_sel:WORD_0 src1_sel:DWORD
	v_mul_u32_u24_sdwa v5, v5, s19 dst_sel:DWORD dst_unused:UNUSED_PAD src0_sel:WORD_1 src1_sel:DWORD
	v_mul_u32_u24_sdwa v56, v6, s19 dst_sel:DWORD dst_unused:UNUSED_PAD src0_sel:WORD_0 src1_sel:DWORD
	v_mul_u32_u24_sdwa v6, v6, s19 dst_sel:DWORD dst_unused:UNUSED_PAD src0_sel:WORD_1 src1_sel:DWORD
	v_pk_fma_f16 v53, v46, v55, v53
	v_pk_fma_f16 v5, v46, v5, v54
	v_pk_fma_f16 v48, v46, v56, v48
	v_pk_fma_f16 v6, v46, v6, v52
	v_mul_u32_u24_sdwa v46, v7, s19 dst_sel:DWORD dst_unused:UNUSED_PAD src0_sel:WORD_0 src1_sel:DWORD
	v_mul_u32_u24_sdwa v7, v7, s19 dst_sel:DWORD dst_unused:UNUSED_PAD src0_sel:WORD_1 src1_sel:DWORD
	v_mul_u32_u24_sdwa v52, v8, s19 dst_sel:DWORD dst_unused:UNUSED_PAD src0_sel:WORD_0 src1_sel:DWORD
	v_mul_u32_u24_sdwa v8, v8, s19 dst_sel:DWORD dst_unused:UNUSED_PAD src0_sel:WORD_1 src1_sel:DWORD
	v_pk_fma_f16 v53, v47, v46, v53
	v_pk_fma_f16 v54, v47, v7, v5
	v_pk_fma_f16 v48, v47, v52, v48
	v_pk_fma_f16 v52, v47, v8, v6
	ds_read2_b32 v[46:47], v40 offset0:128 offset1:160
	;; [unrolled: 19-line block ×3, first 2 shown]
	ds_read_b128 v[5:8], v32 offset:176
	s_waitcnt lgkmcnt(0)
	v_mul_u32_u24_sdwa v55, v5, s19 dst_sel:DWORD dst_unused:UNUSED_PAD src0_sel:WORD_0 src1_sel:DWORD
	v_mul_u32_u24_sdwa v5, v5, s19 dst_sel:DWORD dst_unused:UNUSED_PAD src0_sel:WORD_1 src1_sel:DWORD
	v_mul_u32_u24_sdwa v56, v6, s19 dst_sel:DWORD dst_unused:UNUSED_PAD src0_sel:WORD_0 src1_sel:DWORD
	v_mul_u32_u24_sdwa v6, v6, s19 dst_sel:DWORD dst_unused:UNUSED_PAD src0_sel:WORD_1 src1_sel:DWORD
	v_pk_fma_f16 v53, v46, v55, v53
	v_pk_fma_f16 v5, v46, v5, v54
	;; [unrolled: 1-line block ×4, first 2 shown]
	v_mul_u32_u24_sdwa v46, v7, s19 dst_sel:DWORD dst_unused:UNUSED_PAD src0_sel:WORD_0 src1_sel:DWORD
	v_mul_u32_u24_sdwa v7, v7, s19 dst_sel:DWORD dst_unused:UNUSED_PAD src0_sel:WORD_1 src1_sel:DWORD
	v_mul_u32_u24_sdwa v52, v8, s19 dst_sel:DWORD dst_unused:UNUSED_PAD src0_sel:WORD_0 src1_sel:DWORD
	v_mul_u32_u24_sdwa v8, v8, s19 dst_sel:DWORD dst_unused:UNUSED_PAD src0_sel:WORD_1 src1_sel:DWORD
	v_pk_fma_f16 v53, v47, v46, v53
	v_pk_fma_f16 v54, v47, v7, v5
	;; [unrolled: 1-line block ×4, first 2 shown]
	ds_read2_b32 v[46:47], v41 offset1:32
	ds_read_b128 v[5:8], v32 offset:192
	s_waitcnt lgkmcnt(0)
	v_mul_u32_u24_sdwa v55, v5, s19 dst_sel:DWORD dst_unused:UNUSED_PAD src0_sel:WORD_0 src1_sel:DWORD
	v_mul_u32_u24_sdwa v5, v5, s19 dst_sel:DWORD dst_unused:UNUSED_PAD src0_sel:WORD_1 src1_sel:DWORD
	v_mul_u32_u24_sdwa v56, v6, s19 dst_sel:DWORD dst_unused:UNUSED_PAD src0_sel:WORD_0 src1_sel:DWORD
	v_mul_u32_u24_sdwa v6, v6, s19 dst_sel:DWORD dst_unused:UNUSED_PAD src0_sel:WORD_1 src1_sel:DWORD
	v_pk_fma_f16 v53, v46, v55, v53
	v_pk_fma_f16 v5, v46, v5, v54
	v_pk_fma_f16 v48, v46, v56, v48
	v_pk_fma_f16 v6, v46, v6, v52
	v_mul_u32_u24_sdwa v46, v7, s19 dst_sel:DWORD dst_unused:UNUSED_PAD src0_sel:WORD_0 src1_sel:DWORD
	v_mul_u32_u24_sdwa v7, v7, s19 dst_sel:DWORD dst_unused:UNUSED_PAD src0_sel:WORD_1 src1_sel:DWORD
	v_mul_u32_u24_sdwa v52, v8, s19 dst_sel:DWORD dst_unused:UNUSED_PAD src0_sel:WORD_0 src1_sel:DWORD
	v_mul_u32_u24_sdwa v8, v8, s19 dst_sel:DWORD dst_unused:UNUSED_PAD src0_sel:WORD_1 src1_sel:DWORD
	v_pk_fma_f16 v53, v47, v46, v53
	v_pk_fma_f16 v54, v47, v7, v5
	v_pk_fma_f16 v48, v47, v52, v48
	v_pk_fma_f16 v52, v47, v8, v6
	ds_read2_b32 v[46:47], v41 offset0:64 offset1:96
	ds_read_b128 v[5:8], v32 offset:208
	s_waitcnt lgkmcnt(0)
	v_mul_u32_u24_sdwa v55, v5, s19 dst_sel:DWORD dst_unused:UNUSED_PAD src0_sel:WORD_0 src1_sel:DWORD
	v_mul_u32_u24_sdwa v5, v5, s19 dst_sel:DWORD dst_unused:UNUSED_PAD src0_sel:WORD_1 src1_sel:DWORD
	v_mul_u32_u24_sdwa v56, v6, s19 dst_sel:DWORD dst_unused:UNUSED_PAD src0_sel:WORD_0 src1_sel:DWORD
	v_mul_u32_u24_sdwa v6, v6, s19 dst_sel:DWORD dst_unused:UNUSED_PAD src0_sel:WORD_1 src1_sel:DWORD
	v_pk_fma_f16 v53, v46, v55, v53
	v_pk_fma_f16 v5, v46, v5, v54
	v_pk_fma_f16 v48, v46, v56, v48
	v_pk_fma_f16 v6, v46, v6, v52
	v_mul_u32_u24_sdwa v46, v7, s19 dst_sel:DWORD dst_unused:UNUSED_PAD src0_sel:WORD_0 src1_sel:DWORD
	v_mul_u32_u24_sdwa v7, v7, s19 dst_sel:DWORD dst_unused:UNUSED_PAD src0_sel:WORD_1 src1_sel:DWORD
	v_mul_u32_u24_sdwa v52, v8, s19 dst_sel:DWORD dst_unused:UNUSED_PAD src0_sel:WORD_0 src1_sel:DWORD
	v_mul_u32_u24_sdwa v8, v8, s19 dst_sel:DWORD dst_unused:UNUSED_PAD src0_sel:WORD_1 src1_sel:DWORD
	v_pk_fma_f16 v53, v47, v46, v53
	v_pk_fma_f16 v54, v47, v7, v5
	v_pk_fma_f16 v48, v47, v52, v48
	v_pk_fma_f16 v52, v47, v8, v6
	ds_read2_b32 v[46:47], v41 offset0:128 offset1:160
	ds_read_b128 v[5:8], v32 offset:224
	s_waitcnt lgkmcnt(0)
	v_mul_u32_u24_sdwa v55, v5, s19 dst_sel:DWORD dst_unused:UNUSED_PAD src0_sel:WORD_0 src1_sel:DWORD
	v_mul_u32_u24_sdwa v5, v5, s19 dst_sel:DWORD dst_unused:UNUSED_PAD src0_sel:WORD_1 src1_sel:DWORD
	v_mul_u32_u24_sdwa v56, v6, s19 dst_sel:DWORD dst_unused:UNUSED_PAD src0_sel:WORD_0 src1_sel:DWORD
	v_mul_u32_u24_sdwa v6, v6, s19 dst_sel:DWORD dst_unused:UNUSED_PAD src0_sel:WORD_1 src1_sel:DWORD
	v_pk_fma_f16 v53, v46, v55, v53
	v_pk_fma_f16 v5, v46, v5, v54
	v_pk_fma_f16 v48, v46, v56, v48
	v_pk_fma_f16 v6, v46, v6, v52
	v_mul_u32_u24_sdwa v46, v7, s19 dst_sel:DWORD dst_unused:UNUSED_PAD src0_sel:WORD_0 src1_sel:DWORD
	v_mul_u32_u24_sdwa v7, v7, s19 dst_sel:DWORD dst_unused:UNUSED_PAD src0_sel:WORD_1 src1_sel:DWORD
	v_mul_u32_u24_sdwa v52, v8, s19 dst_sel:DWORD dst_unused:UNUSED_PAD src0_sel:WORD_0 src1_sel:DWORD
	v_mul_u32_u24_sdwa v8, v8, s19 dst_sel:DWORD dst_unused:UNUSED_PAD src0_sel:WORD_1 src1_sel:DWORD
	v_pk_fma_f16 v53, v47, v46, v53
	v_pk_fma_f16 v54, v47, v7, v5
	v_pk_fma_f16 v48, v47, v52, v48
	v_pk_fma_f16 v52, v47, v8, v6
	ds_read2_b32 v[46:47], v41 offset0:192 offset1:224
	ds_read_b128 v[5:8], v32 offset:240
	s_waitcnt lgkmcnt(0)
	v_mul_u32_u24_sdwa v55, v5, s19 dst_sel:DWORD dst_unused:UNUSED_PAD src0_sel:WORD_0 src1_sel:DWORD
	v_mul_u32_u24_sdwa v5, v5, s19 dst_sel:DWORD dst_unused:UNUSED_PAD src0_sel:WORD_1 src1_sel:DWORD
	v_mul_u32_u24_sdwa v56, v6, s19 dst_sel:DWORD dst_unused:UNUSED_PAD src0_sel:WORD_0 src1_sel:DWORD
	v_mul_u32_u24_sdwa v6, v6, s19 dst_sel:DWORD dst_unused:UNUSED_PAD src0_sel:WORD_1 src1_sel:DWORD
	v_pk_fma_f16 v53, v46, v55, v53
	v_pk_fma_f16 v5, v46, v5, v54
	;; [unrolled: 1-line block ×4, first 2 shown]
	v_mul_u32_u24_sdwa v46, v7, s19 dst_sel:DWORD dst_unused:UNUSED_PAD src0_sel:WORD_0 src1_sel:DWORD
	v_mul_u32_u24_sdwa v7, v7, s19 dst_sel:DWORD dst_unused:UNUSED_PAD src0_sel:WORD_1 src1_sel:DWORD
	v_mul_u32_u24_sdwa v52, v8, s19 dst_sel:DWORD dst_unused:UNUSED_PAD src0_sel:WORD_0 src1_sel:DWORD
	v_mul_u32_u24_sdwa v8, v8, s19 dst_sel:DWORD dst_unused:UNUSED_PAD src0_sel:WORD_1 src1_sel:DWORD
	v_pk_fma_f16 v53, v47, v46, v53
	v_pk_fma_f16 v54, v47, v7, v5
	;; [unrolled: 1-line block ×4, first 2 shown]
	ds_read2_b32 v[46:47], v42 offset1:32
	ds_read_b128 v[5:8], v32 offset:256
	s_waitcnt lgkmcnt(0)
	v_mul_u32_u24_sdwa v55, v5, s19 dst_sel:DWORD dst_unused:UNUSED_PAD src0_sel:WORD_0 src1_sel:DWORD
	v_mul_u32_u24_sdwa v5, v5, s19 dst_sel:DWORD dst_unused:UNUSED_PAD src0_sel:WORD_1 src1_sel:DWORD
	v_mul_u32_u24_sdwa v56, v6, s19 dst_sel:DWORD dst_unused:UNUSED_PAD src0_sel:WORD_0 src1_sel:DWORD
	v_mul_u32_u24_sdwa v6, v6, s19 dst_sel:DWORD dst_unused:UNUSED_PAD src0_sel:WORD_1 src1_sel:DWORD
	v_pk_fma_f16 v53, v46, v55, v53
	v_pk_fma_f16 v5, v46, v5, v54
	v_pk_fma_f16 v48, v46, v56, v48
	v_pk_fma_f16 v6, v46, v6, v52
	v_mul_u32_u24_sdwa v46, v7, s19 dst_sel:DWORD dst_unused:UNUSED_PAD src0_sel:WORD_0 src1_sel:DWORD
	v_mul_u32_u24_sdwa v7, v7, s19 dst_sel:DWORD dst_unused:UNUSED_PAD src0_sel:WORD_1 src1_sel:DWORD
	v_mul_u32_u24_sdwa v52, v8, s19 dst_sel:DWORD dst_unused:UNUSED_PAD src0_sel:WORD_0 src1_sel:DWORD
	v_mul_u32_u24_sdwa v8, v8, s19 dst_sel:DWORD dst_unused:UNUSED_PAD src0_sel:WORD_1 src1_sel:DWORD
	v_pk_fma_f16 v53, v47, v46, v53
	v_pk_fma_f16 v54, v47, v7, v5
	v_pk_fma_f16 v48, v47, v52, v48
	v_pk_fma_f16 v52, v47, v8, v6
	ds_read2_b32 v[46:47], v42 offset0:64 offset1:96
	ds_read_b128 v[5:8], v32 offset:272
	s_waitcnt lgkmcnt(0)
	v_mul_u32_u24_sdwa v55, v5, s19 dst_sel:DWORD dst_unused:UNUSED_PAD src0_sel:WORD_0 src1_sel:DWORD
	v_mul_u32_u24_sdwa v5, v5, s19 dst_sel:DWORD dst_unused:UNUSED_PAD src0_sel:WORD_1 src1_sel:DWORD
	v_mul_u32_u24_sdwa v56, v6, s19 dst_sel:DWORD dst_unused:UNUSED_PAD src0_sel:WORD_0 src1_sel:DWORD
	v_mul_u32_u24_sdwa v6, v6, s19 dst_sel:DWORD dst_unused:UNUSED_PAD src0_sel:WORD_1 src1_sel:DWORD
	v_pk_fma_f16 v53, v46, v55, v53
	v_pk_fma_f16 v5, v46, v5, v54
	v_pk_fma_f16 v48, v46, v56, v48
	v_pk_fma_f16 v6, v46, v6, v52
	v_mul_u32_u24_sdwa v46, v7, s19 dst_sel:DWORD dst_unused:UNUSED_PAD src0_sel:WORD_0 src1_sel:DWORD
	v_mul_u32_u24_sdwa v7, v7, s19 dst_sel:DWORD dst_unused:UNUSED_PAD src0_sel:WORD_1 src1_sel:DWORD
	v_mul_u32_u24_sdwa v52, v8, s19 dst_sel:DWORD dst_unused:UNUSED_PAD src0_sel:WORD_0 src1_sel:DWORD
	v_mul_u32_u24_sdwa v8, v8, s19 dst_sel:DWORD dst_unused:UNUSED_PAD src0_sel:WORD_1 src1_sel:DWORD
	v_pk_fma_f16 v53, v47, v46, v53
	v_pk_fma_f16 v54, v47, v7, v5
	v_pk_fma_f16 v48, v47, v52, v48
	v_pk_fma_f16 v52, v47, v8, v6
	ds_read2_b32 v[46:47], v42 offset0:128 offset1:160
	ds_read_b128 v[5:8], v32 offset:288
	s_waitcnt lgkmcnt(0)
	v_mul_u32_u24_sdwa v55, v5, s19 dst_sel:DWORD dst_unused:UNUSED_PAD src0_sel:WORD_0 src1_sel:DWORD
	v_mul_u32_u24_sdwa v5, v5, s19 dst_sel:DWORD dst_unused:UNUSED_PAD src0_sel:WORD_1 src1_sel:DWORD
	v_mul_u32_u24_sdwa v56, v6, s19 dst_sel:DWORD dst_unused:UNUSED_PAD src0_sel:WORD_0 src1_sel:DWORD
	v_mul_u32_u24_sdwa v6, v6, s19 dst_sel:DWORD dst_unused:UNUSED_PAD src0_sel:WORD_1 src1_sel:DWORD
	v_pk_fma_f16 v53, v46, v55, v53
	v_pk_fma_f16 v5, v46, v5, v54
	v_pk_fma_f16 v48, v46, v56, v48
	v_pk_fma_f16 v6, v46, v6, v52
	v_mul_u32_u24_sdwa v46, v7, s19 dst_sel:DWORD dst_unused:UNUSED_PAD src0_sel:WORD_0 src1_sel:DWORD
	v_mul_u32_u24_sdwa v7, v7, s19 dst_sel:DWORD dst_unused:UNUSED_PAD src0_sel:WORD_1 src1_sel:DWORD
	v_mul_u32_u24_sdwa v52, v8, s19 dst_sel:DWORD dst_unused:UNUSED_PAD src0_sel:WORD_0 src1_sel:DWORD
	v_mul_u32_u24_sdwa v8, v8, s19 dst_sel:DWORD dst_unused:UNUSED_PAD src0_sel:WORD_1 src1_sel:DWORD
	v_pk_fma_f16 v53, v47, v46, v53
	v_pk_fma_f16 v54, v47, v7, v5
	v_pk_fma_f16 v48, v47, v52, v48
	v_pk_fma_f16 v52, v47, v8, v6
	ds_read2_b32 v[46:47], v42 offset0:192 offset1:224
	ds_read_b128 v[5:8], v32 offset:304
	s_waitcnt lgkmcnt(0)
	v_mul_u32_u24_sdwa v55, v5, s19 dst_sel:DWORD dst_unused:UNUSED_PAD src0_sel:WORD_0 src1_sel:DWORD
	v_mul_u32_u24_sdwa v5, v5, s19 dst_sel:DWORD dst_unused:UNUSED_PAD src0_sel:WORD_1 src1_sel:DWORD
	v_mul_u32_u24_sdwa v56, v6, s19 dst_sel:DWORD dst_unused:UNUSED_PAD src0_sel:WORD_0 src1_sel:DWORD
	v_mul_u32_u24_sdwa v6, v6, s19 dst_sel:DWORD dst_unused:UNUSED_PAD src0_sel:WORD_1 src1_sel:DWORD
	v_pk_fma_f16 v53, v46, v55, v53
	v_pk_fma_f16 v5, v46, v5, v54
	;; [unrolled: 1-line block ×4, first 2 shown]
	v_mul_u32_u24_sdwa v46, v7, s19 dst_sel:DWORD dst_unused:UNUSED_PAD src0_sel:WORD_0 src1_sel:DWORD
	v_mul_u32_u24_sdwa v7, v7, s19 dst_sel:DWORD dst_unused:UNUSED_PAD src0_sel:WORD_1 src1_sel:DWORD
	v_mul_u32_u24_sdwa v52, v8, s19 dst_sel:DWORD dst_unused:UNUSED_PAD src0_sel:WORD_0 src1_sel:DWORD
	v_mul_u32_u24_sdwa v8, v8, s19 dst_sel:DWORD dst_unused:UNUSED_PAD src0_sel:WORD_1 src1_sel:DWORD
	v_pk_fma_f16 v53, v47, v46, v53
	v_pk_fma_f16 v54, v47, v7, v5
	;; [unrolled: 1-line block ×4, first 2 shown]
	ds_read2_b32 v[46:47], v43 offset1:32
	ds_read_b128 v[5:8], v32 offset:320
	s_waitcnt lgkmcnt(0)
	v_mul_u32_u24_sdwa v55, v5, s19 dst_sel:DWORD dst_unused:UNUSED_PAD src0_sel:WORD_0 src1_sel:DWORD
	v_mul_u32_u24_sdwa v5, v5, s19 dst_sel:DWORD dst_unused:UNUSED_PAD src0_sel:WORD_1 src1_sel:DWORD
	v_mul_u32_u24_sdwa v56, v6, s19 dst_sel:DWORD dst_unused:UNUSED_PAD src0_sel:WORD_0 src1_sel:DWORD
	v_mul_u32_u24_sdwa v6, v6, s19 dst_sel:DWORD dst_unused:UNUSED_PAD src0_sel:WORD_1 src1_sel:DWORD
	v_pk_fma_f16 v53, v46, v55, v53
	v_pk_fma_f16 v5, v46, v5, v54
	v_pk_fma_f16 v48, v46, v56, v48
	v_pk_fma_f16 v6, v46, v6, v52
	v_mul_u32_u24_sdwa v46, v7, s19 dst_sel:DWORD dst_unused:UNUSED_PAD src0_sel:WORD_0 src1_sel:DWORD
	v_mul_u32_u24_sdwa v7, v7, s19 dst_sel:DWORD dst_unused:UNUSED_PAD src0_sel:WORD_1 src1_sel:DWORD
	v_mul_u32_u24_sdwa v52, v8, s19 dst_sel:DWORD dst_unused:UNUSED_PAD src0_sel:WORD_0 src1_sel:DWORD
	v_mul_u32_u24_sdwa v8, v8, s19 dst_sel:DWORD dst_unused:UNUSED_PAD src0_sel:WORD_1 src1_sel:DWORD
	v_pk_fma_f16 v53, v47, v46, v53
	v_pk_fma_f16 v54, v47, v7, v5
	v_pk_fma_f16 v48, v47, v52, v48
	v_pk_fma_f16 v52, v47, v8, v6
	ds_read2_b32 v[46:47], v43 offset0:64 offset1:96
	ds_read_b128 v[5:8], v32 offset:336
	s_waitcnt lgkmcnt(0)
	v_mul_u32_u24_sdwa v55, v5, s19 dst_sel:DWORD dst_unused:UNUSED_PAD src0_sel:WORD_0 src1_sel:DWORD
	v_mul_u32_u24_sdwa v5, v5, s19 dst_sel:DWORD dst_unused:UNUSED_PAD src0_sel:WORD_1 src1_sel:DWORD
	v_mul_u32_u24_sdwa v56, v6, s19 dst_sel:DWORD dst_unused:UNUSED_PAD src0_sel:WORD_0 src1_sel:DWORD
	v_mul_u32_u24_sdwa v6, v6, s19 dst_sel:DWORD dst_unused:UNUSED_PAD src0_sel:WORD_1 src1_sel:DWORD
	v_pk_fma_f16 v53, v46, v55, v53
	v_pk_fma_f16 v5, v46, v5, v54
	v_pk_fma_f16 v48, v46, v56, v48
	v_pk_fma_f16 v6, v46, v6, v52
	v_mul_u32_u24_sdwa v46, v7, s19 dst_sel:DWORD dst_unused:UNUSED_PAD src0_sel:WORD_0 src1_sel:DWORD
	v_mul_u32_u24_sdwa v7, v7, s19 dst_sel:DWORD dst_unused:UNUSED_PAD src0_sel:WORD_1 src1_sel:DWORD
	v_mul_u32_u24_sdwa v52, v8, s19 dst_sel:DWORD dst_unused:UNUSED_PAD src0_sel:WORD_0 src1_sel:DWORD
	v_mul_u32_u24_sdwa v8, v8, s19 dst_sel:DWORD dst_unused:UNUSED_PAD src0_sel:WORD_1 src1_sel:DWORD
	v_pk_fma_f16 v53, v47, v46, v53
	v_pk_fma_f16 v54, v47, v7, v5
	v_pk_fma_f16 v48, v47, v52, v48
	v_pk_fma_f16 v52, v47, v8, v6
	ds_read2_b32 v[46:47], v43 offset0:128 offset1:160
	;; [unrolled: 19-line block ×3, first 2 shown]
	ds_read_b128 v[5:8], v32 offset:368
	s_waitcnt lgkmcnt(0)
	v_mul_u32_u24_sdwa v55, v5, s19 dst_sel:DWORD dst_unused:UNUSED_PAD src0_sel:WORD_0 src1_sel:DWORD
	v_mul_u32_u24_sdwa v5, v5, s19 dst_sel:DWORD dst_unused:UNUSED_PAD src0_sel:WORD_1 src1_sel:DWORD
	v_mul_u32_u24_sdwa v56, v6, s19 dst_sel:DWORD dst_unused:UNUSED_PAD src0_sel:WORD_0 src1_sel:DWORD
	v_mul_u32_u24_sdwa v6, v6, s19 dst_sel:DWORD dst_unused:UNUSED_PAD src0_sel:WORD_1 src1_sel:DWORD
	v_pk_fma_f16 v53, v46, v55, v53
	v_pk_fma_f16 v5, v46, v5, v54
	;; [unrolled: 1-line block ×4, first 2 shown]
	v_mul_u32_u24_sdwa v46, v7, s19 dst_sel:DWORD dst_unused:UNUSED_PAD src0_sel:WORD_0 src1_sel:DWORD
	v_mul_u32_u24_sdwa v7, v7, s19 dst_sel:DWORD dst_unused:UNUSED_PAD src0_sel:WORD_1 src1_sel:DWORD
	v_mul_u32_u24_sdwa v52, v8, s19 dst_sel:DWORD dst_unused:UNUSED_PAD src0_sel:WORD_0 src1_sel:DWORD
	v_mul_u32_u24_sdwa v8, v8, s19 dst_sel:DWORD dst_unused:UNUSED_PAD src0_sel:WORD_1 src1_sel:DWORD
	v_pk_fma_f16 v53, v47, v46, v53
	v_pk_fma_f16 v54, v47, v7, v5
	;; [unrolled: 1-line block ×4, first 2 shown]
	ds_read2_b32 v[46:47], v44 offset1:32
	ds_read_b128 v[5:8], v32 offset:384
	s_waitcnt lgkmcnt(0)
	v_mul_u32_u24_sdwa v55, v5, s19 dst_sel:DWORD dst_unused:UNUSED_PAD src0_sel:WORD_0 src1_sel:DWORD
	v_mul_u32_u24_sdwa v5, v5, s19 dst_sel:DWORD dst_unused:UNUSED_PAD src0_sel:WORD_1 src1_sel:DWORD
	v_mul_u32_u24_sdwa v56, v6, s19 dst_sel:DWORD dst_unused:UNUSED_PAD src0_sel:WORD_0 src1_sel:DWORD
	v_mul_u32_u24_sdwa v6, v6, s19 dst_sel:DWORD dst_unused:UNUSED_PAD src0_sel:WORD_1 src1_sel:DWORD
	v_pk_fma_f16 v53, v46, v55, v53
	v_pk_fma_f16 v5, v46, v5, v54
	v_pk_fma_f16 v48, v46, v56, v48
	v_pk_fma_f16 v6, v46, v6, v52
	v_mul_u32_u24_sdwa v46, v7, s19 dst_sel:DWORD dst_unused:UNUSED_PAD src0_sel:WORD_0 src1_sel:DWORD
	v_mul_u32_u24_sdwa v7, v7, s19 dst_sel:DWORD dst_unused:UNUSED_PAD src0_sel:WORD_1 src1_sel:DWORD
	v_mul_u32_u24_sdwa v52, v8, s19 dst_sel:DWORD dst_unused:UNUSED_PAD src0_sel:WORD_0 src1_sel:DWORD
	v_mul_u32_u24_sdwa v8, v8, s19 dst_sel:DWORD dst_unused:UNUSED_PAD src0_sel:WORD_1 src1_sel:DWORD
	v_pk_fma_f16 v53, v47, v46, v53
	v_pk_fma_f16 v54, v47, v7, v5
	v_pk_fma_f16 v48, v47, v52, v48
	v_pk_fma_f16 v52, v47, v8, v6
	ds_read2_b32 v[46:47], v44 offset0:64 offset1:96
	ds_read_b128 v[5:8], v32 offset:400
	s_waitcnt lgkmcnt(0)
	v_mul_u32_u24_sdwa v55, v5, s19 dst_sel:DWORD dst_unused:UNUSED_PAD src0_sel:WORD_0 src1_sel:DWORD
	v_mul_u32_u24_sdwa v5, v5, s19 dst_sel:DWORD dst_unused:UNUSED_PAD src0_sel:WORD_1 src1_sel:DWORD
	v_mul_u32_u24_sdwa v56, v6, s19 dst_sel:DWORD dst_unused:UNUSED_PAD src0_sel:WORD_0 src1_sel:DWORD
	v_mul_u32_u24_sdwa v6, v6, s19 dst_sel:DWORD dst_unused:UNUSED_PAD src0_sel:WORD_1 src1_sel:DWORD
	v_pk_fma_f16 v53, v46, v55, v53
	v_pk_fma_f16 v5, v46, v5, v54
	v_pk_fma_f16 v48, v46, v56, v48
	v_pk_fma_f16 v6, v46, v6, v52
	v_mul_u32_u24_sdwa v46, v7, s19 dst_sel:DWORD dst_unused:UNUSED_PAD src0_sel:WORD_0 src1_sel:DWORD
	v_mul_u32_u24_sdwa v7, v7, s19 dst_sel:DWORD dst_unused:UNUSED_PAD src0_sel:WORD_1 src1_sel:DWORD
	v_mul_u32_u24_sdwa v52, v8, s19 dst_sel:DWORD dst_unused:UNUSED_PAD src0_sel:WORD_0 src1_sel:DWORD
	v_mul_u32_u24_sdwa v8, v8, s19 dst_sel:DWORD dst_unused:UNUSED_PAD src0_sel:WORD_1 src1_sel:DWORD
	v_pk_fma_f16 v53, v47, v46, v53
	v_pk_fma_f16 v54, v47, v7, v5
	v_pk_fma_f16 v48, v47, v52, v48
	v_pk_fma_f16 v52, v47, v8, v6
	ds_read2_b32 v[46:47], v44 offset0:128 offset1:160
	;; [unrolled: 19-line block ×3, first 2 shown]
	ds_read_b128 v[5:8], v32 offset:432
	s_waitcnt lgkmcnt(0)
	v_mul_u32_u24_sdwa v55, v5, s19 dst_sel:DWORD dst_unused:UNUSED_PAD src0_sel:WORD_0 src1_sel:DWORD
	v_mul_u32_u24_sdwa v5, v5, s19 dst_sel:DWORD dst_unused:UNUSED_PAD src0_sel:WORD_1 src1_sel:DWORD
	v_mul_u32_u24_sdwa v56, v6, s19 dst_sel:DWORD dst_unused:UNUSED_PAD src0_sel:WORD_0 src1_sel:DWORD
	v_mul_u32_u24_sdwa v6, v6, s19 dst_sel:DWORD dst_unused:UNUSED_PAD src0_sel:WORD_1 src1_sel:DWORD
	v_pk_fma_f16 v53, v46, v55, v53
	v_pk_fma_f16 v5, v46, v5, v54
	;; [unrolled: 1-line block ×4, first 2 shown]
	v_mul_u32_u24_sdwa v46, v7, s19 dst_sel:DWORD dst_unused:UNUSED_PAD src0_sel:WORD_0 src1_sel:DWORD
	v_mul_u32_u24_sdwa v7, v7, s19 dst_sel:DWORD dst_unused:UNUSED_PAD src0_sel:WORD_1 src1_sel:DWORD
	v_mul_u32_u24_sdwa v52, v8, s19 dst_sel:DWORD dst_unused:UNUSED_PAD src0_sel:WORD_0 src1_sel:DWORD
	v_mul_u32_u24_sdwa v8, v8, s19 dst_sel:DWORD dst_unused:UNUSED_PAD src0_sel:WORD_1 src1_sel:DWORD
	v_pk_fma_f16 v53, v47, v46, v53
	v_pk_fma_f16 v54, v47, v7, v5
	v_pk_fma_f16 v48, v47, v52, v48
	v_pk_fma_f16 v52, v47, v8, v6
	ds_read2_b32 v[46:47], v45 offset1:32
	ds_read_b128 v[5:8], v32 offset:448
	s_waitcnt lgkmcnt(0)
	v_mul_u32_u24_sdwa v55, v5, s19 dst_sel:DWORD dst_unused:UNUSED_PAD src0_sel:WORD_0 src1_sel:DWORD
	v_mul_u32_u24_sdwa v5, v5, s19 dst_sel:DWORD dst_unused:UNUSED_PAD src0_sel:WORD_1 src1_sel:DWORD
	v_mul_u32_u24_sdwa v56, v6, s19 dst_sel:DWORD dst_unused:UNUSED_PAD src0_sel:WORD_0 src1_sel:DWORD
	v_mul_u32_u24_sdwa v6, v6, s19 dst_sel:DWORD dst_unused:UNUSED_PAD src0_sel:WORD_1 src1_sel:DWORD
	v_pk_fma_f16 v53, v46, v55, v53
	v_pk_fma_f16 v5, v46, v5, v54
	v_pk_fma_f16 v48, v46, v56, v48
	v_pk_fma_f16 v6, v46, v6, v52
	v_mul_u32_u24_sdwa v46, v7, s19 dst_sel:DWORD dst_unused:UNUSED_PAD src0_sel:WORD_0 src1_sel:DWORD
	v_mul_u32_u24_sdwa v7, v7, s19 dst_sel:DWORD dst_unused:UNUSED_PAD src0_sel:WORD_1 src1_sel:DWORD
	v_mul_u32_u24_sdwa v52, v8, s19 dst_sel:DWORD dst_unused:UNUSED_PAD src0_sel:WORD_0 src1_sel:DWORD
	v_mul_u32_u24_sdwa v8, v8, s19 dst_sel:DWORD dst_unused:UNUSED_PAD src0_sel:WORD_1 src1_sel:DWORD
	v_pk_fma_f16 v53, v47, v46, v53
	v_pk_fma_f16 v54, v47, v7, v5
	v_pk_fma_f16 v48, v47, v52, v48
	v_pk_fma_f16 v52, v47, v8, v6
	ds_read2_b32 v[46:47], v45 offset0:64 offset1:96
	ds_read_b128 v[5:8], v32 offset:464
	s_waitcnt lgkmcnt(0)
	v_mul_u32_u24_sdwa v55, v5, s19 dst_sel:DWORD dst_unused:UNUSED_PAD src0_sel:WORD_0 src1_sel:DWORD
	v_mul_u32_u24_sdwa v5, v5, s19 dst_sel:DWORD dst_unused:UNUSED_PAD src0_sel:WORD_1 src1_sel:DWORD
	v_mul_u32_u24_sdwa v56, v6, s19 dst_sel:DWORD dst_unused:UNUSED_PAD src0_sel:WORD_0 src1_sel:DWORD
	v_mul_u32_u24_sdwa v6, v6, s19 dst_sel:DWORD dst_unused:UNUSED_PAD src0_sel:WORD_1 src1_sel:DWORD
	v_pk_fma_f16 v53, v46, v55, v53
	v_pk_fma_f16 v5, v46, v5, v54
	v_pk_fma_f16 v48, v46, v56, v48
	v_pk_fma_f16 v6, v46, v6, v52
	v_mul_u32_u24_sdwa v46, v7, s19 dst_sel:DWORD dst_unused:UNUSED_PAD src0_sel:WORD_0 src1_sel:DWORD
	v_mul_u32_u24_sdwa v7, v7, s19 dst_sel:DWORD dst_unused:UNUSED_PAD src0_sel:WORD_1 src1_sel:DWORD
	v_mul_u32_u24_sdwa v52, v8, s19 dst_sel:DWORD dst_unused:UNUSED_PAD src0_sel:WORD_0 src1_sel:DWORD
	v_mul_u32_u24_sdwa v8, v8, s19 dst_sel:DWORD dst_unused:UNUSED_PAD src0_sel:WORD_1 src1_sel:DWORD
	v_pk_fma_f16 v53, v47, v46, v53
	v_pk_fma_f16 v54, v47, v7, v5
	v_pk_fma_f16 v48, v47, v52, v48
	v_pk_fma_f16 v52, v47, v8, v6
	ds_read2_b32 v[46:47], v45 offset0:128 offset1:160
	;; [unrolled: 19-line block ×3, first 2 shown]
	ds_read_b128 v[5:8], v32 offset:496
	s_waitcnt lgkmcnt(0)
	s_barrier
	s_load_dword s24, s[0:1], 0x4
	v_mul_u32_u24_sdwa v55, v5, s19 dst_sel:DWORD dst_unused:UNUSED_PAD src0_sel:WORD_0 src1_sel:DWORD
	v_mul_u32_u24_sdwa v5, v5, s19 dst_sel:DWORD dst_unused:UNUSED_PAD src0_sel:WORD_1 src1_sel:DWORD
	v_mul_u32_u24_sdwa v56, v6, s19 dst_sel:DWORD dst_unused:UNUSED_PAD src0_sel:WORD_0 src1_sel:DWORD
	v_mul_u32_u24_sdwa v6, v6, s19 dst_sel:DWORD dst_unused:UNUSED_PAD src0_sel:WORD_1 src1_sel:DWORD
	s_waitcnt lgkmcnt(0)
	s_lshl_b32 s24, s24, 6
	v_pk_fma_f16 v46, v52, v55, v46
	v_pk_fma_f16 v5, v52, v5, v54
	;; [unrolled: 1-line block ×4, first 2 shown]
	v_mul_u32_u24_sdwa v47, v7, s19 dst_sel:DWORD dst_unused:UNUSED_PAD src0_sel:WORD_0 src1_sel:DWORD
	v_mul_u32_u24_sdwa v7, v7, s19 dst_sel:DWORD dst_unused:UNUSED_PAD src0_sel:WORD_1 src1_sel:DWORD
	v_mul_u32_u24_sdwa v52, v8, s19 dst_sel:DWORD dst_unused:UNUSED_PAD src0_sel:WORD_0 src1_sel:DWORD
	v_mul_u32_u24_sdwa v8, v8, s19 dst_sel:DWORD dst_unused:UNUSED_PAD src0_sel:WORD_1 src1_sel:DWORD
	s_add_i32 s6, s24, s6
	v_pk_fma_f16 v48, v53, v47, v46
	v_pk_fma_f16 v47, v53, v7, v5
	;; [unrolled: 1-line block ×4, first 2 shown]
	s_cmp_ge_i32 s6, s30
	s_cbranch_scc0 .LBB21_9
.LBB21_10:
	v_cmp_lt_i32_e32 vcc, v26, v21
	v_cndmask_b32_e32 v5, v20, v26, vcc
	v_lshlrev_b32_e32 v5, 2, v5
	ds_bpermute_b32 v6, v5, v49
	ds_bpermute_b32 v12, v5, v50
	ds_bpermute_b32 v13, v5, v51
	ds_bpermute_b32 v5, v5, v27
	v_cmp_lt_i32_e32 vcc, v25, v21
	v_cndmask_b32_e32 v7, v20, v25, vcc
	v_lshlrev_b32_e32 v7, 2, v7
	s_waitcnt lgkmcnt(3)
	v_add_f32_e32 v6, v49, v6
	s_waitcnt lgkmcnt(2)
	v_add_f32_e32 v12, v50, v12
	s_waitcnt lgkmcnt(1)
	v_add_f32_e32 v13, v51, v13
	s_waitcnt lgkmcnt(0)
	v_add_f32_e32 v5, v27, v5
	ds_bpermute_b32 v8, v7, v6
	ds_bpermute_b32 v14, v7, v12
	ds_bpermute_b32 v16, v7, v13
	ds_bpermute_b32 v7, v7, v5
	v_cmp_lt_i32_e32 vcc, v24, v21
	v_cndmask_b32_e32 v9, v20, v24, vcc
	v_lshlrev_b32_e32 v9, 2, v9
	s_waitcnt lgkmcnt(3)
	v_add_f32_e32 v6, v6, v8
	s_waitcnt lgkmcnt(2)
	v_add_f32_e32 v12, v12, v14
	s_waitcnt lgkmcnt(1)
	v_add_f32_e32 v13, v13, v16
	s_waitcnt lgkmcnt(0)
	v_add_f32_e32 v5, v5, v7
	;; [unrolled: 15-line block ×4, first 2 shown]
	ds_bpermute_b32 v8, v11, v6
	ds_bpermute_b32 v10, v11, v9
	;; [unrolled: 1-line block ×4, first 2 shown]
	s_cmp_lg_u64 s[16:17], 0
	s_cselect_b64 s[0:1], -1, 0
	s_cmp_eq_u32 s7, 0
	s_cselect_b64 s[8:9], -1, 0
	s_and_b64 s[0:1], s[8:9], s[0:1]
	v_lshlrev_b32_e32 v15, 1, v0
	s_waitcnt lgkmcnt(3)
	v_add_f32_e32 v5, v6, v8
	s_waitcnt lgkmcnt(2)
	v_add_f32_e32 v6, v9, v10
	;; [unrolled: 2-line block ×4, first 2 shown]
	s_and_b64 vcc, exec, s[0:1]
	s_cbranch_vccz .LBB21_13
; %bb.11:
	s_ashr_i32 s29, s28, 31
	s_lshl_b64 s[0:1], s[28:29], 2
	s_add_u32 s0, s16, s0
	s_addc_u32 s1, s17, s1
	v_mov_b32_e32 v9, 0
	global_load_dwordx4 v[9:12], v9, s[0:1]
	v_max_f32_e32 v13, v1, v1
	v_max_f32_e32 v16, v2, v2
	s_mov_b32 s6, 0x3fb8aa3b
	v_max_f32_e32 v17, v3, v3
	s_mov_b32 s1, 0xc2ce8ed0
	s_mov_b32 s0, 0x42b17218
	v_mov_b32_e32 v14, 0x7f800000
	s_waitcnt vmcnt(0)
	v_max_f32_e32 v19, v9, v9
	v_max_f32_e32 v19, v13, v19
	;; [unrolled: 1-line block ×3, first 2 shown]
	v_sub_f32_e32 v1, v1, v19
	v_max_f32_e32 v20, v16, v20
	v_sub_f32_e32 v9, v9, v19
	v_mul_f32_e32 v13, 0x3fb8aa3b, v1
	v_max_f32_e32 v21, v11, v11
	v_sub_f32_e32 v2, v2, v20
	v_mul_f32_e32 v16, 0x3fb8aa3b, v9
	v_fma_f32 v25, v1, s6, -v13
	v_rndne_f32_e32 v26, v13
	v_max_f32_e32 v21, v17, v21
	v_sub_f32_e32 v10, v10, v20
	v_mul_f32_e32 v17, 0x3fb8aa3b, v2
	v_fma_f32 v27, v9, s6, -v16
	v_rndne_f32_e32 v28, v16
	v_fmac_f32_e32 v25, 0x32a5705f, v1
	v_sub_f32_e32 v13, v13, v26
	v_sub_f32_e32 v3, v3, v21
	v_mul_f32_e32 v22, 0x3fb8aa3b, v10
	v_fma_f32 v29, v2, s6, -v17
	v_rndne_f32_e32 v30, v17
	v_fmac_f32_e32 v27, 0x32a5705f, v9
	v_sub_f32_e32 v16, v16, v28
	v_add_f32_e32 v13, v13, v25
	v_mul_f32_e32 v23, 0x3fb8aa3b, v3
	v_fma_f32 v31, v10, s6, -v22
	v_rndne_f32_e32 v32, v22
	v_cvt_i32_f32_e32 v26, v26
	v_fmac_f32_e32 v29, 0x32a5705f, v2
	v_sub_f32_e32 v17, v17, v30
	v_add_f32_e32 v16, v16, v27
	v_exp_f32_e32 v13, v13
	v_fma_f32 v33, v3, s6, -v23
	v_rndne_f32_e32 v34, v23
	v_cvt_i32_f32_e32 v28, v28
	v_fmac_f32_e32 v31, 0x32a5705f, v10
	v_sub_f32_e32 v22, v22, v32
	v_add_f32_e32 v17, v17, v29
	v_exp_f32_e32 v16, v16
	v_cvt_i32_f32_e32 v30, v30
	v_fmac_f32_e32 v33, 0x32a5705f, v3
	v_sub_f32_e32 v23, v23, v34
	v_add_f32_e32 v22, v22, v31
	v_exp_f32_e32 v17, v17
	v_cvt_i32_f32_e32 v32, v32
	v_add_f32_e32 v23, v23, v33
	v_exp_f32_e32 v22, v22
	v_cvt_i32_f32_e32 v34, v34
	v_exp_f32_e32 v23, v23
	v_ldexp_f32 v13, v13, v26
	v_cmp_ngt_f32_e32 vcc, s1, v1
	v_ldexp_f32 v16, v16, v28
	v_cndmask_b32_e32 v13, 0, v13, vcc
	v_cmp_ngt_f32_e32 vcc, s1, v9
	v_ldexp_f32 v17, v17, v30
	v_cndmask_b32_e32 v16, 0, v16, vcc
	v_cmp_ngt_f32_e32 vcc, s1, v2
	v_ldexp_f32 v22, v22, v32
	v_cndmask_b32_e32 v17, 0, v17, vcc
	v_cmp_ngt_f32_e32 vcc, s1, v10
	v_ldexp_f32 v23, v23, v34
	v_cndmask_b32_e32 v22, 0, v22, vcc
	v_cmp_ngt_f32_e32 vcc, s1, v3
	v_sub_f32_e32 v11, v11, v21
	v_cndmask_b32_e32 v23, 0, v23, vcc
	v_cmp_nlt_f32_e32 vcc, s0, v1
	v_mul_f32_e32 v24, 0x3fb8aa3b, v11
	v_cndmask_b32_e32 v1, v14, v13, vcc
	v_cmp_nlt_f32_e32 vcc, s0, v9
	v_fma_f32 v35, v11, s6, -v24
	v_rndne_f32_e32 v36, v24
	v_cndmask_b32_e32 v9, v14, v16, vcc
	v_cmp_nlt_f32_e32 vcc, s0, v2
	v_fmac_f32_e32 v35, 0x32a5705f, v11
	v_sub_f32_e32 v24, v24, v36
	v_cndmask_b32_e32 v2, v14, v17, vcc
	v_add_f32_e32 v24, v24, v35
	v_cmp_nlt_f32_e32 vcc, s0, v10
	v_cvt_f16_f32_e32 v13, v1
	v_cvt_f16_f32_e32 v16, v2
	v_cvt_i32_f32_e32 v36, v36
	v_exp_f32_e32 v24, v24
	v_cndmask_b32_e32 v10, v14, v22, vcc
	v_fmac_f32_e32 v9, v5, v1
	v_cmp_nlt_f32_e32 vcc, s0, v3
	v_max_f32_e32 v3, v12, v12
	v_max_f32_e32 v5, v4, v4
	;; [unrolled: 1-line block ×3, first 2 shown]
	v_sub_f32_e32 v3, v4, v22
	v_fmac_f32_e32 v10, v6, v2
	v_mul_u32_u24_e32 v1, 0x10001, v13
	v_mul_u32_u24_e32 v2, 0x10001, v16
	v_mul_f32_e32 v4, 0x3fb8aa3b, v3
	v_pk_mul_f16 v48, v48, v1
	v_pk_mul_f16 v47, v47, v2
	v_cndmask_b32_e32 v1, v14, v23, vcc
	v_ldexp_f32 v2, v24, v36
	v_cmp_ngt_f32_e32 vcc, s1, v11
	v_fma_f32 v5, v3, s6, -v4
	v_rndne_f32_e32 v6, v4
	v_cndmask_b32_e32 v2, 0, v2, vcc
	v_cmp_nlt_f32_e32 vcc, s0, v11
	v_fmac_f32_e32 v5, 0x32a5705f, v3
	v_sub_f32_e32 v4, v4, v6
	v_cndmask_b32_e32 v11, v14, v2, vcc
	v_cvt_f16_f32_e32 v2, v1
	v_add_f32_e32 v4, v4, v5
	v_exp_f32_e32 v4, v4
	v_cvt_i32_f32_e32 v5, v6
	v_fmac_f32_e32 v11, v7, v1
	v_mul_u32_u24_e32 v1, 0x10001, v2
	v_sub_f32_e32 v2, v12, v22
	v_pk_mul_f16 v46, v46, v1
	v_ldexp_f32 v1, v4, v5
	v_mul_f32_e32 v4, 0x3fb8aa3b, v2
	v_fma_f32 v5, v2, s6, -v4
	v_rndne_f32_e32 v6, v4
	v_fmac_f32_e32 v5, 0x32a5705f, v2
	v_sub_f32_e32 v4, v4, v6
	v_add_f32_e32 v4, v4, v5
	v_exp_f32_e32 v4, v4
	v_cvt_i32_f32_e32 v5, v6
	v_cmp_ngt_f32_e32 vcc, s1, v3
	v_cndmask_b32_e32 v1, 0, v1, vcc
	v_cmp_nlt_f32_e32 vcc, s0, v3
	v_cndmask_b32_e32 v1, v14, v1, vcc
	v_ldexp_f32 v3, v4, v5
	v_cvt_f16_f32_e32 v4, v1
	v_cmp_ngt_f32_e32 vcc, s1, v2
	v_cndmask_b32_e32 v3, 0, v3, vcc
	v_cmp_nlt_f32_e32 vcc, s0, v2
	v_cndmask_b32_e32 v12, v14, v3, vcc
	v_fmac_f32_e32 v12, v8, v1
	v_mul_u32_u24_e32 v1, 0x10001, v4
	v_pk_mul_f16 v52, v52, v1
	v_mov_b32_e32 v1, v19
	v_mov_b32_e32 v2, v20
	;; [unrolled: 1-line block ×8, first 2 shown]
	v_cmp_gt_i32_e32 vcc, s2, v18
	s_and_saveexec_b64 s[0:1], vcc
	s_cbranch_execnz .LBB21_14
.LBB21_12:
	s_endpgm
.LBB21_13:
	v_mov_b32_e32 v12, v8
	v_mov_b32_e32 v11, v7
	v_mov_b32_e32 v10, v6
	v_mov_b32_e32 v9, v5
	v_cmp_gt_i32_e32 vcc, s2, v18
	s_and_saveexec_b64 s[0:1], vcc
	s_cbranch_execz .LBB21_12
.LBB21_14:
	s_load_dword s6, s[4:5], 0xd4
	v_mov_b32_e32 v13, 1.0
	s_waitcnt lgkmcnt(0)
	s_cmp_lg_u32 s6, 1
	s_cselect_b64 s[0:1], -1, 0
	s_cmp_eq_u32 s6, 1
	s_cselect_b64 s[4:5], -1, 0
	s_and_b64 vcc, exec, s[0:1]
	s_cbranch_vccnz .LBB21_16
; %bb.15:
	v_div_scale_f32 v13, s[8:9], v5, v5, 1.0
	v_div_scale_f32 v14, vcc, 1.0, v5, 1.0
	v_rcp_f32_e32 v16, v13
	v_fma_f32 v17, -v13, v16, 1.0
	v_fmac_f32_e32 v16, v17, v16
	v_mul_f32_e32 v17, v14, v16
	v_fma_f32 v19, -v13, v17, v14
	v_fmac_f32_e32 v17, v19, v16
	v_fma_f32 v13, -v13, v17, v14
	v_div_fmas_f32 v13, v13, v16, v17
	v_div_fixup_f32 v13, v13, v5, 1.0
.LBB21_16:
	s_mul_i32 s33, s33, s2
	v_add_u32_e32 v5, s33, v18
	v_mul_lo_u32 v5, v5, s3
	v_cmp_eq_u32_e32 vcc, 0, v0
	v_cvt_f32_f16_e32 v0, v48
	v_cvt_f32_f16_sdwa v14, v48 dst_sel:DWORD dst_unused:UNUSED_PAD src0_sel:WORD_1
	v_add_u32_e32 v5, s28, v5
	v_mul_lo_u32 v5, s6, v5
	v_mul_f32_e32 v16, v13, v0
	v_mul_f32_e32 v17, v13, v14
	v_mov_b32_e32 v19, 0
	v_add_u32_e32 v13, s7, v5
	v_lshl_add_u32 v18, v13, 6, v15
	v_lshlrev_b64 v[18:19], 2, v[18:19]
	s_and_b64 s[2:3], vcc, s[0:1]
	v_mov_b32_e32 v0, s21
	v_add_co_u32_e32 v18, vcc, s20, v18
	v_addc_co_u32_e32 v19, vcc, v0, v19, vcc
	global_store_dwordx2 v[18:19], v[16:17], off
	s_and_saveexec_b64 s[0:1], s[2:3]
	s_cbranch_execz .LBB21_18
; %bb.17:
	v_ashrrev_i32_e32 v14, 31, v13
	v_lshlrev_b64 v[16:17], 3, v[13:14]
	v_mov_b32_e32 v0, s23
	v_add_co_u32_e32 v16, vcc, s22, v16
	v_addc_co_u32_e32 v17, vcc, v0, v17, vcc
	v_mov_b32_e32 v0, v1
	v_mov_b32_e32 v1, v9
	global_store_dwordx2 v[16:17], v[0:1], off
.LBB21_18:
	s_or_b64 exec, exec, s[0:1]
	v_cndmask_b32_e64 v0, 0, 1, s[4:5]
	v_cmp_ne_u32_e64 s[0:1], 1, v0
	s_andn2_b64 vcc, exec, s[4:5]
	v_mov_b32_e32 v1, 1.0
	s_cbranch_vccnz .LBB21_20
; %bb.19:
	v_div_scale_f32 v0, s[4:5], v6, v6, 1.0
	v_div_scale_f32 v1, vcc, 1.0, v6, 1.0
	v_rcp_f32_e32 v5, v0
	v_fma_f32 v9, -v0, v5, 1.0
	v_fmac_f32_e32 v5, v9, v5
	v_mul_f32_e32 v9, v1, v5
	v_fma_f32 v14, -v0, v9, v1
	v_fmac_f32_e32 v9, v14, v5
	v_fma_f32 v0, -v0, v9, v1
	v_div_fmas_f32 v0, v0, v5, v9
	v_div_fixup_f32 v1, v0, v6, 1.0
.LBB21_20:
	v_cvt_f32_f16_e32 v5, v47
	v_cvt_f32_f16_sdwa v6, v47 dst_sel:DWORD dst_unused:UNUSED_PAD src0_sel:WORD_1
	v_add_u32_e32 v0, s6, v13
	v_lshl_add_u32 v13, v0, 6, v15
	v_mov_b32_e32 v14, 0
	v_lshlrev_b64 v[13:14], 2, v[13:14]
	v_mul_f32_e32 v5, v1, v5
	v_mul_f32_e32 v6, v1, v6
	v_mov_b32_e32 v1, s21
	v_add_co_u32_e32 v13, vcc, s20, v13
	v_addc_co_u32_e32 v14, vcc, v1, v14, vcc
	global_store_dwordx2 v[13:14], v[5:6], off
	s_and_saveexec_b64 s[4:5], s[2:3]
	s_cbranch_execz .LBB21_22
; %bb.21:
	v_ashrrev_i32_e32 v1, 31, v0
	v_lshlrev_b64 v[5:6], 3, v[0:1]
	v_mov_b32_e32 v1, s23
	v_add_co_u32_e32 v5, vcc, s22, v5
	v_addc_co_u32_e32 v6, vcc, v1, v6, vcc
	v_mov_b32_e32 v9, v2
	global_store_dwordx2 v[5:6], v[9:10], off
.LBB21_22:
	s_or_b64 exec, exec, s[4:5]
	s_and_b64 vcc, exec, s[0:1]
	v_mov_b32_e32 v1, 1.0
	s_cbranch_vccnz .LBB21_24
; %bb.23:
	v_div_scale_f32 v1, s[4:5], v7, v7, 1.0
	v_div_scale_f32 v2, vcc, 1.0, v7, 1.0
	v_rcp_f32_e32 v5, v1
	v_fma_f32 v6, -v1, v5, 1.0
	v_fmac_f32_e32 v5, v6, v5
	v_mul_f32_e32 v6, v2, v5
	v_fma_f32 v9, -v1, v6, v2
	v_fmac_f32_e32 v6, v9, v5
	v_fma_f32 v1, -v1, v6, v2
	v_div_fmas_f32 v1, v1, v5, v6
	v_div_fixup_f32 v1, v1, v7, 1.0
.LBB21_24:
	v_cvt_f32_f16_e32 v2, v46
	v_cvt_f32_f16_sdwa v6, v46 dst_sel:DWORD dst_unused:UNUSED_PAD src0_sel:WORD_1
	v_add_u32_e32 v0, s6, v0
	v_mov_b32_e32 v7, s21
	v_mul_f32_e32 v5, v1, v2
	v_mul_f32_e32 v6, v1, v6
	v_lshl_add_u32 v1, v0, 6, v15
	v_mov_b32_e32 v2, 0
	v_lshlrev_b64 v[1:2], 2, v[1:2]
	v_add_co_u32_e32 v1, vcc, s20, v1
	v_addc_co_u32_e32 v2, vcc, v7, v2, vcc
	global_store_dwordx2 v[1:2], v[5:6], off
	s_and_saveexec_b64 s[4:5], s[2:3]
	s_cbranch_execz .LBB21_26
; %bb.25:
	v_ashrrev_i32_e32 v1, 31, v0
	v_lshlrev_b64 v[1:2], 3, v[0:1]
	v_mov_b32_e32 v5, s23
	v_add_co_u32_e32 v1, vcc, s22, v1
	v_addc_co_u32_e32 v2, vcc, v5, v2, vcc
	v_mov_b32_e32 v10, v3
	global_store_dwordx2 v[1:2], v[10:11], off
.LBB21_26:
	s_or_b64 exec, exec, s[4:5]
	s_and_b64 vcc, exec, s[0:1]
	v_mov_b32_e32 v1, 1.0
	s_cbranch_vccnz .LBB21_28
; %bb.27:
	v_div_scale_f32 v1, s[0:1], v8, v8, 1.0
	v_div_scale_f32 v2, vcc, 1.0, v8, 1.0
	v_rcp_f32_e32 v3, v1
	v_fma_f32 v5, -v1, v3, 1.0
	v_fmac_f32_e32 v3, v5, v3
	v_mul_f32_e32 v5, v2, v3
	v_fma_f32 v6, -v1, v5, v2
	v_fmac_f32_e32 v5, v6, v3
	v_fma_f32 v1, -v1, v5, v2
	v_div_fmas_f32 v1, v1, v3, v5
	v_div_fixup_f32 v1, v1, v8, 1.0
.LBB21_28:
	v_cvt_f32_f16_e32 v2, v52
	v_cvt_f32_f16_sdwa v3, v52 dst_sel:DWORD dst_unused:UNUSED_PAD src0_sel:WORD_1
	v_add_u32_e32 v0, s6, v0
	v_lshl_add_u32 v5, v0, 6, v15
	v_mov_b32_e32 v6, 0
	v_lshlrev_b64 v[5:6], 2, v[5:6]
	v_mul_f32_e32 v2, v1, v2
	v_mul_f32_e32 v3, v1, v3
	v_mov_b32_e32 v1, s21
	v_add_co_u32_e32 v5, vcc, s20, v5
	v_addc_co_u32_e32 v6, vcc, v1, v6, vcc
	global_store_dwordx2 v[5:6], v[2:3], off
	s_and_b64 exec, exec, s[2:3]
	s_cbranch_execz .LBB21_12
; %bb.29:
	v_ashrrev_i32_e32 v1, 31, v0
	v_lshlrev_b64 v[0:1], 3, v[0:1]
	v_mov_b32_e32 v2, s23
	v_add_co_u32_e32 v0, vcc, s22, v0
	v_addc_co_u32_e32 v1, vcc, v2, v1, vcc
	v_mov_b32_e32 v11, v4
	global_store_dwordx2 v[0:1], v[11:12], off
	s_endpgm
	.section	.rodata,"a",@progbits
	.p2align	6, 0x0
	.amdhsa_kernel _ZL15flash_attn_tileILi64ELi64ELi8ELi4ELb0EEvPKcS1_S1_S1_S1_PKiPfP15HIP_vector_typeIfLj2EEffffjfiS5_IjLj3EEiiiiiiiiiiiliiliiiiil
		.amdhsa_group_segment_fixed_size 17408
		.amdhsa_private_segment_fixed_size 0
		.amdhsa_kernarg_size 464
		.amdhsa_user_sgpr_count 6
		.amdhsa_user_sgpr_private_segment_buffer 1
		.amdhsa_user_sgpr_dispatch_ptr 0
		.amdhsa_user_sgpr_queue_ptr 0
		.amdhsa_user_sgpr_kernarg_segment_ptr 1
		.amdhsa_user_sgpr_dispatch_id 0
		.amdhsa_user_sgpr_flat_scratch_init 0
		.amdhsa_user_sgpr_private_segment_size 0
		.amdhsa_uses_dynamic_stack 0
		.amdhsa_system_sgpr_private_segment_wavefront_offset 0
		.amdhsa_system_sgpr_workgroup_id_x 1
		.amdhsa_system_sgpr_workgroup_id_y 1
		.amdhsa_system_sgpr_workgroup_id_z 1
		.amdhsa_system_sgpr_workgroup_info 0
		.amdhsa_system_vgpr_workitem_id 1
		.amdhsa_next_free_vgpr 81
		.amdhsa_next_free_sgpr 98
		.amdhsa_reserve_vcc 1
		.amdhsa_reserve_flat_scratch 0
		.amdhsa_float_round_mode_32 0
		.amdhsa_float_round_mode_16_64 0
		.amdhsa_float_denorm_mode_32 3
		.amdhsa_float_denorm_mode_16_64 3
		.amdhsa_dx10_clamp 1
		.amdhsa_ieee_mode 1
		.amdhsa_fp16_overflow 0
		.amdhsa_exception_fp_ieee_invalid_op 0
		.amdhsa_exception_fp_denorm_src 0
		.amdhsa_exception_fp_ieee_div_zero 0
		.amdhsa_exception_fp_ieee_overflow 0
		.amdhsa_exception_fp_ieee_underflow 0
		.amdhsa_exception_fp_ieee_inexact 0
		.amdhsa_exception_int_div_zero 0
	.end_amdhsa_kernel
	.section	.text._ZL15flash_attn_tileILi64ELi64ELi8ELi4ELb0EEvPKcS1_S1_S1_S1_PKiPfP15HIP_vector_typeIfLj2EEffffjfiS5_IjLj3EEiiiiiiiiiiiliiliiiiil,"axG",@progbits,_ZL15flash_attn_tileILi64ELi64ELi8ELi4ELb0EEvPKcS1_S1_S1_S1_PKiPfP15HIP_vector_typeIfLj2EEffffjfiS5_IjLj3EEiiiiiiiiiiiliiliiiiil,comdat
.Lfunc_end21:
	.size	_ZL15flash_attn_tileILi64ELi64ELi8ELi4ELb0EEvPKcS1_S1_S1_S1_PKiPfP15HIP_vector_typeIfLj2EEffffjfiS5_IjLj3EEiiiiiiiiiiiliiliiiiil, .Lfunc_end21-_ZL15flash_attn_tileILi64ELi64ELi8ELi4ELb0EEvPKcS1_S1_S1_S1_PKiPfP15HIP_vector_typeIfLj2EEffffjfiS5_IjLj3EEiiiiiiiiiiiliiliiiiil
                                        ; -- End function
	.set _ZL15flash_attn_tileILi64ELi64ELi8ELi4ELb0EEvPKcS1_S1_S1_S1_PKiPfP15HIP_vector_typeIfLj2EEffffjfiS5_IjLj3EEiiiiiiiiiiiliiliiiiil.num_vgpr, 81
	.set _ZL15flash_attn_tileILi64ELi64ELi8ELi4ELb0EEvPKcS1_S1_S1_S1_PKiPfP15HIP_vector_typeIfLj2EEffffjfiS5_IjLj3EEiiiiiiiiiiiliiliiiiil.num_agpr, 0
	.set _ZL15flash_attn_tileILi64ELi64ELi8ELi4ELb0EEvPKcS1_S1_S1_S1_PKiPfP15HIP_vector_typeIfLj2EEffffjfiS5_IjLj3EEiiiiiiiiiiiliiliiiiil.numbered_sgpr, 39
	.set _ZL15flash_attn_tileILi64ELi64ELi8ELi4ELb0EEvPKcS1_S1_S1_S1_PKiPfP15HIP_vector_typeIfLj2EEffffjfiS5_IjLj3EEiiiiiiiiiiiliiliiiiil.num_named_barrier, 0
	.set _ZL15flash_attn_tileILi64ELi64ELi8ELi4ELb0EEvPKcS1_S1_S1_S1_PKiPfP15HIP_vector_typeIfLj2EEffffjfiS5_IjLj3EEiiiiiiiiiiiliiliiiiil.private_seg_size, 0
	.set _ZL15flash_attn_tileILi64ELi64ELi8ELi4ELb0EEvPKcS1_S1_S1_S1_PKiPfP15HIP_vector_typeIfLj2EEffffjfiS5_IjLj3EEiiiiiiiiiiiliiliiiiil.uses_vcc, 1
	.set _ZL15flash_attn_tileILi64ELi64ELi8ELi4ELb0EEvPKcS1_S1_S1_S1_PKiPfP15HIP_vector_typeIfLj2EEffffjfiS5_IjLj3EEiiiiiiiiiiiliiliiiiil.uses_flat_scratch, 0
	.set _ZL15flash_attn_tileILi64ELi64ELi8ELi4ELb0EEvPKcS1_S1_S1_S1_PKiPfP15HIP_vector_typeIfLj2EEffffjfiS5_IjLj3EEiiiiiiiiiiiliiliiiiil.has_dyn_sized_stack, 0
	.set _ZL15flash_attn_tileILi64ELi64ELi8ELi4ELb0EEvPKcS1_S1_S1_S1_PKiPfP15HIP_vector_typeIfLj2EEffffjfiS5_IjLj3EEiiiiiiiiiiiliiliiiiil.has_recursion, 0
	.set _ZL15flash_attn_tileILi64ELi64ELi8ELi4ELb0EEvPKcS1_S1_S1_S1_PKiPfP15HIP_vector_typeIfLj2EEffffjfiS5_IjLj3EEiiiiiiiiiiiliiliiiiil.has_indirect_call, 0
	.section	.AMDGPU.csdata,"",@progbits
; Kernel info:
; codeLenInByte = 13128
; TotalNumSgprs: 43
; NumVgprs: 81
; ScratchSize: 0
; MemoryBound: 0
; FloatMode: 240
; IeeeMode: 1
; LDSByteSize: 17408 bytes/workgroup (compile time only)
; SGPRBlocks: 12
; VGPRBlocks: 20
; NumSGPRsForWavesPerEU: 102
; NumVGPRsForWavesPerEU: 81
; Occupancy: 3
; WaveLimiterHint : 1
; COMPUTE_PGM_RSRC2:SCRATCH_EN: 0
; COMPUTE_PGM_RSRC2:USER_SGPR: 6
; COMPUTE_PGM_RSRC2:TRAP_HANDLER: 0
; COMPUTE_PGM_RSRC2:TGID_X_EN: 1
; COMPUTE_PGM_RSRC2:TGID_Y_EN: 1
; COMPUTE_PGM_RSRC2:TGID_Z_EN: 1
; COMPUTE_PGM_RSRC2:TIDIG_COMP_CNT: 1
	.section	.text._ZL33flash_attn_stream_k_fixup_uniformILi64ELi8ELi4EEvPfPK15HIP_vector_typeIfLj2EEiiiiiiS1_IjLj3EES5_S5_,"axG",@progbits,_ZL33flash_attn_stream_k_fixup_uniformILi64ELi8ELi4EEvPfPK15HIP_vector_typeIfLj2EEiiiiiiS1_IjLj3EES5_S5_,comdat
	.globl	_ZL33flash_attn_stream_k_fixup_uniformILi64ELi8ELi4EEvPfPK15HIP_vector_typeIfLj2EEiiiiiiS1_IjLj3EES5_S5_ ; -- Begin function _ZL33flash_attn_stream_k_fixup_uniformILi64ELi8ELi4EEvPfPK15HIP_vector_typeIfLj2EEiiiiiiS1_IjLj3EES5_S5_
	.p2align	8
	.type	_ZL33flash_attn_stream_k_fixup_uniformILi64ELi8ELi4EEvPfPK15HIP_vector_typeIfLj2EEiiiiiiS1_IjLj3EES5_S5_,@function
_ZL33flash_attn_stream_k_fixup_uniformILi64ELi8ELi4EEvPfPK15HIP_vector_typeIfLj2EEiiiiiiS1_IjLj3EES5_S5_: ; @_ZL33flash_attn_stream_k_fixup_uniformILi64ELi8ELi4EEvPfPK15HIP_vector_typeIfLj2EEiiiiiiS1_IjLj3EES5_S5_
; %bb.0:
	s_load_dwordx8 s[12:19], s[4:5], 0x1c
	s_load_dwordx2 s[10:11], s[4:5], 0x10
	s_load_dwordx4 s[0:3], s[4:5], 0x3c
	s_waitcnt lgkmcnt(0)
	s_mul_hi_u32 s9, s15, s6
	s_add_i32 s9, s6, s9
	s_lshr_b32 s9, s9, s16
	s_mul_i32 s15, s9, s17
	s_sub_i32 s15, s6, s15
	s_mul_hi_u32 s16, s15, s18
	s_add_i32 s16, s15, s16
	s_lshr_b32 s16, s16, s19
	s_mul_i32 s0, s16, s0
	s_sub_i32 s0, s15, s0
	;; [unrolled: 5-line block ×3, first 2 shown]
	s_lshl_b32 s0, s17, 3
	s_lshl_b32 s15, s1, 2
	s_add_i32 s0, s0, s7
	s_cmp_lt_i32 s0, s10
	s_cselect_b64 s[0:1], -1, 0
	s_add_i32 s2, s15, s8
	s_cmp_lt_i32 s2, s13
	s_cselect_b64 s[2:3], -1, 0
	s_and_b64 s[0:1], s[0:1], s[2:3]
	s_andn2_b64 vcc, exec, s[0:1]
	s_cbranch_vccnz .LBB22_6
; %bb.1:
	s_load_dwordx4 s[0:3], s[4:5], 0x0
	s_mul_i32 s4, s9, s10
	s_add_i32 s4, s4, s7
	s_mul_i32 s4, s4, s11
	s_mul_i32 s16, s16, s13
	s_add_i32 s4, s4, s8
	s_add_i32 s4, s4, s16
	s_mul_i32 s5, s11, s17
	s_add_i32 s4, s4, s15
	s_lshl_b32 s5, s5, 9
	s_lshl_b32 s4, s4, 6
	s_add_i32 s5, s5, s4
	v_or_b32_e32 v1, s5, v0
	v_ashrrev_i32_e32 v2, 31, v1
	v_lshlrev_b64 v[1:2], 2, v[1:2]
	s_waitcnt lgkmcnt(0)
	v_mov_b32_e32 v3, s1
	v_add_co_u32_e32 v1, vcc, s0, v1
	v_addc_co_u32_e32 v2, vcc, v3, v2, vcc
	global_load_dword v8, v[1:2], off
	s_mul_i32 s9, s14, s6
	s_lshl_b32 s4, s7, 2
	s_add_i32 s11, s9, s14
	s_add_i32 s0, s4, s8
	s_lshl_b32 s1, s11, 5
	s_add_i32 s0, s0, s1
	s_sub_i32 s0, s0, 32
	s_ashr_i32 s1, s0, 31
	s_lshl_b64 s[0:1], s[0:1], 3
	s_add_u32 s0, s2, s0
	s_addc_u32 s1, s3, s1
	s_load_dword s5, s[0:1], 0x4
	s_add_i32 s10, s11, -2
	s_cmp_lt_i32 s10, s9
	s_cbranch_scc1 .LBB22_4
; %bb.2:
	s_lshl_b32 s16, s12, 7
	s_ashr_i32 s17, s16, 31
	s_lshl_b64 s[16:17], s[16:17], 2
	s_add_u32 s10, s2, s16
	s_addc_u32 s13, s3, s17
	s_add_i32 s6, s6, 1
	s_load_dword s0, s[0:1], 0x0
	s_mul_i32 s1, s14, s6
	s_lshl_b32 s7, s7, 8
	s_lshl_b32 s14, s8, 6
	;; [unrolled: 1-line block ×3, first 2 shown]
	s_add_i32 s7, s14, s7
	s_lshl_b32 s1, s1, 5
	s_add_i32 s7, s7, s6
	s_add_i32 s1, s8, s1
	s_lshl_b32 s6, s12, 5
	s_add_i32 s1, s1, s6
	v_or_b32_e32 v0, s7, v0
	s_add_i32 s1, s1, s4
	s_add_i32 s11, s11, -1
	v_add_u32_e32 v3, 0xfffff000, v0
	s_sub_i32 s4, s1, 64
	s_waitcnt lgkmcnt(0)
	v_mov_b32_e32 v7, s5
	v_mov_b32_e32 v6, s0
	;; [unrolled: 1-line block ×3, first 2 shown]
	s_mov_b32 s6, 0x3fb8aa3b
	s_mov_b32 s7, 0xc2ce8ed0
	;; [unrolled: 1-line block ×3, first 2 shown]
	v_mov_b32_e32 v5, 0x7f800000
	s_mov_b32 s12, 0xc1a00000
.LBB22_3:                               ; =>This Inner Loop Header: Depth=1
	v_ashrrev_i32_e32 v4, 31, v3
	v_lshlrev_b64 v[9:10], 2, v[3:4]
	s_ashr_i32 s5, s4, 31
	v_add_co_u32_e32 v9, vcc, s10, v9
	v_addc_co_u32_e32 v10, vcc, v0, v10, vcc
	global_load_dword v4, v[9:10], off
	s_lshl_b64 s[0:1], s[4:5], 3
	s_add_u32 s0, s2, s0
	s_addc_u32 s1, s3, s1
	s_load_dwordx2 s[14:15], s[0:1], 0x0
	s_waitcnt vmcnt(1)
	v_mov_b32_e32 v9, v8
	v_max_f32_e32 v8, v6, v6
	v_mov_b32_e32 v10, v7
	s_add_i32 s11, s11, -1
	s_waitcnt lgkmcnt(0)
	v_max_f32_e64 v7, s14, s14
	v_max_f32_e32 v7, v8, v7
	v_sub_f32_e32 v11, s14, v7
	v_sub_f32_e32 v8, v6, v7
	v_mul_f32_e32 v12, 0x3fb8aa3b, v11
	v_mov_b32_e32 v6, v7
	v_mul_f32_e32 v7, 0x3fb8aa3b, v8
	v_fma_f32 v15, v11, s6, -v12
	v_rndne_f32_e32 v16, v12
	v_fma_f32 v13, v8, s6, -v7
	v_rndne_f32_e32 v14, v7
	v_fmac_f32_e32 v15, 0x32a5705f, v11
	v_sub_f32_e32 v12, v12, v16
	v_fmac_f32_e32 v13, 0x32a5705f, v8
	v_sub_f32_e32 v7, v7, v14
	v_add_f32_e32 v12, v12, v15
	v_cvt_i32_f32_e32 v16, v16
	v_add_f32_e32 v7, v7, v13
	v_exp_f32_e32 v12, v12
	v_cvt_i32_f32_e32 v14, v14
	v_exp_f32_e32 v7, v7
	v_cmp_ngt_f32_e32 vcc, s7, v11
	v_ldexp_f32 v12, v12, v16
	v_cmp_ngt_f32_e64 s[0:1], s7, v8
	v_ldexp_f32 v7, v7, v14
	v_cndmask_b32_e32 v12, 0, v12, vcc
	v_cmp_nlt_f32_e32 vcc, s8, v11
	v_cndmask_b32_e64 v7, 0, v7, s[0:1]
	v_cmp_nlt_f32_e64 s[0:1], s8, v8
	v_cndmask_b32_e32 v12, v5, v12, vcc
	v_cmp_le_f32_e32 vcc, s12, v11
	v_cndmask_b32_e64 v7, v5, v7, s[0:1]
	v_cmp_le_f32_e64 s[0:1], s12, v8
	v_cndmask_b32_e32 v8, 0, v12, vcc
	s_sub_i32 s4, s4, 32
	v_cndmask_b32_e64 v11, 0, v7, s[0:1]
	v_mul_f32_e32 v7, s15, v8
	v_add_u32_e32 v3, 0xfffff800, v3
	s_cmp_le_i32 s11, s9
	v_fmac_f32_e32 v7, v10, v11
	s_waitcnt vmcnt(0)
	v_mul_f32_e32 v8, v4, v8
	v_fmac_f32_e32 v8, v9, v11
	s_cbranch_scc0 .LBB22_3
	s_branch .LBB22_5
.LBB22_4:
	s_waitcnt lgkmcnt(0)
	v_mov_b32_e32 v7, s5
.LBB22_5:
	s_waitcnt vmcnt(0)
	v_div_scale_f32 v0, s[0:1], v7, v7, v8
	v_div_scale_f32 v3, vcc, v8, v7, v8
	v_rcp_f32_e32 v4, v0
	v_fma_f32 v5, -v0, v4, 1.0
	v_fmac_f32_e32 v4, v5, v4
	v_mul_f32_e32 v5, v3, v4
	v_fma_f32 v6, -v0, v5, v3
	v_fmac_f32_e32 v5, v6, v4
	v_fma_f32 v0, -v0, v5, v3
	v_div_fmas_f32 v0, v0, v4, v5
	v_div_fixup_f32 v0, v0, v7, v8
	global_store_dword v[1:2], v0, off
.LBB22_6:
	s_endpgm
	.section	.rodata,"a",@progbits
	.p2align	6, 0x0
	.amdhsa_kernel _ZL33flash_attn_stream_k_fixup_uniformILi64ELi8ELi4EEvPfPK15HIP_vector_typeIfLj2EEiiiiiiS1_IjLj3EES5_S5_
		.amdhsa_group_segment_fixed_size 0
		.amdhsa_private_segment_fixed_size 0
		.amdhsa_kernarg_size 76
		.amdhsa_user_sgpr_count 6
		.amdhsa_user_sgpr_private_segment_buffer 1
		.amdhsa_user_sgpr_dispatch_ptr 0
		.amdhsa_user_sgpr_queue_ptr 0
		.amdhsa_user_sgpr_kernarg_segment_ptr 1
		.amdhsa_user_sgpr_dispatch_id 0
		.amdhsa_user_sgpr_flat_scratch_init 0
		.amdhsa_user_sgpr_private_segment_size 0
		.amdhsa_uses_dynamic_stack 0
		.amdhsa_system_sgpr_private_segment_wavefront_offset 0
		.amdhsa_system_sgpr_workgroup_id_x 1
		.amdhsa_system_sgpr_workgroup_id_y 1
		.amdhsa_system_sgpr_workgroup_id_z 1
		.amdhsa_system_sgpr_workgroup_info 0
		.amdhsa_system_vgpr_workitem_id 0
		.amdhsa_next_free_vgpr 17
		.amdhsa_next_free_sgpr 20
		.amdhsa_reserve_vcc 1
		.amdhsa_reserve_flat_scratch 0
		.amdhsa_float_round_mode_32 0
		.amdhsa_float_round_mode_16_64 0
		.amdhsa_float_denorm_mode_32 3
		.amdhsa_float_denorm_mode_16_64 3
		.amdhsa_dx10_clamp 1
		.amdhsa_ieee_mode 1
		.amdhsa_fp16_overflow 0
		.amdhsa_exception_fp_ieee_invalid_op 0
		.amdhsa_exception_fp_denorm_src 0
		.amdhsa_exception_fp_ieee_div_zero 0
		.amdhsa_exception_fp_ieee_overflow 0
		.amdhsa_exception_fp_ieee_underflow 0
		.amdhsa_exception_fp_ieee_inexact 0
		.amdhsa_exception_int_div_zero 0
	.end_amdhsa_kernel
	.section	.text._ZL33flash_attn_stream_k_fixup_uniformILi64ELi8ELi4EEvPfPK15HIP_vector_typeIfLj2EEiiiiiiS1_IjLj3EES5_S5_,"axG",@progbits,_ZL33flash_attn_stream_k_fixup_uniformILi64ELi8ELi4EEvPfPK15HIP_vector_typeIfLj2EEiiiiiiS1_IjLj3EES5_S5_,comdat
.Lfunc_end22:
	.size	_ZL33flash_attn_stream_k_fixup_uniformILi64ELi8ELi4EEvPfPK15HIP_vector_typeIfLj2EEiiiiiiS1_IjLj3EES5_S5_, .Lfunc_end22-_ZL33flash_attn_stream_k_fixup_uniformILi64ELi8ELi4EEvPfPK15HIP_vector_typeIfLj2EEiiiiiiS1_IjLj3EES5_S5_
                                        ; -- End function
	.set _ZL33flash_attn_stream_k_fixup_uniformILi64ELi8ELi4EEvPfPK15HIP_vector_typeIfLj2EEiiiiiiS1_IjLj3EES5_S5_.num_vgpr, 17
	.set _ZL33flash_attn_stream_k_fixup_uniformILi64ELi8ELi4EEvPfPK15HIP_vector_typeIfLj2EEiiiiiiS1_IjLj3EES5_S5_.num_agpr, 0
	.set _ZL33flash_attn_stream_k_fixup_uniformILi64ELi8ELi4EEvPfPK15HIP_vector_typeIfLj2EEiiiiiiS1_IjLj3EES5_S5_.numbered_sgpr, 20
	.set _ZL33flash_attn_stream_k_fixup_uniformILi64ELi8ELi4EEvPfPK15HIP_vector_typeIfLj2EEiiiiiiS1_IjLj3EES5_S5_.num_named_barrier, 0
	.set _ZL33flash_attn_stream_k_fixup_uniformILi64ELi8ELi4EEvPfPK15HIP_vector_typeIfLj2EEiiiiiiS1_IjLj3EES5_S5_.private_seg_size, 0
	.set _ZL33flash_attn_stream_k_fixup_uniformILi64ELi8ELi4EEvPfPK15HIP_vector_typeIfLj2EEiiiiiiS1_IjLj3EES5_S5_.uses_vcc, 1
	.set _ZL33flash_attn_stream_k_fixup_uniformILi64ELi8ELi4EEvPfPK15HIP_vector_typeIfLj2EEiiiiiiS1_IjLj3EES5_S5_.uses_flat_scratch, 0
	.set _ZL33flash_attn_stream_k_fixup_uniformILi64ELi8ELi4EEvPfPK15HIP_vector_typeIfLj2EEiiiiiiS1_IjLj3EES5_S5_.has_dyn_sized_stack, 0
	.set _ZL33flash_attn_stream_k_fixup_uniformILi64ELi8ELi4EEvPfPK15HIP_vector_typeIfLj2EEiiiiiiS1_IjLj3EES5_S5_.has_recursion, 0
	.set _ZL33flash_attn_stream_k_fixup_uniformILi64ELi8ELi4EEvPfPK15HIP_vector_typeIfLj2EEiiiiiiS1_IjLj3EES5_S5_.has_indirect_call, 0
	.section	.AMDGPU.csdata,"",@progbits
; Kernel info:
; codeLenInByte = 856
; TotalNumSgprs: 24
; NumVgprs: 17
; ScratchSize: 0
; MemoryBound: 0
; FloatMode: 240
; IeeeMode: 1
; LDSByteSize: 0 bytes/workgroup (compile time only)
; SGPRBlocks: 2
; VGPRBlocks: 4
; NumSGPRsForWavesPerEU: 24
; NumVGPRsForWavesPerEU: 17
; Occupancy: 10
; WaveLimiterHint : 0
; COMPUTE_PGM_RSRC2:SCRATCH_EN: 0
; COMPUTE_PGM_RSRC2:USER_SGPR: 6
; COMPUTE_PGM_RSRC2:TRAP_HANDLER: 0
; COMPUTE_PGM_RSRC2:TGID_X_EN: 1
; COMPUTE_PGM_RSRC2:TGID_Y_EN: 1
; COMPUTE_PGM_RSRC2:TGID_Z_EN: 1
; COMPUTE_PGM_RSRC2:TIDIG_COMP_CNT: 0
	.section	.text._ZL33flash_attn_stream_k_fixup_generalILi64ELi8ELi4EEvPfPK15HIP_vector_typeIfLj2EEiiiiS1_IjLj3EES5_S5_S5_,"axG",@progbits,_ZL33flash_attn_stream_k_fixup_generalILi64ELi8ELi4EEvPfPK15HIP_vector_typeIfLj2EEiiiiS1_IjLj3EES5_S5_S5_,comdat
	.globl	_ZL33flash_attn_stream_k_fixup_generalILi64ELi8ELi4EEvPfPK15HIP_vector_typeIfLj2EEiiiiS1_IjLj3EES5_S5_S5_ ; -- Begin function _ZL33flash_attn_stream_k_fixup_generalILi64ELi8ELi4EEvPfPK15HIP_vector_typeIfLj2EEiiiiS1_IjLj3EES5_S5_S5_
	.p2align	8
	.type	_ZL33flash_attn_stream_k_fixup_generalILi64ELi8ELi4EEvPfPK15HIP_vector_typeIfLj2EEiiiiS1_IjLj3EES5_S5_S5_,@function
_ZL33flash_attn_stream_k_fixup_generalILi64ELi8ELi4EEvPfPK15HIP_vector_typeIfLj2EEiiiiS1_IjLj3EES5_S5_S5_: ; @_ZL33flash_attn_stream_k_fixup_generalILi64ELi8ELi4EEvPfPK15HIP_vector_typeIfLj2EEiiiiS1_IjLj3EES5_S5_S5_
; %bb.0:
	s_load_dwordx4 s[0:3], s[4:5], 0x10
	s_load_dword s22, s[4:5], 0x50
	s_mov_b32 s12, 0
	s_waitcnt lgkmcnt(0)
	s_mul_hi_i32 s13, s3, s6
	s_cmp_lg_u64 s[12:13], 0
	s_mul_i32 s9, s3, s6
	s_cbranch_scc0 .LBB23_20
; %bb.1:
	s_add_u32 s10, s22, 0
	s_addc_u32 s11, 0, 0
	s_xor_b64 s[10:11], s[10:11], 0
	v_cvt_f32_u32_e32 v1, s10
	v_cvt_f32_u32_e32 v2, s11
	s_sub_u32 s12, 0, s10
	s_subb_u32 s18, 0, s11
	v_madmk_f32 v1, v2, 0x4f800000, v1
	v_rcp_f32_e32 v1, v1
	v_mul_f32_e32 v1, 0x5f7ffffc, v1
	v_mul_f32_e32 v2, 0x2f800000, v1
	v_trunc_f32_e32 v2, v2
	v_madmk_f32 v1, v2, 0xcf800000, v1
	v_cvt_u32_f32_e32 v2, v2
	v_cvt_u32_f32_e32 v1, v1
	v_readfirstlane_b32 s19, v2
	v_readfirstlane_b32 s14, v1
	s_mul_i32 s15, s12, s19
	s_mul_hi_u32 s21, s12, s14
	s_mul_i32 s20, s18, s14
	s_add_i32 s15, s21, s15
	s_add_i32 s15, s15, s20
	s_mul_i32 s23, s12, s14
	s_mul_i32 s21, s14, s15
	s_mul_hi_u32 s24, s14, s23
	s_mul_hi_u32 s20, s14, s15
	s_add_u32 s21, s24, s21
	s_addc_u32 s20, 0, s20
	s_mul_hi_u32 s25, s19, s23
	s_mul_i32 s23, s19, s23
	s_add_u32 s21, s21, s23
	s_mul_hi_u32 s24, s19, s15
	s_addc_u32 s20, s20, s25
	s_addc_u32 s21, s24, 0
	s_mul_i32 s15, s19, s15
	s_add_u32 s15, s20, s15
	s_addc_u32 s20, 0, s21
	s_add_u32 s21, s14, s15
	s_cselect_b64 s[14:15], -1, 0
	s_cmp_lg_u64 s[14:15], 0
	s_addc_u32 s19, s19, s20
	s_mul_i32 s14, s12, s19
	s_mul_hi_u32 s15, s12, s21
	s_add_i32 s14, s15, s14
	s_mul_i32 s18, s18, s21
	s_add_i32 s14, s14, s18
	s_mul_i32 s12, s12, s21
	s_mul_hi_u32 s18, s19, s12
	s_mul_i32 s20, s19, s12
	s_mul_i32 s24, s21, s14
	s_mul_hi_u32 s12, s21, s12
	s_mul_hi_u32 s23, s21, s14
	s_add_u32 s12, s12, s24
	s_addc_u32 s23, 0, s23
	s_add_u32 s12, s12, s20
	s_mul_hi_u32 s15, s19, s14
	s_addc_u32 s12, s23, s18
	s_addc_u32 s15, s15, 0
	s_mul_i32 s14, s19, s14
	s_add_u32 s12, s12, s14
	s_addc_u32 s18, 0, s15
	s_add_u32 s20, s21, s12
	s_cselect_b64 s[14:15], -1, 0
	s_cmp_lg_u64 s[14:15], 0
	s_addc_u32 s18, s19, s18
	s_ashr_i32 s14, s13, 31
	s_add_u32 s12, s9, s14
	s_mov_b32 s15, s14
	s_addc_u32 s13, s13, s14
	s_xor_b64 s[12:13], s[12:13], s[14:15]
	s_mul_i32 s21, s12, s18
	s_mul_hi_u32 s23, s12, s20
	s_mul_hi_u32 s19, s12, s18
	s_add_u32 s21, s23, s21
	s_addc_u32 s19, 0, s19
	s_mul_hi_u32 s24, s13, s20
	s_mul_i32 s20, s13, s20
	s_add_u32 s20, s21, s20
	s_mul_hi_u32 s23, s13, s18
	s_addc_u32 s19, s19, s24
	s_addc_u32 s20, s23, 0
	s_mul_i32 s18, s13, s18
	s_add_u32 s23, s19, s18
	s_addc_u32 s24, 0, s20
	s_mul_i32 s18, s10, s24
	s_mul_hi_u32 s19, s10, s23
	s_add_i32 s18, s19, s18
	s_mul_i32 s19, s11, s23
	s_add_i32 s25, s18, s19
	s_sub_i32 s20, s13, s25
	s_mul_i32 s18, s10, s23
	s_sub_u32 s12, s12, s18
	s_cselect_b64 s[18:19], -1, 0
	s_cmp_lg_u64 s[18:19], 0
	s_subb_u32 s26, s20, s11
	s_sub_u32 s27, s12, s10
	s_cselect_b64 s[20:21], -1, 0
	s_cmp_lg_u64 s[20:21], 0
	s_subb_u32 s20, s26, 0
	s_cmp_ge_u32 s20, s11
	s_cselect_b32 s21, -1, 0
	s_cmp_ge_u32 s27, s10
	s_cselect_b32 s26, -1, 0
	s_cmp_eq_u32 s20, s11
	s_cselect_b32 s20, s26, s21
	s_add_u32 s21, s23, 1
	s_addc_u32 s26, s24, 0
	s_add_u32 s27, s23, 2
	s_addc_u32 s28, s24, 0
	s_cmp_lg_u32 s20, 0
	s_cselect_b32 s20, s27, s21
	s_cselect_b32 s21, s28, s26
	s_cmp_lg_u64 s[18:19], 0
	s_subb_u32 s13, s13, s25
	s_cmp_ge_u32 s13, s11
	s_cselect_b32 s18, -1, 0
	s_cmp_ge_u32 s12, s10
	s_cselect_b32 s10, -1, 0
	s_cmp_eq_u32 s13, s11
	s_cselect_b32 s10, s10, s18
	s_cmp_lg_u32 s10, 0
	s_cselect_b32 s11, s21, s24
	s_cselect_b32 s10, s20, s23
	s_xor_b64 s[12:13], s[14:15], 0
	s_xor_b64 s[10:11], s[10:11], s[12:13]
	s_sub_u32 s10, s10, s12
	s_load_dwordx4 s[12:15], s[4:5], 0x44
	s_cbranch_execnz .LBB23_3
.LBB23_2:
	v_cvt_f32_u32_e32 v1, s22
	s_sub_i32 s10, 0, s22
	v_rcp_iflag_f32_e32 v1, v1
	v_mul_f32_e32 v1, 0x4f7ffffe, v1
	v_cvt_u32_f32_e32 v1, v1
	v_readfirstlane_b32 s11, v1
	s_mul_i32 s10, s10, s11
	s_mul_hi_u32 s10, s11, s10
	s_add_i32 s11, s11, s10
	s_mul_hi_u32 s10, s9, s11
	s_waitcnt lgkmcnt(0)
	s_mul_i32 s15, s10, s22
	s_sub_i32 s9, s9, s15
	s_add_i32 s11, s10, 1
	s_sub_i32 s15, s9, s22
	s_cmp_ge_u32 s9, s22
	s_cselect_b32 s10, s11, s10
	s_cselect_b32 s9, s15, s9
	s_add_i32 s11, s10, 1
	s_cmp_ge_u32 s9, s22
	s_cselect_b32 s10, s11, s10
.LBB23_3:
	s_add_i32 s9, s6, 1
	s_mul_hi_i32 s21, s3, s9
	s_mov_b32 s20, 0
	s_cmp_lg_u64 s[20:21], 0
	s_mul_i32 s9, s3, s9
	s_cbranch_scc0 .LBB23_21
; %bb.4:
	s_add_u32 s16, s22, 0
	s_addc_u32 s17, 0, 0
	s_xor_b64 s[18:19], s[16:17], 0
	v_cvt_f32_u32_e32 v1, s18
	v_cvt_f32_u32_e32 v2, s19
	s_sub_u32 s11, 0, s18
	s_waitcnt lgkmcnt(0)
	s_subb_u32 s15, 0, s19
	v_madmk_f32 v1, v2, 0x4f800000, v1
	v_rcp_f32_e32 v1, v1
	v_mul_f32_e32 v1, 0x5f7ffffc, v1
	v_mul_f32_e32 v2, 0x2f800000, v1
	v_trunc_f32_e32 v2, v2
	v_madmk_f32 v1, v2, 0xcf800000, v1
	v_cvt_u32_f32_e32 v2, v2
	v_cvt_u32_f32_e32 v1, v1
	v_readfirstlane_b32 s20, v2
	v_readfirstlane_b32 s23, v1
	s_mul_i32 s24, s11, s20
	s_mul_hi_u32 s26, s11, s23
	s_mul_i32 s25, s15, s23
	s_add_i32 s24, s26, s24
	s_add_i32 s24, s24, s25
	s_mul_i32 s27, s11, s23
	s_mul_i32 s26, s23, s24
	s_mul_hi_u32 s28, s23, s27
	s_mul_hi_u32 s25, s23, s24
	s_add_u32 s26, s28, s26
	s_addc_u32 s25, 0, s25
	s_mul_hi_u32 s29, s20, s27
	s_mul_i32 s27, s20, s27
	s_add_u32 s26, s26, s27
	s_mul_hi_u32 s28, s20, s24
	s_addc_u32 s25, s25, s29
	s_addc_u32 s26, s28, 0
	s_mul_i32 s24, s20, s24
	s_add_u32 s24, s25, s24
	s_addc_u32 s26, 0, s26
	s_add_u32 s23, s23, s24
	s_cselect_b64 s[24:25], -1, 0
	s_cmp_lg_u64 s[24:25], 0
	s_addc_u32 s20, s20, s26
	s_mul_i32 s24, s11, s20
	s_mul_hi_u32 s25, s11, s23
	s_add_i32 s24, s25, s24
	s_mul_i32 s15, s15, s23
	s_add_i32 s24, s24, s15
	s_mul_i32 s11, s11, s23
	s_mul_hi_u32 s25, s20, s11
	s_mul_i32 s26, s20, s11
	s_mul_i32 s28, s23, s24
	s_mul_hi_u32 s11, s23, s11
	s_mul_hi_u32 s27, s23, s24
	s_add_u32 s11, s11, s28
	s_addc_u32 s27, 0, s27
	s_add_u32 s11, s11, s26
	s_mul_hi_u32 s15, s20, s24
	s_addc_u32 s11, s27, s25
	s_addc_u32 s15, s15, 0
	s_mul_i32 s24, s20, s24
	s_add_u32 s11, s11, s24
	s_addc_u32 s15, 0, s15
	s_add_u32 s11, s23, s11
	s_cselect_b64 s[24:25], -1, 0
	s_cmp_lg_u64 s[24:25], 0
	s_addc_u32 s15, s20, s15
	s_ashr_i32 s24, s21, 31
	s_add_u32 s20, s9, s24
	s_mov_b32 s25, s24
	s_addc_u32 s21, s21, s24
	s_xor_b64 s[20:21], s[20:21], s[24:25]
	s_mul_i32 s26, s20, s15
	s_mul_hi_u32 s27, s20, s11
	s_mul_hi_u32 s23, s20, s15
	s_add_u32 s26, s27, s26
	s_addc_u32 s23, 0, s23
	s_mul_hi_u32 s28, s21, s11
	s_mul_i32 s11, s21, s11
	s_add_u32 s11, s26, s11
	s_mul_hi_u32 s27, s21, s15
	s_addc_u32 s11, s23, s28
	s_addc_u32 s23, s27, 0
	s_mul_i32 s15, s21, s15
	s_add_u32 s11, s11, s15
	s_addc_u32 s15, 0, s23
	s_mul_i32 s23, s18, s15
	s_mul_hi_u32 s26, s18, s11
	s_add_i32 s23, s26, s23
	s_mul_i32 s26, s19, s11
	s_add_i32 s23, s23, s26
	s_sub_i32 s28, s21, s23
	s_mul_i32 s26, s18, s11
	s_sub_u32 s20, s20, s26
	s_cselect_b64 s[26:27], -1, 0
	s_cmp_lg_u64 s[26:27], 0
	s_subb_u32 s30, s28, s19
	s_sub_u32 s31, s20, s18
	s_cselect_b64 s[28:29], -1, 0
	s_cmp_lg_u64 s[28:29], 0
	s_subb_u32 s28, s30, 0
	s_cmp_ge_u32 s28, s19
	s_cselect_b32 s29, -1, 0
	s_cmp_ge_u32 s31, s18
	s_cselect_b32 s30, -1, 0
	s_cmp_eq_u32 s28, s19
	s_cselect_b32 s28, s30, s29
	s_add_u32 s29, s11, 1
	s_addc_u32 s30, s15, 0
	s_add_u32 s31, s11, 2
	s_addc_u32 s33, s15, 0
	s_cmp_lg_u32 s28, 0
	s_cselect_b32 s28, s31, s29
	s_cselect_b32 s29, s33, s30
	s_cmp_lg_u64 s[26:27], 0
	s_subb_u32 s21, s21, s23
	s_cmp_ge_u32 s21, s19
	s_cselect_b32 s23, -1, 0
	s_cmp_ge_u32 s20, s18
	s_cselect_b32 s18, -1, 0
	s_cmp_eq_u32 s21, s19
	s_cselect_b32 s18, s18, s23
	s_cmp_lg_u32 s18, 0
	s_cselect_b32 s19, s29, s15
	s_cselect_b32 s18, s28, s11
	s_xor_b64 s[20:21], s[24:25], 0
	s_xor_b64 s[18:19], s[18:19], s[20:21]
	s_sub_u32 s18, s18, s20
	s_cbranch_execnz .LBB23_6
.LBB23_5:
	v_cvt_f32_u32_e32 v1, s22
	s_sub_i32 s11, 0, s22
	v_rcp_iflag_f32_e32 v1, v1
	v_mul_f32_e32 v1, 0x4f7ffffe, v1
	v_cvt_u32_f32_e32 v1, v1
	s_waitcnt lgkmcnt(0)
	v_readfirstlane_b32 s15, v1
	s_mul_i32 s11, s11, s15
	s_mul_hi_u32 s11, s15, s11
	s_add_i32 s15, s15, s11
	s_mul_hi_u32 s11, s9, s15
	s_mul_i32 s16, s11, s22
	s_sub_i32 s9, s9, s16
	s_add_i32 s15, s11, 1
	s_sub_i32 s16, s9, s22
	s_cmp_ge_u32 s9, s22
	s_cselect_b32 s11, s15, s11
	s_cselect_b32 s9, s16, s9
	s_add_i32 s15, s11, 1
	s_cmp_ge_u32 s9, s22
	s_cselect_b32 s18, s15, s11
.LBB23_6:
	s_cmp_eq_u32 s10, s18
	s_waitcnt lgkmcnt(0)
	s_mul_hi_u32 s9, s10, s12
	s_cselect_b64 s[16:17], -1, 0
	s_add_i32 s9, s9, s10
	s_lshr_b32 s11, s9, s13
	s_mul_i32 s9, s11, s14
	s_cmp_eq_u32 s9, s10
	s_mul_hi_u32 s9, s18, s12
	s_cselect_b64 s[20:21], -1, 0
	s_add_i32 s9, s9, s18
	s_lshr_b32 s9, s9, s13
	s_cmp_eq_u32 s11, s9
	s_mul_i32 s9, s9, s14
	s_cselect_b64 s[24:25], -1, 0
	s_cmp_lg_u32 s9, s18
	s_cselect_b64 s[18:19], -1, 0
	s_and_b64 s[18:19], s[24:25], s[18:19]
	s_or_b64 s[16:17], s[16:17], s[20:21]
	s_or_b64 s[16:17], s[16:17], s[18:19]
	s_and_b64 vcc, exec, s[16:17]
	s_cbranch_vccnz .LBB23_23
; %bb.7:
	s_load_dwordx8 s[24:31], s[4:5], 0x20
	s_load_dword s15, s[4:5], 0x40
	s_waitcnt lgkmcnt(0)
	s_mul_hi_u32 s9, s10, s24
	s_add_i32 s9, s9, s10
	s_lshr_b32 s9, s9, s25
	s_mul_i32 s16, s9, s26
	s_sub_i32 s16, s10, s16
	s_mul_hi_u32 s17, s16, s27
	s_add_i32 s17, s16, s17
	s_lshr_b32 s23, s17, s28
	s_mul_i32 s17, s23, s29
	s_sub_i32 s16, s16, s17
	;; [unrolled: 5-line block ×3, first 2 shown]
	s_mul_hi_u32 s16, s15, s12
	s_add_i32 s15, s15, s16
	s_lshr_b32 s25, s15, s13
	s_lshl_b32 s15, s25, 3
	s_lshl_b32 s24, s17, 2
	s_add_i32 s15, s15, s7
	s_cmp_lt_i32 s15, s0
	s_cselect_b64 s[16:17], -1, 0
	s_add_i32 s15, s24, s8
	s_cmp_lt_i32 s15, s2
	s_cselect_b64 s[18:19], -1, 0
	s_and_b64 s[16:17], s[16:17], s[18:19]
	s_andn2_b64 vcc, exec, s[16:17]
	s_cbranch_vccnz .LBB23_23
; %bb.8:
	s_load_dwordx4 s[16:19], s[4:5], 0x0
	s_mov_b32 s4, 0
	s_lshl_b32 s15, s7, 2
	s_lshl_b32 s20, s22, 7
	s_mov_b32 s21, s4
	s_add_i32 s15, s15, s8
	s_lshl_b64 s[20:21], s[20:21], 2
	s_waitcnt lgkmcnt(0)
	s_add_u32 s20, s18, s20
	s_mul_i32 s0, s9, s0
	s_addc_u32 s21, s19, s21
	s_add_i32 s0, s0, s7
	s_mul_i32 s0, s0, s1
	s_mul_i32 s23, s23, s2
	s_add_i32 s0, s0, s8
	s_add_i32 s0, s0, s23
	s_mul_i32 s2, s1, s25
	s_add_i32 s0, s0, s24
	s_lshl_b32 s2, s2, 9
	s_lshl_b32 s0, s0, 6
	s_add_i32 s2, s2, s0
	v_or_b32_e32 v1, s2, v0
	v_ashrrev_i32_e32 v2, 31, v1
	v_lshlrev_b64 v[1:2], 2, v[1:2]
	v_mov_b32_e32 v3, s17
	v_add_co_u32_e32 v1, vcc, s16, v1
	v_addc_co_u32_e32 v2, vcc, v3, v2, vcc
	global_load_dword v3, v[1:2], off
	v_cvt_f32_u32_e32 v4, s22
	s_lshl_b32 s0, s6, 5
	s_add_i32 s0, s15, s0
	s_ashr_i32 s1, s0, 31
	s_lshl_b64 s[0:1], s[0:1], 3
	v_rcp_iflag_f32_e32 v4, v4
	s_add_u32 s0, s18, s0
	s_addc_u32 s1, s19, s1
	s_load_dwordx2 s[0:1], s[0:1], 0x0
	v_mul_f32_e32 v4, 0x4f7ffffe, v4
	v_cvt_u32_f32_e32 v4, v4
	s_add_i32 s24, s6, -1
	v_lshl_or_b32 v0, s15, 6, v0
	s_waitcnt lgkmcnt(0)
	v_mov_b32_e32 v6, s1
	v_mov_b32_e32 v7, s0
	s_mov_b32 s2, 0x3fb8aa3b
	s_mov_b32 s16, 0xc2ce8ed0
	;; [unrolled: 1-line block ×4, first 2 shown]
	v_mov_b32_e32 v5, 0x7f800000
	s_mul_hi_i32 s5, s24, s3
	s_cmp_lg_u64 s[4:5], 0
	s_mul_i32 s8, s24, s3
	s_cbranch_scc0 .LBB23_19
.LBB23_9:
	s_add_u32 s0, s22, 0
	s_addc_u32 s1, 0, 0
	s_xor_b64 s[0:1], s[0:1], 0
	v_cvt_f32_u32_e32 v8, s0
	v_cvt_f32_u32_e32 v9, s1
	s_sub_u32 s9, 0, s0
	s_subb_u32 s25, 0, s1
	v_mac_f32_e32 v8, 0x4f800000, v9
	v_rcp_f32_e32 v8, v8
	v_mul_f32_e32 v8, 0x5f7ffffc, v8
	v_mul_f32_e32 v9, 0x2f800000, v8
	v_trunc_f32_e32 v9, v9
	v_mac_f32_e32 v8, 0xcf800000, v9
	v_cvt_u32_f32_e32 v9, v9
	v_cvt_u32_f32_e32 v8, v8
	v_readfirstlane_b32 s26, v9
	v_readfirstlane_b32 s6, v8
	s_mul_i32 s7, s9, s26
	s_mul_hi_u32 s28, s9, s6
	s_mul_i32 s27, s25, s6
	s_add_i32 s7, s28, s7
	s_mul_i32 s29, s9, s6
	s_add_i32 s7, s7, s27
	s_mul_i32 s28, s6, s7
	s_mul_hi_u32 s30, s6, s29
	s_mul_hi_u32 s27, s6, s7
	s_add_u32 s28, s30, s28
	s_addc_u32 s27, 0, s27
	s_mul_hi_u32 s31, s26, s29
	s_mul_i32 s29, s26, s29
	s_add_u32 s28, s28, s29
	s_mul_hi_u32 s30, s26, s7
	s_addc_u32 s27, s27, s31
	s_addc_u32 s28, s30, 0
	s_mul_i32 s7, s26, s7
	s_add_u32 s7, s27, s7
	s_addc_u32 s27, 0, s28
	s_add_u32 s28, s6, s7
	s_cselect_b64 s[6:7], -1, 0
	s_cmp_lg_u64 s[6:7], 0
	s_addc_u32 s26, s26, s27
	s_mul_i32 s6, s9, s26
	s_mul_hi_u32 s7, s9, s28
	s_add_i32 s6, s7, s6
	s_mul_i32 s25, s25, s28
	s_add_i32 s6, s6, s25
	s_mul_i32 s9, s9, s28
	s_mul_hi_u32 s25, s26, s9
	s_mul_i32 s27, s26, s9
	s_mul_i32 s30, s28, s6
	s_mul_hi_u32 s9, s28, s9
	s_mul_hi_u32 s29, s28, s6
	s_add_u32 s9, s9, s30
	s_addc_u32 s29, 0, s29
	s_add_u32 s9, s9, s27
	s_mul_hi_u32 s7, s26, s6
	s_addc_u32 s9, s29, s25
	s_addc_u32 s7, s7, 0
	s_mul_i32 s6, s26, s6
	s_add_u32 s6, s9, s6
	s_addc_u32 s9, 0, s7
	s_add_u32 s25, s28, s6
	s_cselect_b64 s[6:7], -1, 0
	s_cmp_lg_u64 s[6:7], 0
	s_addc_u32 s9, s26, s9
	s_ashr_i32 s6, s5, 31
	s_add_u32 s26, s8, s6
	s_mov_b32 s7, s6
	s_addc_u32 s27, s5, s6
	s_xor_b64 s[26:27], s[26:27], s[6:7]
	s_mul_i32 s28, s26, s9
	s_mul_hi_u32 s29, s26, s25
	s_mul_hi_u32 s5, s26, s9
	s_add_u32 s28, s29, s28
	s_addc_u32 s5, 0, s5
	s_mul_hi_u32 s30, s27, s25
	s_mul_i32 s25, s27, s25
	s_add_u32 s25, s28, s25
	s_mul_hi_u32 s29, s27, s9
	s_addc_u32 s5, s5, s30
	s_addc_u32 s25, s29, 0
	s_mul_i32 s9, s27, s9
	s_add_u32 s5, s5, s9
	s_addc_u32 s9, 0, s25
	s_mul_i32 s25, s0, s9
	s_mul_hi_u32 s28, s0, s5
	s_add_i32 s25, s28, s25
	s_mul_i32 s28, s1, s5
	s_add_i32 s25, s25, s28
	s_sub_i32 s30, s27, s25
	s_mul_i32 s28, s0, s5
	s_sub_u32 s26, s26, s28
	s_cselect_b64 s[28:29], -1, 0
	s_cmp_lg_u64 s[28:29], 0
	s_subb_u32 s33, s30, s1
	s_sub_u32 s34, s26, s0
	s_cselect_b64 s[30:31], -1, 0
	s_cmp_lg_u64 s[30:31], 0
	s_subb_u32 s30, s33, 0
	s_cmp_ge_u32 s30, s1
	s_cselect_b32 s31, -1, 0
	s_cmp_ge_u32 s34, s0
	s_cselect_b32 s33, -1, 0
	s_cmp_eq_u32 s30, s1
	s_cselect_b32 s30, s33, s31
	s_add_u32 s31, s5, 1
	s_addc_u32 s33, s9, 0
	s_add_u32 s34, s5, 2
	s_addc_u32 s35, s9, 0
	s_cmp_lg_u32 s30, 0
	s_cselect_b32 s30, s34, s31
	s_cselect_b32 s31, s35, s33
	s_cmp_lg_u64 s[28:29], 0
	s_subb_u32 s25, s27, s25
	s_cmp_ge_u32 s25, s1
	s_cselect_b32 s27, -1, 0
	s_cmp_ge_u32 s26, s0
	s_cselect_b32 s0, -1, 0
	s_cmp_eq_u32 s25, s1
	s_cselect_b32 s0, s0, s27
	s_cmp_lg_u32 s0, 0
	s_cselect_b32 s1, s31, s9
	s_cselect_b32 s0, s30, s5
	s_xor_b64 s[6:7], s[6:7], 0
	s_xor_b64 s[0:1], s[0:1], s[6:7]
	s_sub_u32 s6, s0, s6
	s_cbranch_execnz .LBB23_11
.LBB23_10:
	s_sub_i32 s0, 0, s22
	v_readfirstlane_b32 s1, v4
	s_mul_i32 s0, s0, s1
	s_mul_hi_u32 s0, s1, s0
	s_add_i32 s1, s1, s0
	s_mul_hi_u32 s0, s8, s1
	s_mul_i32 s5, s0, s22
	s_sub_i32 s5, s8, s5
	s_add_i32 s1, s0, 1
	s_sub_i32 s6, s5, s22
	s_cmp_ge_u32 s5, s22
	s_cselect_b32 s0, s1, s0
	s_cselect_b32 s5, s6, s5
	s_add_i32 s1, s0, 1
	s_cmp_ge_u32 s5, s22
	s_cselect_b32 s6, s1, s0
.LBB23_11:
	s_cmp_lg_u32 s10, s6
	s_mov_b64 s[8:9], -1
                                        ; implicit-def: $sgpr0_sgpr1
                                        ; implicit-def: $vgpr10
                                        ; implicit-def: $vgpr8
                                        ; implicit-def: $vgpr9
                                        ; implicit-def: $sgpr5
                                        ; implicit-def: $sgpr7
	s_cbranch_scc1 .LBB23_14
; %bb.12:
	s_andn2_b64 vcc, exec, s[8:9]
	s_cbranch_vccz .LBB23_17
.LBB23_13:
	s_andn2_b64 vcc, exec, s[0:1]
	s_cbranch_vccnz .LBB23_18
	s_branch .LBB23_22
.LBB23_14:
	s_add_i32 s0, s24, s22
	s_lshl_b32 s0, s0, 5
	s_add_i32 s0, s0, s15
	s_mov_b32 s1, s4
	s_lshl_b64 s[0:1], s[0:1], 3
	s_add_u32 s8, s18, s0
	s_mul_hi_u32 s0, s6, s12
	s_addc_u32 s9, s19, s1
	s_add_i32 s0, s0, s6
	s_lshr_b32 s5, s0, s13
	s_mul_i32 s0, s5, s14
	s_cmp_eq_u32 s0, s6
	s_cselect_b64 s[0:1], -1, 0
	s_cmp_lt_u32 s5, s11
	s_cselect_b64 s[26:27], -1, 0
	s_or_b64 s[26:27], s[26:27], s[0:1]
	s_mov_b64 s[0:1], -1
	s_and_b64 vcc, exec, s[26:27]
	s_mov_b32 s5, s24
	s_mov_b32 s7, s10
	s_cbranch_vccnz .LBB23_16
; %bb.15:
	s_add_i32 s5, s24, -1
	s_mov_b64 s[0:1], 0
	s_mov_b32 s7, s6
.LBB23_16:
	v_lshl_add_u32 v8, s24, 11, v0
	v_ashrrev_i32_e32 v9, 31, v8
	v_lshlrev_b64 v[8:9], 2, v[8:9]
	v_mov_b32_e32 v10, s21
	v_add_co_u32_e32 v8, vcc, s20, v8
	v_addc_co_u32_e32 v9, vcc, v10, v9, vcc
	global_load_dword v10, v[8:9], off
	s_load_dwordx2 s[8:9], s[8:9], 0x0
	v_max_f32_e32 v8, v7, v7
	s_waitcnt lgkmcnt(0)
	v_max_f32_e64 v9, s8, s8
	v_max_f32_e32 v8, v8, v9
	v_sub_f32_e32 v9, v7, v8
	v_sub_f32_e32 v11, s8, v8
	v_mul_f32_e32 v12, 0x3fb8aa3b, v9
	v_mul_f32_e32 v13, 0x3fb8aa3b, v11
	v_fma_f32 v14, v9, s2, -v12
	v_rndne_f32_e32 v15, v12
	v_fma_f32 v16, v11, s2, -v13
	v_rndne_f32_e32 v17, v13
	v_fmac_f32_e32 v14, 0x32a5705f, v9
	v_sub_f32_e32 v12, v12, v15
	v_fmac_f32_e32 v16, 0x32a5705f, v11
	v_sub_f32_e32 v13, v13, v17
	v_add_f32_e32 v12, v12, v14
	v_cvt_i32_f32_e32 v15, v15
	v_add_f32_e32 v13, v13, v16
	v_exp_f32_e32 v12, v12
	v_cvt_i32_f32_e32 v17, v17
	v_exp_f32_e32 v13, v13
	v_cmp_ngt_f32_e32 vcc, s16, v9
	v_ldexp_f32 v12, v12, v15
	v_cndmask_b32_e32 v12, 0, v12, vcc
	v_ldexp_f32 v13, v13, v17
	v_cmp_ngt_f32_e32 vcc, s16, v11
	v_cndmask_b32_e32 v13, 0, v13, vcc
	v_cmp_nlt_f32_e32 vcc, s17, v9
	v_cndmask_b32_e32 v12, v5, v12, vcc
	v_cmp_nlt_f32_e32 vcc, s17, v11
	v_cndmask_b32_e32 v13, v5, v13, vcc
	v_cmp_le_f32_e32 vcc, s23, v9
	v_cndmask_b32_e32 v12, 0, v12, vcc
	v_cmp_le_f32_e32 vcc, s23, v11
	v_cndmask_b32_e32 v11, 0, v13, vcc
	v_mul_f32_e32 v9, s9, v11
	v_fmac_f32_e32 v9, v6, v12
	s_waitcnt vmcnt(0)
	v_mul_f32_e32 v10, v10, v11
	v_fmac_f32_e32 v10, v3, v12
	s_cbranch_execnz .LBB23_13
.LBB23_17:
	s_add_i32 s5, s24, -1
	s_mov_b32 s7, s10
	v_mov_b32_e32 v9, v6
	v_mov_b32_e32 v8, v7
	s_waitcnt vmcnt(0)
	v_mov_b32_e32 v10, v3
	s_cbranch_execz .LBB23_22
.LBB23_18:
	s_mov_b32 s10, s7
	s_mov_b32 s24, s5
	v_mov_b32_e32 v6, v9
	v_mov_b32_e32 v7, v8
	s_waitcnt vmcnt(0)
	v_mov_b32_e32 v3, v10
	s_mul_hi_i32 s5, s24, s3
	s_cmp_lg_u64 s[4:5], 0
	s_mul_i32 s8, s24, s3
	s_cbranch_scc1 .LBB23_9
.LBB23_19:
                                        ; implicit-def: $sgpr6_sgpr7
	s_branch .LBB23_10
.LBB23_20:
                                        ; implicit-def: $sgpr10_sgpr11
	s_load_dwordx4 s[12:15], s[4:5], 0x44
	s_branch .LBB23_2
.LBB23_21:
                                        ; implicit-def: $sgpr18_sgpr19
	s_branch .LBB23_5
.LBB23_22:
	v_div_scale_f32 v0, s[0:1], v9, v9, v10
	s_waitcnt vmcnt(0)
	v_div_scale_f32 v3, vcc, v10, v9, v10
	v_rcp_f32_e32 v4, v0
	v_fma_f32 v5, -v0, v4, 1.0
	v_fmac_f32_e32 v4, v5, v4
	v_mul_f32_e32 v5, v3, v4
	v_fma_f32 v6, -v0, v5, v3
	v_fmac_f32_e32 v5, v6, v4
	v_fma_f32 v0, -v0, v5, v3
	v_div_fmas_f32 v0, v0, v4, v5
	v_div_fixup_f32 v0, v0, v9, v10
	global_store_dword v[1:2], v0, off
.LBB23_23:
	s_endpgm
	.section	.rodata,"a",@progbits
	.p2align	6, 0x0
	.amdhsa_kernel _ZL33flash_attn_stream_k_fixup_generalILi64ELi8ELi4EEvPfPK15HIP_vector_typeIfLj2EEiiiiS1_IjLj3EES5_S5_S5_
		.amdhsa_group_segment_fixed_size 0
		.amdhsa_private_segment_fixed_size 0
		.amdhsa_kernarg_size 336
		.amdhsa_user_sgpr_count 6
		.amdhsa_user_sgpr_private_segment_buffer 1
		.amdhsa_user_sgpr_dispatch_ptr 0
		.amdhsa_user_sgpr_queue_ptr 0
		.amdhsa_user_sgpr_kernarg_segment_ptr 1
		.amdhsa_user_sgpr_dispatch_id 0
		.amdhsa_user_sgpr_flat_scratch_init 0
		.amdhsa_user_sgpr_private_segment_size 0
		.amdhsa_uses_dynamic_stack 0
		.amdhsa_system_sgpr_private_segment_wavefront_offset 0
		.amdhsa_system_sgpr_workgroup_id_x 1
		.amdhsa_system_sgpr_workgroup_id_y 1
		.amdhsa_system_sgpr_workgroup_id_z 1
		.amdhsa_system_sgpr_workgroup_info 0
		.amdhsa_system_vgpr_workitem_id 0
		.amdhsa_next_free_vgpr 18
		.amdhsa_next_free_sgpr 36
		.amdhsa_reserve_vcc 1
		.amdhsa_reserve_flat_scratch 0
		.amdhsa_float_round_mode_32 0
		.amdhsa_float_round_mode_16_64 0
		.amdhsa_float_denorm_mode_32 3
		.amdhsa_float_denorm_mode_16_64 3
		.amdhsa_dx10_clamp 1
		.amdhsa_ieee_mode 1
		.amdhsa_fp16_overflow 0
		.amdhsa_exception_fp_ieee_invalid_op 0
		.amdhsa_exception_fp_denorm_src 0
		.amdhsa_exception_fp_ieee_div_zero 0
		.amdhsa_exception_fp_ieee_overflow 0
		.amdhsa_exception_fp_ieee_underflow 0
		.amdhsa_exception_fp_ieee_inexact 0
		.amdhsa_exception_int_div_zero 0
	.end_amdhsa_kernel
	.section	.text._ZL33flash_attn_stream_k_fixup_generalILi64ELi8ELi4EEvPfPK15HIP_vector_typeIfLj2EEiiiiS1_IjLj3EES5_S5_S5_,"axG",@progbits,_ZL33flash_attn_stream_k_fixup_generalILi64ELi8ELi4EEvPfPK15HIP_vector_typeIfLj2EEiiiiS1_IjLj3EES5_S5_S5_,comdat
.Lfunc_end23:
	.size	_ZL33flash_attn_stream_k_fixup_generalILi64ELi8ELi4EEvPfPK15HIP_vector_typeIfLj2EEiiiiS1_IjLj3EES5_S5_S5_, .Lfunc_end23-_ZL33flash_attn_stream_k_fixup_generalILi64ELi8ELi4EEvPfPK15HIP_vector_typeIfLj2EEiiiiS1_IjLj3EES5_S5_S5_
                                        ; -- End function
	.set _ZL33flash_attn_stream_k_fixup_generalILi64ELi8ELi4EEvPfPK15HIP_vector_typeIfLj2EEiiiiS1_IjLj3EES5_S5_S5_.num_vgpr, 18
	.set _ZL33flash_attn_stream_k_fixup_generalILi64ELi8ELi4EEvPfPK15HIP_vector_typeIfLj2EEiiiiS1_IjLj3EES5_S5_S5_.num_agpr, 0
	.set _ZL33flash_attn_stream_k_fixup_generalILi64ELi8ELi4EEvPfPK15HIP_vector_typeIfLj2EEiiiiS1_IjLj3EES5_S5_S5_.numbered_sgpr, 36
	.set _ZL33flash_attn_stream_k_fixup_generalILi64ELi8ELi4EEvPfPK15HIP_vector_typeIfLj2EEiiiiS1_IjLj3EES5_S5_S5_.num_named_barrier, 0
	.set _ZL33flash_attn_stream_k_fixup_generalILi64ELi8ELi4EEvPfPK15HIP_vector_typeIfLj2EEiiiiS1_IjLj3EES5_S5_S5_.private_seg_size, 0
	.set _ZL33flash_attn_stream_k_fixup_generalILi64ELi8ELi4EEvPfPK15HIP_vector_typeIfLj2EEiiiiS1_IjLj3EES5_S5_S5_.uses_vcc, 1
	.set _ZL33flash_attn_stream_k_fixup_generalILi64ELi8ELi4EEvPfPK15HIP_vector_typeIfLj2EEiiiiS1_IjLj3EES5_S5_S5_.uses_flat_scratch, 0
	.set _ZL33flash_attn_stream_k_fixup_generalILi64ELi8ELi4EEvPfPK15HIP_vector_typeIfLj2EEiiiiS1_IjLj3EES5_S5_S5_.has_dyn_sized_stack, 0
	.set _ZL33flash_attn_stream_k_fixup_generalILi64ELi8ELi4EEvPfPK15HIP_vector_typeIfLj2EEiiiiS1_IjLj3EES5_S5_S5_.has_recursion, 0
	.set _ZL33flash_attn_stream_k_fixup_generalILi64ELi8ELi4EEvPfPK15HIP_vector_typeIfLj2EEiiiiS1_IjLj3EES5_S5_S5_.has_indirect_call, 0
	.section	.AMDGPU.csdata,"",@progbits
; Kernel info:
; codeLenInByte = 2940
; TotalNumSgprs: 40
; NumVgprs: 18
; ScratchSize: 0
; MemoryBound: 0
; FloatMode: 240
; IeeeMode: 1
; LDSByteSize: 0 bytes/workgroup (compile time only)
; SGPRBlocks: 4
; VGPRBlocks: 4
; NumSGPRsForWavesPerEU: 40
; NumVGPRsForWavesPerEU: 18
; Occupancy: 10
; WaveLimiterHint : 0
; COMPUTE_PGM_RSRC2:SCRATCH_EN: 0
; COMPUTE_PGM_RSRC2:USER_SGPR: 6
; COMPUTE_PGM_RSRC2:TRAP_HANDLER: 0
; COMPUTE_PGM_RSRC2:TGID_X_EN: 1
; COMPUTE_PGM_RSRC2:TGID_Y_EN: 1
; COMPUTE_PGM_RSRC2:TGID_Z_EN: 1
; COMPUTE_PGM_RSRC2:TIDIG_COMP_CNT: 0
	.section	.text._ZL15flash_attn_tileILi64ELi64ELi4ELi4ELb0EEvPKcS1_S1_S1_S1_PKiPfP15HIP_vector_typeIfLj2EEffffjfiS5_IjLj3EEiiiiiiiiiiiliiliiiiil,"axG",@progbits,_ZL15flash_attn_tileILi64ELi64ELi4ELi4ELb0EEvPKcS1_S1_S1_S1_PKiPfP15HIP_vector_typeIfLj2EEffffjfiS5_IjLj3EEiiiiiiiiiiiliiliiiiil,comdat
	.globl	_ZL15flash_attn_tileILi64ELi64ELi4ELi4ELb0EEvPKcS1_S1_S1_S1_PKiPfP15HIP_vector_typeIfLj2EEffffjfiS5_IjLj3EEiiiiiiiiiiiliiliiiiil ; -- Begin function _ZL15flash_attn_tileILi64ELi64ELi4ELi4ELb0EEvPKcS1_S1_S1_S1_PKiPfP15HIP_vector_typeIfLj2EEffffjfiS5_IjLj3EEiiiiiiiiiiiliiliiiiil
	.p2align	8
	.type	_ZL15flash_attn_tileILi64ELi64ELi4ELi4ELb0EEvPKcS1_S1_S1_S1_PKiPfP15HIP_vector_typeIfLj2EEffffjfiS5_IjLj3EEiiiiiiiiiiiliiliiiiil,@function
_ZL15flash_attn_tileILi64ELi64ELi4ELi4ELb0EEvPKcS1_S1_S1_S1_PKiPfP15HIP_vector_typeIfLj2EEffffjfiS5_IjLj3EEiiiiiiiiiiiliiliiiiil: ; @_ZL15flash_attn_tileILi64ELi64ELi4ELi4ELb0EEvPKcS1_S1_S1_S1_PKiPfP15HIP_vector_typeIfLj2EEffffjfiS5_IjLj3EEiiiiiiiiiiiliiliiiiil
; %bb.0:
	s_load_dwordx4 s[0:3], s[4:5], 0x5c
	s_load_dwordx2 s[24:25], s[4:5], 0x80
	s_load_dwordx2 s[28:29], s[4:5], 0xb8
	s_mov_b64 s[26:27], 0
	s_waitcnt lgkmcnt(0)
	s_ashr_i32 s9, s3, 31
	s_lshr_b32 s9, s9, 30
	s_add_i32 s9, s3, s9
	s_ashr_i32 s9, s9, 2
	v_cvt_f32_u32_e32 v2, s9
	s_sub_i32 s10, 0, s9
	v_rcp_iflag_f32_e32 v2, v2
	v_mul_f32_e32 v2, 0x4f7ffffe, v2
	v_cvt_u32_f32_e32 v2, v2
	v_readfirstlane_b32 s11, v2
	s_mul_i32 s10, s10, s11
	s_mul_hi_u32 s10, s11, s10
	s_add_i32 s11, s11, s10
	s_mul_hi_u32 s10, s8, s11
	s_mul_i32 s11, s10, s9
	s_sub_i32 s11, s8, s11
	s_add_i32 s12, s10, 1
	s_sub_i32 s13, s11, s9
	s_cmp_ge_u32 s11, s9
	s_cselect_b32 s10, s12, s10
	s_cselect_b32 s11, s13, s11
	s_add_i32 s12, s10, 1
	s_cmp_ge_u32 s11, s9
	s_cselect_b32 s30, s12, s10
	s_abs_i32 s9, s25
	v_cvt_f32_u32_e32 v2, s9
	s_lshl_b32 s8, s8, 2
	s_mul_i32 s12, s30, s3
	s_xor_b32 s10, s3, s25
	v_rcp_iflag_f32_e32 v2, v2
	s_sub_i32 s13, 0, s9
	s_sub_i32 s25, s8, s12
	s_abs_i32 s11, s3
	v_mul_f32_e32 v2, 0x4f7ffffe, v2
	v_cvt_u32_f32_e32 v2, v2
	s_ashr_i32 s10, s10, 31
	v_readfirstlane_b32 s8, v2
	s_mul_i32 s13, s13, s8
	s_mul_hi_u32 s12, s8, s13
	s_add_i32 s8, s8, s12
	s_mul_hi_u32 s8, s11, s8
	s_mul_i32 s12, s8, s9
	s_sub_i32 s11, s11, s12
	s_add_i32 s13, s8, 1
	s_sub_i32 s12, s11, s9
	s_cmp_ge_u32 s11, s9
	s_cselect_b32 s8, s13, s8
	s_cselect_b32 s11, s12, s11
	s_add_i32 s12, s8, 1
	s_cmp_ge_u32 s11, s9
	s_cselect_b32 s8, s12, s8
	s_xor_b32 s8, s8, s10
	s_sub_i32 s33, s8, s10
	s_abs_i32 s31, s33
	v_cvt_f32_u32_e32 v2, s31
	s_load_dwordx16 s[8:23], s[4:5], 0x0
	v_rcp_iflag_f32_e32 v2, v2
	s_waitcnt lgkmcnt(0)
	s_cmp_eq_u64 s[14:15], 0
	v_mul_f32_e32 v2, 0x4f7ffffe, v2
	v_cvt_u32_f32_e32 v2, v2
	v_readfirstlane_b32 s34, v2
	s_cbranch_scc1 .LBB24_2
; %bb.1:
	s_abs_i32 s28, s28
	v_cvt_f32_u32_e32 v2, s28
	s_sub_i32 s37, 0, s28
	s_abs_i32 s36, s30
	s_ashr_i32 s35, s30, 31
	v_rcp_iflag_f32_e32 v2, v2
	s_load_dwordx2 s[26:27], s[4:5], 0xc8
	v_mul_f32_e32 v2, 0x4f7ffffe, v2
	v_cvt_u32_f32_e32 v2, v2
	v_readfirstlane_b32 s38, v2
	s_mul_i32 s37, s37, s38
	s_mul_hi_u32 s37, s38, s37
	s_add_i32 s38, s38, s37
	s_mul_hi_u32 s37, s36, s38
	s_mul_i32 s37, s37, s28
	s_sub_i32 s36, s36, s37
	s_sub_i32 s37, s36, s28
	s_cmp_ge_u32 s36, s28
	s_cselect_b32 s36, s37, s36
	s_sub_i32 s37, s36, s28
	s_cmp_ge_u32 s36, s28
	s_cselect_b32 s28, s37, s36
	s_xor_b32 s28, s28, s35
	s_sub_i32 s28, s28, s35
	s_ashr_i32 s35, s28, 31
	s_waitcnt lgkmcnt(0)
	s_mul_hi_u32 s36, s26, s28
	s_mul_i32 s35, s26, s35
	s_mul_i32 s27, s27, s28
	s_add_i32 s35, s36, s35
	s_add_i32 s35, s35, s27
	s_mul_i32 s26, s26, s28
	s_add_u32 s26, s14, s26
	s_addc_u32 s27, s15, s35
.LBB24_2:
	v_lshrrev_b32_e32 v2, 1, v1
	s_load_dwordx4 s[36:39], s[4:5], 0x70
	v_lshl_add_u32 v30, s6, 2, v2
	v_mul_hi_u32 v2, s0, v30
	v_lshlrev_b32_e32 v9, 3, v0
	s_waitcnt lgkmcnt(0)
	s_mul_i32 s0, s30, s38
	v_add_u32_e32 v2, v30, v2
	s_ashr_i32 s15, s0, 31
	v_lshrrev_b32_e32 v2, s1, v2
	s_mul_i32 s14, s25, s37
	s_add_u32 s0, s8, s0
	v_mul_lo_u32 v2, v2, s2
	s_addc_u32 s8, s9, s15
	s_ashr_i32 s9, s14, 31
	s_add_u32 s14, s0, s14
	s_addc_u32 s15, s8, s9
	s_ashr_i32 s1, s37, 31
	s_mov_b32 s0, s37
	s_ashr_i32 s37, s36, 31
	v_sub_u32_e32 v2, v30, v2
	s_lshr_b64 s[8:9], s[36:37], 2
	v_mad_u64_u32 v[3:4], s[8:9], s8, v2, 0
	s_lshr_b32 s8, s37, 2
	v_mov_b32_e32 v6, s15
	v_mad_u64_u32 v[4:5], s[8:9], s8, v2, v[4:5]
	v_lshlrev_b32_e32 v5, 1, v1
	s_lshr_b64 s[8:9], s[0:1], 2
	v_lshlrev_b64 v[3:4], 2, v[3:4]
	v_and_b32_e32 v31, 2, v5
	v_add_co_u32_e32 v7, vcc, s14, v3
	s_lshr_b32 s9, s1, 2
	v_or_b32_e32 v11, 1, v5
	v_addc_co_u32_e32 v8, vcc, v6, v4, vcc
	v_mul_lo_u32 v10, s9, v31
	v_mad_u64_u32 v[3:4], s[0:1], s8, v31, 0
	v_and_b32_e32 v12, 3, v11
	v_mad_u64_u32 v[5:6], s[0:1], s8, v12, 0
	v_or_b32_e32 v4, v4, v10
	v_add_co_u32_e32 v9, vcc, v7, v9
	v_lshlrev_b64 v[3:4], 2, v[3:4]
	v_mad_u64_u32 v[6:7], s[0:1], s9, v12, v[6:7]
	v_addc_co_u32_e32 v13, vcc, 0, v8, vcc
	v_add_co_u32_e32 v3, vcc, v9, v3
	v_addc_co_u32_e32 v4, vcc, v13, v4, vcc
	global_load_dwordx2 v[7:8], v[3:4], off
	v_lshlrev_b64 v[3:4], 2, v[5:6]
	s_load_dword s0, s[4:5], 0x40
	v_add_co_u32_e32 v3, vcc, v9, v3
	v_addc_co_u32_e32 v4, vcc, v13, v4, vcc
	global_load_dwordx2 v[4:5], v[3:4], off
	v_mov_b32_e32 v6, 0x5800
	v_lshlrev_b32_e32 v3, 8, v1
	v_lshl_or_b32 v6, v0, 2, v6
	v_add_u32_e32 v9, v6, v3
	s_cmp_eq_u64 s[18:19], 0
	v_lshl_add_u32 v6, v11, 7, v6
	s_waitcnt vmcnt(1) lgkmcnt(0)
	v_fma_mixlo_f16 v8, s0, v8, 0
	v_fma_mixlo_f16 v7, s0, v7, 0
	v_lshlrev_b32_e32 v8, 16, v8
	v_or_b32_sdwa v7, v8, v7 dst_sel:DWORD dst_unused:UNUSED_PAD src0_sel:DWORD src1_sel:WORD_0
	s_waitcnt vmcnt(0)
	v_fma_mixlo_f16 v5, s0, v5, 0
	v_fma_mixlo_f16 v4, s0, v4, 0
	v_lshlrev_b32_e32 v5, 16, v5
	v_or_b32_sdwa v4, v5, v4 dst_sel:DWORD dst_unused:UNUSED_PAD src0_sel:DWORD src1_sel:WORD_0
	ds_write_b32 v9, v7
	ds_write_b32 v6, v4
	s_waitcnt lgkmcnt(0)
	s_barrier
	s_cbranch_scc1 .LBB24_4
; %bb.3:
	s_load_dword s0, s[4:5], 0xd0
	s_mov_b32 s1, 0
	s_waitcnt lgkmcnt(0)
	s_mul_i32 s0, s0, s30
	s_add_i32 s0, s0, s6
	s_lshl_b64 s[0:1], s[0:1], 2
	s_add_u32 s0, s18, s0
	s_addc_u32 s1, s19, s1
	s_load_dword s24, s[0:1], 0x0
.LBB24_4:
	s_lshl_b32 s6, s7, 7
	s_waitcnt lgkmcnt(0)
	s_cmp_lt_i32 s6, s24
	v_mbcnt_lo_u32_b32 v4, -1, 0
	s_cbranch_scc1 .LBB24_7
; %bb.5:
	v_mbcnt_hi_u32_b32 v32, -1, v4
	v_and_b32_e32 v5, 0x60, v32
	v_add_u32_e32 v33, 32, v5
	v_xor_b32_e32 v38, 16, v32
	v_xor_b32_e32 v37, 8, v32
	;; [unrolled: 1-line block ×5, first 2 shown]
	s_cbranch_execz .LBB24_8
; %bb.6:
	v_mov_b32_e32 v72, 0
	v_mov_b32_e32 v46, 0
	;; [unrolled: 1-line block ×6, first 2 shown]
	s_branch .LBB24_10
.LBB24_7:
                                        ; implicit-def: $vgpr32
                                        ; implicit-def: $vgpr33
                                        ; implicit-def: $vgpr38
                                        ; implicit-def: $vgpr37
                                        ; implicit-def: $vgpr36
                                        ; implicit-def: $vgpr35
                                        ; implicit-def: $vgpr34
.LBB24_8:
	s_sub_i32 s0, 0, s31
	s_mul_i32 s0, s0, s34
	s_mul_hi_u32 s0, s34, s0
	s_add_i32 s34, s34, s0
	s_load_dwordx2 s[0:1], s[4:5], 0x8c
	s_load_dwordx4 s[36:39], s[4:5], 0x98
	s_abs_i32 s18, s25
	s_mul_hi_u32 s19, s18, s34
	s_ashr_i32 s28, s25, 31
	s_waitcnt lgkmcnt(0)
	s_ashr_i32 s9, s0, 2
	s_ashr_i32 s0, s30, 31
	s_mul_hi_u32 s34, s36, s30
	s_mul_i32 s35, s36, s0
	s_add_i32 s34, s34, s35
	s_mul_i32 s35, s37, s30
	s_ashr_i32 s33, s33, 31
	s_ashr_i32 s8, s38, 2
	;; [unrolled: 1-line block ×3, first 2 shown]
	s_add_i32 s34, s34, s35
	s_mul_i32 s35, s36, s30
	s_add_u32 s10, s10, s35
	s_addc_u32 s11, s11, s34
	s_xor_b32 s28, s28, s33
	s_mul_i32 s33, s19, s31
	s_sub_i32 s18, s18, s33
	s_add_i32 s33, s19, 1
	s_sub_i32 s34, s18, s31
	s_cmp_ge_u32 s18, s31
	s_cselect_b32 s19, s33, s19
	s_cselect_b32 s18, s34, s18
	s_add_i32 s33, s19, 1
	s_cmp_ge_u32 s18, s31
	s_load_dwordx2 s[14:15], s[4:5], 0xa8
	s_cselect_b32 s18, s33, s19
	s_xor_b32 s18, s18, s28
	s_sub_i32 s18, s18, s28
	s_mul_i32 s1, s18, s1
	s_ashr_i32 s19, s1, 31
	s_add_u32 s10, s10, s1
	s_waitcnt lgkmcnt(0)
	s_mul_hi_u32 s1, s14, s30
	s_mul_i32 s0, s14, s0
	s_addc_u32 s11, s11, s19
	s_add_i32 s0, s1, s0
	s_mul_i32 s1, s15, s30
	s_add_i32 s0, s0, s1
	s_mul_i32 s1, s14, s30
	v_lshrrev_b32_e32 v5, 3, v0
	s_add_u32 s1, s12, s1
	s_mul_i32 s18, s18, s39
	v_lshl_add_u32 v5, v1, 2, v5
	s_addc_u32 s0, s13, s0
	s_ashr_i32 s13, s18, 31
	v_lshlrev_b32_e32 v39, 2, v0
	v_mul_lo_u32 v6, s9, v5
	s_add_u32 s12, s1, s18
	v_and_b32_e32 v12, 28, v39
	s_addc_u32 s13, s0, s13
	v_lshlrev_b32_e32 v15, 2, v12
	s_movk_i32 s0, 0x90
	v_mad_u32_u24 v40, v5, s0, v15
	s_lshl_b32 s0, s9, 5
	v_add_u32_e32 v8, s0, v6
	v_add_u32_e32 v10, s0, v8
	;; [unrolled: 1-line block ×3, first 2 shown]
	v_mad_u64_u32 v[13:14], s[0:1], v2, s29, v[0:1]
	v_mul_lo_u32 v2, s8, v5
	s_lshl_b32 s0, s8, 5
	v_add_u32_e32 v44, 0x5800, v3
	v_mov_b32_e32 v3, 0x4800
	v_add_u32_e32 v24, s0, v2
	v_add_u32_e32 v26, s0, v24
	;; [unrolled: 1-line block ×3, first 2 shown]
	v_ashrrev_i32_e32 v7, 31, v6
	v_ashrrev_i32_e32 v9, 31, v8
	;; [unrolled: 1-line block ×4, first 2 shown]
	v_lshl_add_u32 v47, v1, 9, v3
	v_ashrrev_i32_e32 v3, 31, v2
	v_ashrrev_i32_e32 v25, 31, v24
	;; [unrolled: 1-line block ×4, first 2 shown]
	v_mbcnt_hi_u32_b32 v32, -1, v4
	v_lshl_or_b32 v48, v5, 7, v15
	s_add_u32 s0, s4, 0xd0
	v_lshlrev_b64 v[14:15], 2, v[6:7]
	v_lshlrev_b64 v[16:17], 2, v[8:9]
	;; [unrolled: 1-line block ×4, first 2 shown]
	v_and_b32_e32 v1, 0x60, v32
	v_lshlrev_b64 v[22:23], 2, v[2:3]
	v_lshlrev_b64 v[24:25], 2, v[24:25]
	;; [unrolled: 1-line block ×4, first 2 shown]
	v_mov_b32_e32 v71, 0
	v_add_u32_e32 v41, 0x1200, v40
	v_add_u32_e32 v42, 0x2400, v40
	;; [unrolled: 1-line block ×3, first 2 shown]
	v_mul_u32_u24_e32 v45, 0x90, v0
	v_add_u32_e32 v49, 0x1000, v48
	v_add_u32_e32 v50, 0x2000, v48
	;; [unrolled: 1-line block ×3, first 2 shown]
	s_addc_u32 s1, s5, 0
	v_mov_b32_e32 v5, 0xfeffffff
	v_lshlrev_b32_e32 v52, 2, v12
	v_add_u32_e32 v33, 32, v1
	v_xor_b32_e32 v38, 16, v32
	v_xor_b32_e32 v37, 8, v32
	;; [unrolled: 1-line block ×5, first 2 shown]
	v_mov_b32_e32 v53, s27
	s_mov_b32 s14, 0x3fb8aa3b
	s_mov_b32 s15, 0xc2ce8ed0
	s_mov_b32 s18, 0x42b17218
	v_mov_b32_e32 v54, 0x7f800000
	s_mov_b32 s19, 0x10001
	v_add_u32_e32 v55, v47, v39
	v_add_u32_e32 v56, 0x400, v39
	v_add_u32_e32 v57, 0x800, v39
	v_add_u32_e32 v58, 0xc00, v39
	v_add_u32_e32 v59, 0x1000, v39
	v_add_u32_e32 v60, 0x1400, v39
	v_add_u32_e32 v61, 0x1800, v39
	v_add_u32_e32 v62, 0x1c00, v39
	v_add_u32_e32 v63, 0x2000, v39
	v_add_u32_e32 v64, 0x2400, v39
	v_add_u32_e32 v65, 0x2800, v39
	v_add_u32_e32 v66, 0x2c00, v39
	v_add_u32_e32 v67, 0x3000, v39
	v_add_u32_e32 v68, 0x3400, v39
	v_add_u32_e32 v69, 0x3800, v39
	v_add_u32_e32 v70, 0x3c00, v39
	v_mov_b32_e32 v72, 0
	v_mov_b32_e32 v6, 0xfeffffff
	;; [unrolled: 1-line block ×4, first 2 shown]
.LBB24_9:                               ; =>This Inner Loop Header: Depth=1
	s_mul_hi_i32 s29, s6, s9
	s_mul_i32 s28, s6, s9
	s_lshl_b64 s[28:29], s[28:29], 2
	s_add_u32 s27, s10, s28
	s_addc_u32 s28, s11, s29
	v_add_co_u32_e32 v1, vcc, s27, v14
	v_mov_b32_e32 v2, s28
	v_addc_co_u32_e32 v2, vcc, v2, v15, vcc
	v_add_co_u32_e32 v1, vcc, v1, v52
	v_addc_co_u32_e32 v2, vcc, 0, v2, vcc
	global_load_dwordx4 v[1:4], v[1:2], off
	v_mov_b32_e32 v74, v11
	v_mov_b32_e32 v73, v6
	;; [unrolled: 1-line block ×5, first 2 shown]
	s_mul_hi_i32 s29, s6, s8
	s_waitcnt vmcnt(0)
	ds_write_b128 v40, v[1:4]
	v_add_co_u32_e32 v1, vcc, s27, v16
	v_mov_b32_e32 v2, s28
	v_addc_co_u32_e32 v2, vcc, v2, v17, vcc
	v_add_co_u32_e32 v1, vcc, v1, v52
	v_addc_co_u32_e32 v2, vcc, 0, v2, vcc
	global_load_dwordx4 v[1:4], v[1:2], off
	s_waitcnt vmcnt(0)
	ds_write_b128 v41, v[1:4]
	v_add_co_u32_e32 v1, vcc, s27, v18
	v_mov_b32_e32 v2, s28
	v_addc_co_u32_e32 v2, vcc, v2, v19, vcc
	v_add_co_u32_e32 v1, vcc, v1, v52
	v_addc_co_u32_e32 v2, vcc, 0, v2, vcc
	global_load_dwordx4 v[1:4], v[1:2], off
	;; [unrolled: 8-line block ×3, first 2 shown]
	v_cmp_lt_i32_e32 vcc, v38, v33
	s_mul_i32 s28, s6, s8
	s_lshl_b64 s[28:29], s[28:29], 2
	s_add_u32 s27, s12, s28
	s_addc_u32 s28, s13, s29
	s_waitcnt vmcnt(0)
	ds_write_b128 v43, v[1:4]
	s_waitcnt lgkmcnt(0)
	s_barrier
	ds_read_b128 v[78:81], v45
	ds_read_b128 v[82:85], v45 offset:4608
	ds_read_b128 v[86:89], v45 offset:9216
	;; [unrolled: 1-line block ×3, first 2 shown]
	ds_read_b128 v[9:12], v44
	ds_read_b128 v[5:8], v44 offset:128
	s_waitcnt lgkmcnt(1)
	;;#ASMSTART
	v_dot2_f32_f16 v77, v78, v9, v77
	;;#ASMEND
	;;#ASMSTART
	v_dot2_f32_f16 v77, v79, v10, v77
	;;#ASMEND
	;; [unrolled: 3-line block ×4, first 2 shown]
	s_waitcnt lgkmcnt(0)
	;;#ASMSTART
	v_dot2_f32_f16 v76, v78, v5, v76
	;;#ASMEND
	;;#ASMSTART
	v_dot2_f32_f16 v76, v79, v6, v76
	;;#ASMEND
	;;#ASMSTART
	v_dot2_f32_f16 v76, v80, v7, v76
	;;#ASMEND
	v_mov_b32_e32 v79, 0
	;;#ASMSTART
	v_dot2_f32_f16 v76, v81, v8, v76
	;;#ASMEND
	;;#ASMSTART
	v_dot2_f32_f16 v79, v82, v9, v79
	;;#ASMEND
	;;#ASMSTART
	v_dot2_f32_f16 v79, v83, v10, v79
	;;#ASMEND
	;;#ASMSTART
	v_dot2_f32_f16 v79, v84, v11, v79
	;;#ASMEND
	v_mov_b32_e32 v78, 0
	;;#ASMSTART
	v_dot2_f32_f16 v79, v85, v12, v79
	;;#ASMEND
	;; [unrolled: 13-line block ×6, first 2 shown]
	;;#ASMSTART
	v_dot2_f32_f16 v9, v1, v5, v9
	;;#ASMEND
	;;#ASMSTART
	v_dot2_f32_f16 v9, v2, v6, v9
	;;#ASMEND
	;; [unrolled: 3-line block ×4, first 2 shown]
	ds_read_b128 v[1:4], v45 offset:16
	ds_read_b128 v[5:8], v45 offset:4624
	;; [unrolled: 1-line block ×6, first 2 shown]
	s_waitcnt lgkmcnt(1)
	;;#ASMSTART
	v_dot2_f32_f16 v77, v1, v91, v77
	;;#ASMEND
	;;#ASMSTART
	v_dot2_f32_f16 v77, v2, v92, v77
	;;#ASMEND
	;;#ASMSTART
	v_dot2_f32_f16 v77, v3, v93, v77
	;;#ASMEND
	;;#ASMSTART
	v_dot2_f32_f16 v77, v4, v94, v77
	;;#ASMEND
	s_waitcnt lgkmcnt(0)
	;;#ASMSTART
	v_dot2_f32_f16 v76, v1, v95, v76
	;;#ASMEND
	;;#ASMSTART
	v_dot2_f32_f16 v76, v2, v96, v76
	;;#ASMEND
	;; [unrolled: 3-line block ×28, first 2 shown]
	ds_read_b128 v[1:4], v45 offset:32
	ds_read_b128 v[5:8], v45 offset:4640
	;; [unrolled: 1-line block ×6, first 2 shown]
	s_waitcnt lgkmcnt(1)
	;;#ASMSTART
	v_dot2_f32_f16 v77, v1, v91, v77
	;;#ASMEND
	;;#ASMSTART
	v_dot2_f32_f16 v77, v2, v92, v77
	;;#ASMEND
	;; [unrolled: 3-line block ×4, first 2 shown]
	s_waitcnt lgkmcnt(0)
	;;#ASMSTART
	v_dot2_f32_f16 v76, v1, v95, v76
	;;#ASMEND
	;;#ASMSTART
	v_dot2_f32_f16 v76, v2, v96, v76
	;;#ASMEND
	;; [unrolled: 3-line block ×28, first 2 shown]
	ds_read_b128 v[1:4], v45 offset:48
	ds_read_b128 v[5:8], v45 offset:4656
	ds_read_b128 v[83:86], v45 offset:9264
	ds_read_b128 v[87:90], v45 offset:13872
	ds_read_b128 v[91:94], v44 offset:48
	ds_read_b128 v[95:98], v44 offset:176
	s_waitcnt lgkmcnt(1)
	;;#ASMSTART
	v_dot2_f32_f16 v77, v1, v91, v77
	;;#ASMEND
	;;#ASMSTART
	v_dot2_f32_f16 v77, v2, v92, v77
	;;#ASMEND
	;; [unrolled: 3-line block ×4, first 2 shown]
	s_waitcnt lgkmcnt(0)
	;;#ASMSTART
	v_dot2_f32_f16 v76, v1, v95, v76
	;;#ASMEND
	;;#ASMSTART
	v_dot2_f32_f16 v76, v2, v96, v76
	;;#ASMEND
	;; [unrolled: 3-line block ×28, first 2 shown]
	ds_read_b128 v[1:4], v45 offset:64
	ds_read_b128 v[5:8], v45 offset:4672
	;; [unrolled: 1-line block ×6, first 2 shown]
	s_waitcnt lgkmcnt(1)
	;;#ASMSTART
	v_dot2_f32_f16 v77, v1, v91, v77
	;;#ASMEND
	;;#ASMSTART
	v_dot2_f32_f16 v77, v2, v92, v77
	;;#ASMEND
	;; [unrolled: 3-line block ×4, first 2 shown]
	s_waitcnt lgkmcnt(0)
	;;#ASMSTART
	v_dot2_f32_f16 v76, v1, v95, v76
	;;#ASMEND
	;;#ASMSTART
	v_dot2_f32_f16 v76, v2, v96, v76
	;;#ASMEND
	;; [unrolled: 3-line block ×28, first 2 shown]
	ds_read_b128 v[1:4], v45 offset:80
	ds_read_b128 v[5:8], v45 offset:4688
	;; [unrolled: 1-line block ×6, first 2 shown]
	s_waitcnt lgkmcnt(1)
	;;#ASMSTART
	v_dot2_f32_f16 v77, v1, v91, v77
	;;#ASMEND
	;;#ASMSTART
	v_dot2_f32_f16 v77, v2, v92, v77
	;;#ASMEND
	;; [unrolled: 3-line block ×4, first 2 shown]
	s_waitcnt lgkmcnt(0)
	;;#ASMSTART
	v_dot2_f32_f16 v76, v1, v95, v76
	;;#ASMEND
	;;#ASMSTART
	v_dot2_f32_f16 v76, v2, v96, v76
	;;#ASMEND
	;; [unrolled: 3-line block ×28, first 2 shown]
	ds_read_b128 v[1:4], v45 offset:96
	ds_read_b128 v[5:8], v45 offset:4704
	;; [unrolled: 1-line block ×6, first 2 shown]
	s_waitcnt lgkmcnt(1)
	;;#ASMSTART
	v_dot2_f32_f16 v77, v1, v91, v77
	;;#ASMEND
	;;#ASMSTART
	v_dot2_f32_f16 v77, v2, v92, v77
	;;#ASMEND
	;; [unrolled: 3-line block ×4, first 2 shown]
	s_waitcnt lgkmcnt(0)
	;;#ASMSTART
	v_dot2_f32_f16 v76, v1, v95, v76
	;;#ASMEND
	;;#ASMSTART
	v_dot2_f32_f16 v76, v2, v96, v76
	;;#ASMEND
	;; [unrolled: 3-line block ×28, first 2 shown]
	ds_read_b128 v[1:4], v45 offset:112
	ds_read_b128 v[5:8], v45 offset:4720
	;; [unrolled: 1-line block ×6, first 2 shown]
	s_waitcnt lgkmcnt(1)
	;;#ASMSTART
	v_dot2_f32_f16 v77, v1, v91, v77
	;;#ASMEND
	;;#ASMSTART
	v_dot2_f32_f16 v77, v2, v92, v77
	;;#ASMEND
	;; [unrolled: 3-line block ×4, first 2 shown]
	s_waitcnt lgkmcnt(0)
	;;#ASMSTART
	v_dot2_f32_f16 v76, v1, v95, v76
	;;#ASMEND
	;;#ASMSTART
	v_dot2_f32_f16 v76, v2, v96, v76
	;;#ASMEND
	;; [unrolled: 3-line block ×15, first 2 shown]
	v_cndmask_b32_e32 v2, v32, v38, vcc
	v_cmp_lt_i32_e32 vcc, v37, v33
	;;#ASMSTART
	v_dot2_f32_f16 v81, v86, v94, v81
	;;#ASMEND
	;;#ASMSTART
	v_dot2_f32_f16 v80, v83, v95, v80
	;;#ASMEND
	v_lshlrev_b32_e32 v3, 2, v2
	v_cndmask_b32_e32 v2, v32, v37, vcc
	v_cmp_lt_i32_e32 vcc, v36, v33
	;;#ASMSTART
	v_dot2_f32_f16 v80, v84, v96, v80
	;;#ASMEND
	v_lshlrev_b32_e32 v4, 2, v2
	v_cndmask_b32_e32 v2, v32, v36, vcc
	v_cmp_lt_i32_e32 vcc, v35, v33
	;;#ASMSTART
	v_dot2_f32_f16 v80, v85, v97, v80
	;;#ASMEND
	v_lshlrev_b32_e32 v6, 2, v2
	v_cndmask_b32_e32 v2, v32, v35, vcc
	v_cmp_lt_i32_e32 vcc, v34, v33
	;;#ASMSTART
	v_dot2_f32_f16 v80, v86, v98, v80
	;;#ASMEND
	;;#ASMSTART
	v_dot2_f32_f16 v82, v87, v91, v82
	;;#ASMEND
	v_add_u32_e32 v1, s6, v13
	v_lshlrev_b32_e32 v7, 2, v2
	v_cndmask_b32_e32 v2, v32, v34, vcc
	;;#ASMSTART
	v_dot2_f32_f16 v82, v88, v92, v82
	;;#ASMEND
	v_lshlrev_b32_e32 v8, 2, v2
	v_ashrrev_i32_e32 v2, 31, v1
	;;#ASMSTART
	v_dot2_f32_f16 v82, v89, v93, v82
	;;#ASMEND
	v_lshlrev_b64 v[1:2], 1, v[1:2]
	;;#ASMSTART
	v_dot2_f32_f16 v82, v90, v94, v82
	;;#ASMEND
	;;#ASMSTART
	v_dot2_f32_f16 v9, v87, v95, v9
	;;#ASMEND
	;; [unrolled: 3-line block ×3, first 2 shown]
	v_add_co_u32_e32 v1, vcc, s26, v1
	;;#ASMSTART
	v_dot2_f32_f16 v9, v89, v97, v9
	;;#ASMEND
	v_addc_co_u32_e32 v2, vcc, v53, v2, vcc
	;;#ASMSTART
	v_dot2_f32_f16 v9, v90, v98, v9
	;;#ASMEND
	global_load_ushort v5, v[1:2], off
	global_load_ushort v12, v[1:2], off offset:64
	s_waitcnt vmcnt(1)
	v_cvt_f32_f16_e32 v10, v5
	s_waitcnt vmcnt(0)
	v_cvt_f32_f16_e32 v12, v12
	v_add_f32_e32 v11, v77, v10
	v_add_f32_e32 v77, v79, v12
	;; [unrolled: 1-line block ×4, first 2 shown]
	v_max3_f32 v5, v75, v5, v79
	global_load_ushort v79, v[1:2], off offset:128
	v_add_f32_e32 v10, v76, v10
	global_load_ushort v1, v[1:2], off offset:192
	v_add_f32_e32 v78, v78, v12
	v_add_f32_e32 v76, 0x40051340, v10
	;; [unrolled: 1-line block ×3, first 2 shown]
	v_max3_f32 v12, v73, v76, v12
	s_waitcnt vmcnt(0)
	s_barrier
	v_cvt_f32_f16_e32 v79, v79
	v_cvt_f32_f16_e32 v1, v1
	v_add_f32_e32 v81, v81, v79
	v_add_f32_e32 v83, 0x40051340, v81
	;; [unrolled: 1-line block ×6, first 2 shown]
	v_max3_f32 v5, v5, v83, v82
	v_add_f32_e32 v79, 0x40051340, v76
	v_add_f32_e32 v9, 0x40051340, v1
	ds_bpermute_b32 v82, v3, v5
	v_max3_f32 v9, v12, v79, v9
	ds_bpermute_b32 v3, v3, v9
	s_waitcnt lgkmcnt(1)
	v_max_f32_e32 v82, v82, v82
	v_max_f32_e32 v5, v5, v82
	s_waitcnt lgkmcnt(0)
	v_max_f32_e32 v3, v3, v3
	ds_bpermute_b32 v82, v4, v5
	v_max_f32_e32 v3, v9, v3
	ds_bpermute_b32 v4, v4, v3
	s_waitcnt lgkmcnt(1)
	v_max_f32_e32 v82, v82, v82
	v_max_f32_e32 v5, v5, v82
	s_waitcnt lgkmcnt(0)
	v_max_f32_e32 v4, v4, v4
	ds_bpermute_b32 v82, v6, v5
	v_max_f32_e32 v3, v3, v4
	;; [unrolled: 8-line block ×4, first 2 shown]
	ds_bpermute_b32 v4, v8, v3
	s_waitcnt lgkmcnt(1)
	v_max_f32_e32 v82, v82, v82
	v_max_f32_e32 v5, v5, v82
	s_waitcnt lgkmcnt(0)
	v_max_f32_e32 v4, v4, v4
	v_max_f32_e32 v6, v3, v4
	v_sub_f32_e32 v4, v11, v5
	v_mul_f32_e32 v7, 0x3fb8aa3b, v4
	v_fma_f32 v8, v4, s14, -v7
	v_rndne_f32_e32 v9, v7
	v_fmac_f32_e32 v8, 0x32a5705f, v4
	v_sub_f32_e32 v7, v7, v9
	v_add_f32_e32 v7, v7, v8
	v_exp_f32_e32 v7, v7
	v_cvt_i32_f32_e32 v8, v9
	v_cmp_ngt_f32_e32 vcc, s15, v4
	v_sub_f32_e32 v3, v75, v5
	v_sub_f32_e32 v2, v2, v5
	v_ldexp_f32 v7, v7, v8
	v_sub_f32_e32 v8, v77, v5
	v_mul_f32_e32 v9, 0x3fb8aa3b, v8
	v_fma_f32 v11, v8, s14, -v9
	v_rndne_f32_e32 v12, v9
	v_fmac_f32_e32 v11, 0x32a5705f, v8
	v_sub_f32_e32 v9, v9, v12
	v_add_f32_e32 v9, v9, v11
	v_exp_f32_e32 v9, v9
	v_cvt_i32_f32_e32 v11, v12
	v_cndmask_b32_e32 v7, 0, v7, vcc
	v_cmp_nlt_f32_e32 vcc, s18, v4
	v_cndmask_b32_e32 v4, v54, v7, vcc
	v_ldexp_f32 v9, v9, v11
	v_cmp_ngt_f32_e32 vcc, s15, v8
	v_cndmask_b32_e32 v9, 0, v9, vcc
	v_cmp_nlt_f32_e32 vcc, s18, v8
	v_cndmask_b32_e32 v8, v54, v9, vcc
	v_sub_f32_e32 v9, v81, v5
	v_mul_f32_e32 v11, 0x3fb8aa3b, v9
	v_fma_f32 v12, v9, s14, -v11
	v_rndne_f32_e32 v75, v11
	v_fmac_f32_e32 v12, 0x32a5705f, v9
	v_sub_f32_e32 v11, v11, v75
	v_add_f32_e32 v11, v11, v12
	v_exp_f32_e32 v11, v11
	v_cvt_i32_f32_e32 v12, v75
	v_cmp_ngt_f32_e32 vcc, s15, v9
	v_cvt_f16_f32_e32 v7, v4
	v_add_f32_e32 v4, v4, v8
	v_ldexp_f32 v11, v11, v12
	v_cndmask_b32_e32 v11, 0, v11, vcc
	v_cmp_nlt_f32_e32 vcc, s18, v9
	v_cndmask_b32_e32 v9, v54, v11, vcc
	v_mul_f32_e32 v11, 0x3fb8aa3b, v2
	v_fma_f32 v12, v2, s14, -v11
	v_rndne_f32_e32 v75, v11
	v_fmac_f32_e32 v12, 0x32a5705f, v2
	v_sub_f32_e32 v11, v11, v75
	v_add_f32_e32 v11, v11, v12
	v_exp_f32_e32 v11, v11
	v_cvt_i32_f32_e32 v12, v75
	v_cmp_ngt_f32_e32 vcc, s15, v2
	v_add_f32_e32 v4, v9, v4
	v_sub_f32_e32 v1, v1, v6
	v_ldexp_f32 v11, v11, v12
	v_cndmask_b32_e32 v11, 0, v11, vcc
	v_cmp_nlt_f32_e32 vcc, s18, v2
	v_cndmask_b32_e32 v2, v54, v11, vcc
	v_add_f32_e32 v11, v2, v4
	v_mul_f32_e32 v4, 0x3fb8aa3b, v3
	v_fma_f32 v12, v3, s14, -v4
	v_rndne_f32_e32 v75, v4
	v_fmac_f32_e32 v12, 0x32a5705f, v3
	v_sub_f32_e32 v4, v4, v75
	v_add_f32_e32 v4, v4, v12
	v_exp_f32_e32 v4, v4
	v_cvt_i32_f32_e32 v12, v75
	v_cmp_ngt_f32_e32 vcc, s15, v3
	v_cvt_f16_f32_e32 v8, v8
	v_cvt_f16_f32_e32 v9, v9
	v_ldexp_f32 v4, v4, v12
	v_cndmask_b32_e32 v4, 0, v4, vcc
	v_cmp_nlt_f32_e32 vcc, s18, v3
	v_cndmask_b32_e32 v3, v54, v4, vcc
	v_fmac_f32_e32 v11, v74, v3
	v_cvt_f16_f32_e32 v3, v3
	v_sub_f32_e32 v4, v10, v6
	v_mul_f32_e32 v10, 0x3fb8aa3b, v4
	v_rndne_f32_e32 v74, v10
	v_mul_u32_u24_e32 v12, 0x10001, v3
	v_sub_f32_e32 v3, v73, v6
	v_fma_f32 v73, v4, s14, -v10
	v_fmac_f32_e32 v73, 0x32a5705f, v4
	v_sub_f32_e32 v10, v10, v74
	v_add_f32_e32 v10, v10, v73
	v_exp_f32_e32 v10, v10
	v_cvt_i32_f32_e32 v73, v74
	v_cmp_ngt_f32_e32 vcc, s15, v4
	v_cvt_f16_f32_e32 v2, v2
	v_ldexp_f32 v10, v10, v73
	v_sub_f32_e32 v73, v78, v6
	v_mul_f32_e32 v74, 0x3fb8aa3b, v73
	v_fma_f32 v75, v73, s14, -v74
	v_rndne_f32_e32 v77, v74
	v_fmac_f32_e32 v75, 0x32a5705f, v73
	v_sub_f32_e32 v74, v74, v77
	v_add_f32_e32 v74, v74, v75
	v_exp_f32_e32 v74, v74
	v_cvt_i32_f32_e32 v75, v77
	v_cndmask_b32_e32 v10, 0, v10, vcc
	v_cmp_nlt_f32_e32 vcc, s18, v4
	v_cndmask_b32_e32 v4, v54, v10, vcc
	v_ldexp_f32 v74, v74, v75
	v_cmp_ngt_f32_e32 vcc, s15, v73
	v_cndmask_b32_e32 v74, 0, v74, vcc
	v_cmp_nlt_f32_e32 vcc, s18, v73
	v_cndmask_b32_e32 v73, v54, v74, vcc
	v_cvt_f16_f32_e32 v10, v4
	v_add_f32_e32 v4, v4, v73
	v_cvt_f16_f32_e32 v74, v73
	v_sub_f32_e32 v73, v76, v6
	v_mul_f32_e32 v75, 0x3fb8aa3b, v73
	v_fma_f32 v76, v73, s14, -v75
	v_rndne_f32_e32 v77, v75
	v_fmac_f32_e32 v76, 0x32a5705f, v73
	v_sub_f32_e32 v75, v75, v77
	v_add_f32_e32 v75, v75, v76
	v_exp_f32_e32 v75, v75
	v_cvt_i32_f32_e32 v76, v77
	v_cmp_ngt_f32_e32 vcc, s15, v73
	v_ldexp_f32 v75, v75, v76
	v_cndmask_b32_e32 v75, 0, v75, vcc
	v_cmp_nlt_f32_e32 vcc, s18, v73
	v_cndmask_b32_e32 v73, v54, v75, vcc
	v_add_f32_e32 v4, v73, v4
	v_cvt_f16_f32_e32 v75, v73
	v_mul_f32_e32 v73, 0x3fb8aa3b, v1
	v_fma_f32 v76, v1, s14, -v73
	v_rndne_f32_e32 v77, v73
	v_fmac_f32_e32 v76, 0x32a5705f, v1
	v_sub_f32_e32 v73, v73, v77
	v_add_f32_e32 v73, v73, v76
	v_exp_f32_e32 v73, v73
	v_cvt_i32_f32_e32 v76, v77
	v_cmp_ngt_f32_e32 vcc, s15, v1
	v_ldexp_f32 v73, v73, v76
	v_cndmask_b32_e32 v73, 0, v73, vcc
	v_cmp_nlt_f32_e32 vcc, s18, v1
	v_cndmask_b32_e32 v1, v54, v73, vcc
	v_mul_f32_e32 v73, 0x3fb8aa3b, v3
	v_fma_f32 v76, v3, s14, -v73
	v_rndne_f32_e32 v77, v73
	v_fmac_f32_e32 v76, 0x32a5705f, v3
	v_sub_f32_e32 v73, v73, v77
	v_add_f32_e32 v73, v73, v76
	v_exp_f32_e32 v73, v73
	v_cvt_i32_f32_e32 v76, v77
	v_cmp_ngt_f32_e32 vcc, s15, v3
	v_add_f32_e32 v4, v1, v4
	v_cvt_f16_f32_e32 v1, v1
	v_ldexp_f32 v73, v73, v76
	v_cndmask_b32_e32 v73, 0, v73, vcc
	v_cmp_nlt_f32_e32 vcc, s18, v3
	v_cndmask_b32_e32 v3, v54, v73, vcc
	v_mov_b32_e32 v73, v46
	v_mov_b32_e32 v46, v4
	v_fmac_f32_e32 v46, v73, v3
	v_cvt_f16_f32_e32 v3, v3
	v_pack_b32_f16 v4, v8, v74
	v_pack_b32_f16 v1, v2, v1
	v_mov_b32_e32 v2, s28
	v_mul_u32_u24_e32 v73, 0x10001, v3
	v_pack_b32_f16 v3, v7, v10
	ds_write2_b32 v55, v3, v4 offset1:32
	v_pack_b32_f16 v3, v9, v75
	ds_write2_b32 v55, v3, v1 offset0:64 offset1:96
	v_add_co_u32_e32 v1, vcc, s27, v22
	v_addc_co_u32_e32 v2, vcc, v2, v23, vcc
	v_add_co_u32_e32 v1, vcc, v1, v52
	v_addc_co_u32_e32 v2, vcc, 0, v2, vcc
	v_add_co_u32_e32 v3, vcc, s27, v24
	v_mov_b32_e32 v4, s28
	v_addc_co_u32_e32 v4, vcc, v4, v25, vcc
	v_add_co_u32_e32 v3, vcc, v3, v52
	v_addc_co_u32_e32 v4, vcc, 0, v4, vcc
	global_load_dwordx4 v[74:77], v[1:2], off
	v_add_co_u32_e32 v7, vcc, s27, v26
	global_load_dwordx4 v[1:4], v[3:4], off
	v_mov_b32_e32 v8, s28
	v_addc_co_u32_e32 v8, vcc, v8, v27, vcc
	v_add_co_u32_e32 v7, vcc, v7, v52
	v_addc_co_u32_e32 v8, vcc, 0, v8, vcc
	v_add_co_u32_e32 v9, vcc, s27, v28
	v_mov_b32_e32 v10, s28
	v_addc_co_u32_e32 v10, vcc, v10, v29, vcc
	v_add_co_u32_e32 v9, vcc, v9, v52
	v_addc_co_u32_e32 v10, vcc, 0, v10, vcc
	s_waitcnt vmcnt(1)
	ds_write_b128 v48, v[74:77]
	s_waitcnt vmcnt(0)
	ds_write_b128 v49, v[1:4]
	global_load_dwordx4 v[1:4], v[7:8], off
	s_waitcnt vmcnt(0)
	ds_write_b128 v50, v[1:4]
	global_load_dwordx4 v[1:4], v[9:10], off
	s_waitcnt vmcnt(0)
	ds_write_b128 v51, v[1:4]
	s_waitcnt lgkmcnt(0)
	s_barrier
	ds_read2_b32 v[7:8], v39 offset1:32
	ds_read_b128 v[1:4], v47
	s_waitcnt lgkmcnt(0)
	v_mul_u32_u24_sdwa v9, v1, s19 dst_sel:DWORD dst_unused:UNUSED_PAD src0_sel:WORD_0 src1_sel:DWORD
	v_mul_u32_u24_sdwa v1, v1, s19 dst_sel:DWORD dst_unused:UNUSED_PAD src0_sel:WORD_1 src1_sel:DWORD
	v_pk_mul_f16 v9, v7, v9
	v_pk_mul_f16 v1, v7, v1
	v_pk_fma_f16 v9, v72, v12, v9
	v_pk_fma_f16 v1, v71, v73, v1
	v_mul_u32_u24_sdwa v7, v2, s19 dst_sel:DWORD dst_unused:UNUSED_PAD src0_sel:WORD_0 src1_sel:DWORD
	v_mul_u32_u24_sdwa v2, v2, s19 dst_sel:DWORD dst_unused:UNUSED_PAD src0_sel:WORD_1 src1_sel:DWORD
	v_pk_fma_f16 v7, v8, v7, v9
	v_pk_fma_f16 v8, v8, v2, v1
	ds_read2_b32 v[1:2], v39 offset0:64 offset1:96
	v_mul_u32_u24_sdwa v9, v3, s19 dst_sel:DWORD dst_unused:UNUSED_PAD src0_sel:WORD_0 src1_sel:DWORD
	v_mul_u32_u24_sdwa v3, v3, s19 dst_sel:DWORD dst_unused:UNUSED_PAD src0_sel:WORD_1 src1_sel:DWORD
	s_waitcnt lgkmcnt(0)
	v_pk_fma_f16 v7, v1, v9, v7
	v_pk_fma_f16 v1, v1, v3, v8
	v_mul_u32_u24_sdwa v3, v4, s19 dst_sel:DWORD dst_unused:UNUSED_PAD src0_sel:WORD_0 src1_sel:DWORD
	v_mul_u32_u24_sdwa v4, v4, s19 dst_sel:DWORD dst_unused:UNUSED_PAD src0_sel:WORD_1 src1_sel:DWORD
	v_pk_fma_f16 v9, v2, v3, v7
	v_pk_fma_f16 v10, v2, v4, v1
	ds_read2_b32 v[7:8], v39 offset0:128 offset1:160
	ds_read_b128 v[1:4], v47 offset:16
	s_waitcnt lgkmcnt(0)
	v_mul_u32_u24_sdwa v12, v1, s19 dst_sel:DWORD dst_unused:UNUSED_PAD src0_sel:WORD_0 src1_sel:DWORD
	v_mul_u32_u24_sdwa v1, v1, s19 dst_sel:DWORD dst_unused:UNUSED_PAD src0_sel:WORD_1 src1_sel:DWORD
	v_pk_fma_f16 v9, v7, v12, v9
	v_pk_fma_f16 v1, v7, v1, v10
	v_mul_u32_u24_sdwa v7, v2, s19 dst_sel:DWORD dst_unused:UNUSED_PAD src0_sel:WORD_0 src1_sel:DWORD
	v_mul_u32_u24_sdwa v2, v2, s19 dst_sel:DWORD dst_unused:UNUSED_PAD src0_sel:WORD_1 src1_sel:DWORD
	v_pk_fma_f16 v7, v8, v7, v9
	v_pk_fma_f16 v8, v8, v2, v1
	ds_read2_b32 v[1:2], v39 offset0:192 offset1:224
	v_mul_u32_u24_sdwa v9, v3, s19 dst_sel:DWORD dst_unused:UNUSED_PAD src0_sel:WORD_0 src1_sel:DWORD
	v_mul_u32_u24_sdwa v3, v3, s19 dst_sel:DWORD dst_unused:UNUSED_PAD src0_sel:WORD_1 src1_sel:DWORD
	s_waitcnt lgkmcnt(0)
	v_pk_fma_f16 v7, v1, v9, v7
	v_pk_fma_f16 v1, v1, v3, v8
	v_mul_u32_u24_sdwa v3, v4, s19 dst_sel:DWORD dst_unused:UNUSED_PAD src0_sel:WORD_0 src1_sel:DWORD
	v_mul_u32_u24_sdwa v4, v4, s19 dst_sel:DWORD dst_unused:UNUSED_PAD src0_sel:WORD_1 src1_sel:DWORD
	v_pk_fma_f16 v9, v2, v3, v7
	v_pk_fma_f16 v10, v2, v4, v1
	ds_read2_b32 v[7:8], v56 offset1:32
	ds_read_b128 v[1:4], v47 offset:32
	s_waitcnt lgkmcnt(0)
	v_mul_u32_u24_sdwa v12, v1, s19 dst_sel:DWORD dst_unused:UNUSED_PAD src0_sel:WORD_0 src1_sel:DWORD
	v_mul_u32_u24_sdwa v1, v1, s19 dst_sel:DWORD dst_unused:UNUSED_PAD src0_sel:WORD_1 src1_sel:DWORD
	v_pk_fma_f16 v9, v7, v12, v9
	v_pk_fma_f16 v1, v7, v1, v10
	v_mul_u32_u24_sdwa v7, v2, s19 dst_sel:DWORD dst_unused:UNUSED_PAD src0_sel:WORD_0 src1_sel:DWORD
	v_mul_u32_u24_sdwa v2, v2, s19 dst_sel:DWORD dst_unused:UNUSED_PAD src0_sel:WORD_1 src1_sel:DWORD
	v_pk_fma_f16 v7, v8, v7, v9
	v_pk_fma_f16 v8, v8, v2, v1
	ds_read2_b32 v[1:2], v56 offset0:64 offset1:96
	v_mul_u32_u24_sdwa v9, v3, s19 dst_sel:DWORD dst_unused:UNUSED_PAD src0_sel:WORD_0 src1_sel:DWORD
	v_mul_u32_u24_sdwa v3, v3, s19 dst_sel:DWORD dst_unused:UNUSED_PAD src0_sel:WORD_1 src1_sel:DWORD
	s_waitcnt lgkmcnt(0)
	v_pk_fma_f16 v7, v1, v9, v7
	v_pk_fma_f16 v1, v1, v3, v8
	v_mul_u32_u24_sdwa v3, v4, s19 dst_sel:DWORD dst_unused:UNUSED_PAD src0_sel:WORD_0 src1_sel:DWORD
	v_mul_u32_u24_sdwa v4, v4, s19 dst_sel:DWORD dst_unused:UNUSED_PAD src0_sel:WORD_1 src1_sel:DWORD
	v_pk_fma_f16 v9, v2, v3, v7
	v_pk_fma_f16 v10, v2, v4, v1
	ds_read2_b32 v[7:8], v56 offset0:128 offset1:160
	ds_read_b128 v[1:4], v47 offset:48
	s_waitcnt lgkmcnt(0)
	v_mul_u32_u24_sdwa v12, v1, s19 dst_sel:DWORD dst_unused:UNUSED_PAD src0_sel:WORD_0 src1_sel:DWORD
	v_mul_u32_u24_sdwa v1, v1, s19 dst_sel:DWORD dst_unused:UNUSED_PAD src0_sel:WORD_1 src1_sel:DWORD
	v_pk_fma_f16 v9, v7, v12, v9
	v_pk_fma_f16 v1, v7, v1, v10
	v_mul_u32_u24_sdwa v7, v2, s19 dst_sel:DWORD dst_unused:UNUSED_PAD src0_sel:WORD_0 src1_sel:DWORD
	v_mul_u32_u24_sdwa v2, v2, s19 dst_sel:DWORD dst_unused:UNUSED_PAD src0_sel:WORD_1 src1_sel:DWORD
	v_pk_fma_f16 v7, v8, v7, v9
	v_pk_fma_f16 v8, v8, v2, v1
	ds_read2_b32 v[1:2], v56 offset0:192 offset1:224
	v_mul_u32_u24_sdwa v9, v3, s19 dst_sel:DWORD dst_unused:UNUSED_PAD src0_sel:WORD_0 src1_sel:DWORD
	v_mul_u32_u24_sdwa v3, v3, s19 dst_sel:DWORD dst_unused:UNUSED_PAD src0_sel:WORD_1 src1_sel:DWORD
	s_waitcnt lgkmcnt(0)
	v_pk_fma_f16 v7, v1, v9, v7
	v_pk_fma_f16 v1, v1, v3, v8
	v_mul_u32_u24_sdwa v3, v4, s19 dst_sel:DWORD dst_unused:UNUSED_PAD src0_sel:WORD_0 src1_sel:DWORD
	v_mul_u32_u24_sdwa v4, v4, s19 dst_sel:DWORD dst_unused:UNUSED_PAD src0_sel:WORD_1 src1_sel:DWORD
	v_pk_fma_f16 v9, v2, v3, v7
	v_pk_fma_f16 v10, v2, v4, v1
	ds_read2_b32 v[7:8], v57 offset1:32
	ds_read_b128 v[1:4], v47 offset:64
	s_waitcnt lgkmcnt(0)
	v_mul_u32_u24_sdwa v12, v1, s19 dst_sel:DWORD dst_unused:UNUSED_PAD src0_sel:WORD_0 src1_sel:DWORD
	v_mul_u32_u24_sdwa v1, v1, s19 dst_sel:DWORD dst_unused:UNUSED_PAD src0_sel:WORD_1 src1_sel:DWORD
	;; [unrolled: 42-line block ×15, first 2 shown]
	v_pk_fma_f16 v9, v7, v12, v9
	v_pk_fma_f16 v1, v7, v1, v10
	v_mul_u32_u24_sdwa v7, v2, s19 dst_sel:DWORD dst_unused:UNUSED_PAD src0_sel:WORD_0 src1_sel:DWORD
	v_mul_u32_u24_sdwa v2, v2, s19 dst_sel:DWORD dst_unused:UNUSED_PAD src0_sel:WORD_1 src1_sel:DWORD
	v_pk_fma_f16 v7, v8, v7, v9
	v_pk_fma_f16 v8, v8, v2, v1
	ds_read2_b32 v[1:2], v70 offset0:64 offset1:96
	v_mul_u32_u24_sdwa v9, v3, s19 dst_sel:DWORD dst_unused:UNUSED_PAD src0_sel:WORD_0 src1_sel:DWORD
	v_mul_u32_u24_sdwa v3, v3, s19 dst_sel:DWORD dst_unused:UNUSED_PAD src0_sel:WORD_1 src1_sel:DWORD
	s_waitcnt lgkmcnt(0)
	v_pk_fma_f16 v7, v1, v9, v7
	v_pk_fma_f16 v1, v1, v3, v8
	v_mul_u32_u24_sdwa v3, v4, s19 dst_sel:DWORD dst_unused:UNUSED_PAD src0_sel:WORD_0 src1_sel:DWORD
	v_mul_u32_u24_sdwa v4, v4, s19 dst_sel:DWORD dst_unused:UNUSED_PAD src0_sel:WORD_1 src1_sel:DWORD
	v_pk_fma_f16 v9, v2, v3, v7
	v_pk_fma_f16 v10, v2, v4, v1
	ds_read2_b32 v[7:8], v70 offset0:128 offset1:160
	ds_read_b128 v[1:4], v47 offset:496
	s_waitcnt lgkmcnt(0)
	v_mul_u32_u24_sdwa v12, v1, s19 dst_sel:DWORD dst_unused:UNUSED_PAD src0_sel:WORD_0 src1_sel:DWORD
	v_mul_u32_u24_sdwa v1, v1, s19 dst_sel:DWORD dst_unused:UNUSED_PAD src0_sel:WORD_1 src1_sel:DWORD
	v_pk_fma_f16 v9, v7, v12, v9
	v_pk_fma_f16 v1, v7, v1, v10
	v_mul_u32_u24_sdwa v7, v2, s19 dst_sel:DWORD dst_unused:UNUSED_PAD src0_sel:WORD_0 src1_sel:DWORD
	v_mul_u32_u24_sdwa v2, v2, s19 dst_sel:DWORD dst_unused:UNUSED_PAD src0_sel:WORD_1 src1_sel:DWORD
	v_pk_fma_f16 v7, v8, v7, v9
	v_pk_fma_f16 v8, v8, v2, v1
	ds_read2_b32 v[1:2], v70 offset0:192 offset1:224
	s_waitcnt lgkmcnt(0)
	s_barrier
	s_load_dword s27, s[0:1], 0x4
	v_mul_u32_u24_sdwa v9, v3, s19 dst_sel:DWORD dst_unused:UNUSED_PAD src0_sel:WORD_0 src1_sel:DWORD
	v_mul_u32_u24_sdwa v3, v3, s19 dst_sel:DWORD dst_unused:UNUSED_PAD src0_sel:WORD_1 src1_sel:DWORD
	v_pk_fma_f16 v7, v1, v9, v7
	v_pk_fma_f16 v1, v1, v3, v8
	s_waitcnt lgkmcnt(0)
	s_lshl_b32 s27, s27, 7
	v_mul_u32_u24_sdwa v3, v4, s19 dst_sel:DWORD dst_unused:UNUSED_PAD src0_sel:WORD_0 src1_sel:DWORD
	v_mul_u32_u24_sdwa v4, v4, s19 dst_sel:DWORD dst_unused:UNUSED_PAD src0_sel:WORD_1 src1_sel:DWORD
	s_add_i32 s6, s27, s6
	v_pk_fma_f16 v72, v2, v3, v7
	v_pk_fma_f16 v71, v2, v4, v1
	s_cmp_ge_i32 s6, s24
	s_cbranch_scc0 .LBB24_9
.LBB24_10:
	v_cmp_lt_i32_e32 vcc, v38, v33
	v_cndmask_b32_e32 v1, v32, v38, vcc
	v_lshlrev_b32_e32 v1, 2, v1
	ds_bpermute_b32 v2, v1, v11
	ds_bpermute_b32 v1, v1, v46
	v_cmp_lt_i32_e32 vcc, v37, v33
	v_cndmask_b32_e32 v3, v32, v37, vcc
	v_lshlrev_b32_e32 v3, 2, v3
	s_waitcnt lgkmcnt(1)
	v_add_f32_e32 v2, v11, v2
	s_waitcnt lgkmcnt(0)
	v_add_f32_e32 v1, v46, v1
	ds_bpermute_b32 v4, v3, v2
	ds_bpermute_b32 v3, v3, v1
	v_cmp_lt_i32_e32 vcc, v36, v33
	v_cndmask_b32_e32 v8, v32, v36, vcc
	v_lshlrev_b32_e32 v8, 2, v8
	s_waitcnt lgkmcnt(1)
	v_add_f32_e32 v2, v2, v4
	s_waitcnt lgkmcnt(0)
	v_add_f32_e32 v1, v1, v3
	;; [unrolled: 9-line block ×4, first 2 shown]
	ds_bpermute_b32 v4, v8, v2
	ds_bpermute_b32 v8, v8, v3
	s_cmp_lg_u64 s[16:17], 0
	s_cselect_b64 s[0:1], -1, 0
	s_cmp_eq_u32 s7, 0
	s_cselect_b64 s[8:9], -1, 0
	s_and_b64 s[0:1], s[8:9], s[0:1]
	v_lshlrev_b32_e32 v7, 1, v0
	s_waitcnt lgkmcnt(1)
	v_add_f32_e32 v1, v2, v4
	s_waitcnt lgkmcnt(0)
	v_add_f32_e32 v2, v3, v8
	s_and_b64 vcc, exec, s[0:1]
	s_cbranch_vccz .LBB24_13
; %bb.11:
	v_add_u32_e32 v3, s25, v31
	v_ashrrev_i32_e32 v4, 31, v3
	v_lshlrev_b64 v[3:4], 2, v[3:4]
	v_mov_b32_e32 v8, s17
	v_add_co_u32_e32 v3, vcc, s16, v3
	v_addc_co_u32_e32 v4, vcc, v8, v4, vcc
	global_load_dwordx2 v[3:4], v[3:4], off
	v_max_f32_e32 v8, v5, v5
	v_max_f32_e32 v9, v6, v6
	s_mov_b32 s0, 0x3fb8aa3b
	s_mov_b32 s1, 0xc2ce8ed0
	;; [unrolled: 1-line block ×3, first 2 shown]
	v_mov_b32_e32 v10, 0x7f800000
	s_waitcnt vmcnt(0)
	v_max_f32_e32 v11, v3, v3
	v_max_f32_e32 v12, v4, v4
	;; [unrolled: 1-line block ×4, first 2 shown]
	v_sub_f32_e32 v11, v5, v8
	v_sub_f32_e32 v12, v6, v9
	v_mov_b32_e32 v5, v8
	v_sub_f32_e32 v3, v3, v8
	v_mov_b32_e32 v6, v9
	v_mul_f32_e32 v8, 0x3fb8aa3b, v11
	v_sub_f32_e32 v4, v4, v9
	v_mul_f32_e32 v9, 0x3fb8aa3b, v3
	v_fma_f32 v15, v11, s0, -v8
	v_rndne_f32_e32 v16, v8
	v_mul_f32_e32 v13, 0x3fb8aa3b, v12
	v_fma_f32 v17, v3, s0, -v9
	v_rndne_f32_e32 v18, v9
	v_fmac_f32_e32 v15, 0x32a5705f, v11
	v_sub_f32_e32 v8, v8, v16
	v_mul_f32_e32 v14, 0x3fb8aa3b, v4
	v_fma_f32 v19, v12, s0, -v13
	v_rndne_f32_e32 v20, v13
	v_fmac_f32_e32 v17, 0x32a5705f, v3
	v_sub_f32_e32 v9, v9, v18
	v_add_f32_e32 v8, v8, v15
	v_fma_f32 v21, v4, s0, -v14
	v_rndne_f32_e32 v22, v14
	v_cvt_i32_f32_e32 v16, v16
	v_fmac_f32_e32 v19, 0x32a5705f, v12
	v_sub_f32_e32 v13, v13, v20
	v_add_f32_e32 v9, v9, v17
	v_exp_f32_e32 v8, v8
	v_cvt_i32_f32_e32 v18, v18
	v_fmac_f32_e32 v21, 0x32a5705f, v4
	v_sub_f32_e32 v14, v14, v22
	v_add_f32_e32 v13, v13, v19
	v_exp_f32_e32 v9, v9
	v_cvt_i32_f32_e32 v20, v20
	v_add_f32_e32 v14, v14, v21
	v_exp_f32_e32 v13, v13
	v_cvt_i32_f32_e32 v22, v22
	v_exp_f32_e32 v14, v14
	v_ldexp_f32 v8, v8, v16
	v_cmp_ngt_f32_e32 vcc, s1, v11
	v_ldexp_f32 v9, v9, v18
	v_cndmask_b32_e32 v8, 0, v8, vcc
	v_cmp_ngt_f32_e32 vcc, s1, v3
	v_ldexp_f32 v13, v13, v20
	v_cndmask_b32_e32 v9, 0, v9, vcc
	;; [unrolled: 3-line block ×3, first 2 shown]
	v_cmp_ngt_f32_e32 vcc, s1, v4
	v_cndmask_b32_e32 v14, 0, v14, vcc
	v_cmp_nlt_f32_e32 vcc, s6, v11
	v_cndmask_b32_e32 v8, v10, v8, vcc
	v_cmp_nlt_f32_e32 vcc, s6, v3
	;; [unrolled: 2-line block ×4, first 2 shown]
	v_cndmask_b32_e32 v4, v10, v14, vcc
	v_fmac_f32_e32 v3, v1, v8
	v_cvt_f16_f32_e32 v8, v8
	v_cvt_f16_f32_e32 v10, v9
	v_fmac_f32_e32 v4, v2, v9
	v_mov_b32_e32 v1, v3
	v_mul_u32_u24_e32 v2, 0x10001, v8
	v_mul_u32_u24_e32 v8, 0x10001, v10
	v_pk_mul_f16 v72, v72, v2
	v_pk_mul_f16 v71, v71, v8
	v_mov_b32_e32 v2, v4
	v_cmp_gt_i32_e32 vcc, s2, v30
	s_and_saveexec_b64 s[0:1], vcc
	s_cbranch_execnz .LBB24_14
.LBB24_12:
	s_endpgm
.LBB24_13:
	v_mov_b32_e32 v4, v2
	v_mov_b32_e32 v3, v1
	v_cmp_gt_i32_e32 vcc, s2, v30
	s_and_saveexec_b64 s[0:1], vcc
	s_cbranch_execz .LBB24_12
.LBB24_14:
	s_load_dword s6, s[4:5], 0xd4
	v_mov_b32_e32 v8, 1.0
	s_waitcnt lgkmcnt(0)
	s_cmp_lg_u32 s6, 1
	s_cselect_b64 s[0:1], -1, 0
	s_cmp_eq_u32 s6, 1
	s_cselect_b64 s[4:5], -1, 0
	s_and_b64 vcc, exec, s[0:1]
	s_cbranch_vccnz .LBB24_16
; %bb.15:
	v_div_scale_f32 v8, s[8:9], v1, v1, 1.0
	v_div_scale_f32 v9, vcc, 1.0, v1, 1.0
	v_rcp_f32_e32 v10, v8
	v_fma_f32 v11, -v8, v10, 1.0
	v_fmac_f32_e32 v10, v11, v10
	v_mul_f32_e32 v11, v9, v10
	v_fma_f32 v12, -v8, v11, v9
	v_fmac_f32_e32 v11, v12, v10
	v_fma_f32 v8, -v8, v11, v9
	v_div_fmas_f32 v8, v8, v10, v11
	v_div_fixup_f32 v8, v8, v1, 1.0
.LBB24_16:
	s_mul_i32 s30, s30, s2
	v_add_u32_e32 v1, s30, v30
	v_mul_lo_u32 v1, v1, s3
	v_cmp_eq_u32_e32 vcc, 0, v0
	v_cvt_f32_f16_e32 v0, v72
	v_cvt_f32_f16_sdwa v10, v72 dst_sel:DWORD dst_unused:UNUSED_PAD src0_sel:WORD_1
	v_add3_u32 v1, s25, v31, v1
	v_mul_lo_u32 v1, s6, v1
	v_mul_f32_e32 v9, v8, v0
	v_mov_b32_e32 v12, 0
	s_and_b64 s[0:1], vcc, s[0:1]
	v_add_u32_e32 v0, s7, v1
	v_lshl_add_u32 v11, v0, 6, v7
	v_lshlrev_b64 v[11:12], 2, v[11:12]
	v_mov_b32_e32 v1, s21
	v_add_co_u32_e32 v11, vcc, s20, v11
	v_mul_f32_e32 v10, v8, v10
	v_addc_co_u32_e32 v12, vcc, v1, v12, vcc
	global_store_dwordx2 v[11:12], v[9:10], off
	s_and_saveexec_b64 s[2:3], s[0:1]
	s_cbranch_execz .LBB24_18
; %bb.17:
	v_ashrrev_i32_e32 v1, 31, v0
	v_lshlrev_b64 v[8:9], 3, v[0:1]
	v_mov_b32_e32 v1, s23
	v_add_co_u32_e32 v8, vcc, s22, v8
	v_addc_co_u32_e32 v9, vcc, v1, v9, vcc
	v_mov_b32_e32 v10, v5
	v_mov_b32_e32 v11, v3
	global_store_dwordx2 v[8:9], v[10:11], off
.LBB24_18:
	s_or_b64 exec, exec, s[2:3]
	s_andn2_b64 vcc, exec, s[4:5]
	v_mov_b32_e32 v1, 1.0
	s_cbranch_vccnz .LBB24_20
; %bb.19:
	v_div_scale_f32 v1, s[2:3], v2, v2, 1.0
	v_div_scale_f32 v3, vcc, 1.0, v2, 1.0
	v_rcp_f32_e32 v5, v1
	v_fma_f32 v8, -v1, v5, 1.0
	v_fmac_f32_e32 v5, v8, v5
	v_mul_f32_e32 v8, v3, v5
	v_fma_f32 v9, -v1, v8, v3
	v_fmac_f32_e32 v8, v9, v5
	v_fma_f32 v1, -v1, v8, v3
	v_div_fmas_f32 v1, v1, v5, v8
	v_div_fixup_f32 v1, v1, v2, 1.0
.LBB24_20:
	v_cvt_f32_f16_e32 v2, v71
	v_cvt_f32_f16_sdwa v3, v71 dst_sel:DWORD dst_unused:UNUSED_PAD src0_sel:WORD_1
	v_add_u32_e32 v0, s6, v0
	v_lshl_add_u32 v7, v0, 6, v7
	v_mov_b32_e32 v8, 0
	v_lshlrev_b64 v[7:8], 2, v[7:8]
	v_mul_f32_e32 v2, v1, v2
	v_mul_f32_e32 v3, v1, v3
	v_mov_b32_e32 v1, s21
	v_add_co_u32_e32 v7, vcc, s20, v7
	v_addc_co_u32_e32 v8, vcc, v1, v8, vcc
	global_store_dwordx2 v[7:8], v[2:3], off
	s_and_b64 exec, exec, s[0:1]
	s_cbranch_execz .LBB24_12
; %bb.21:
	v_ashrrev_i32_e32 v1, 31, v0
	v_lshlrev_b64 v[0:1], 3, v[0:1]
	v_mov_b32_e32 v2, s23
	v_add_co_u32_e32 v0, vcc, s22, v0
	v_addc_co_u32_e32 v1, vcc, v2, v1, vcc
	v_mov_b32_e32 v3, v6
	global_store_dwordx2 v[0:1], v[3:4], off
	s_endpgm
	.section	.rodata,"a",@progbits
	.p2align	6, 0x0
	.amdhsa_kernel _ZL15flash_attn_tileILi64ELi64ELi4ELi4ELb0EEvPKcS1_S1_S1_S1_PKiPfP15HIP_vector_typeIfLj2EEffffjfiS5_IjLj3EEiiiiiiiiiiiliiliiiiil
		.amdhsa_group_segment_fixed_size 24576
		.amdhsa_private_segment_fixed_size 0
		.amdhsa_kernarg_size 464
		.amdhsa_user_sgpr_count 6
		.amdhsa_user_sgpr_private_segment_buffer 1
		.amdhsa_user_sgpr_dispatch_ptr 0
		.amdhsa_user_sgpr_queue_ptr 0
		.amdhsa_user_sgpr_kernarg_segment_ptr 1
		.amdhsa_user_sgpr_dispatch_id 0
		.amdhsa_user_sgpr_flat_scratch_init 0
		.amdhsa_user_sgpr_private_segment_size 0
		.amdhsa_uses_dynamic_stack 0
		.amdhsa_system_sgpr_private_segment_wavefront_offset 0
		.amdhsa_system_sgpr_workgroup_id_x 1
		.amdhsa_system_sgpr_workgroup_id_y 1
		.amdhsa_system_sgpr_workgroup_id_z 1
		.amdhsa_system_sgpr_workgroup_info 0
		.amdhsa_system_vgpr_workitem_id 1
		.amdhsa_next_free_vgpr 99
		.amdhsa_next_free_sgpr 98
		.amdhsa_reserve_vcc 1
		.amdhsa_reserve_flat_scratch 0
		.amdhsa_float_round_mode_32 0
		.amdhsa_float_round_mode_16_64 0
		.amdhsa_float_denorm_mode_32 3
		.amdhsa_float_denorm_mode_16_64 3
		.amdhsa_dx10_clamp 1
		.amdhsa_ieee_mode 1
		.amdhsa_fp16_overflow 0
		.amdhsa_exception_fp_ieee_invalid_op 0
		.amdhsa_exception_fp_denorm_src 0
		.amdhsa_exception_fp_ieee_div_zero 0
		.amdhsa_exception_fp_ieee_overflow 0
		.amdhsa_exception_fp_ieee_underflow 0
		.amdhsa_exception_fp_ieee_inexact 0
		.amdhsa_exception_int_div_zero 0
	.end_amdhsa_kernel
	.section	.text._ZL15flash_attn_tileILi64ELi64ELi4ELi4ELb0EEvPKcS1_S1_S1_S1_PKiPfP15HIP_vector_typeIfLj2EEffffjfiS5_IjLj3EEiiiiiiiiiiiliiliiiiil,"axG",@progbits,_ZL15flash_attn_tileILi64ELi64ELi4ELi4ELb0EEvPKcS1_S1_S1_S1_PKiPfP15HIP_vector_typeIfLj2EEffffjfiS5_IjLj3EEiiiiiiiiiiiliiliiiiil,comdat
.Lfunc_end24:
	.size	_ZL15flash_attn_tileILi64ELi64ELi4ELi4ELb0EEvPKcS1_S1_S1_S1_PKiPfP15HIP_vector_typeIfLj2EEffffjfiS5_IjLj3EEiiiiiiiiiiiliiliiiiil, .Lfunc_end24-_ZL15flash_attn_tileILi64ELi64ELi4ELi4ELb0EEvPKcS1_S1_S1_S1_PKiPfP15HIP_vector_typeIfLj2EEffffjfiS5_IjLj3EEiiiiiiiiiiiliiliiiiil
                                        ; -- End function
	.set _ZL15flash_attn_tileILi64ELi64ELi4ELi4ELb0EEvPKcS1_S1_S1_S1_PKiPfP15HIP_vector_typeIfLj2EEffffjfiS5_IjLj3EEiiiiiiiiiiiliiliiiiil.num_vgpr, 99
	.set _ZL15flash_attn_tileILi64ELi64ELi4ELi4ELb0EEvPKcS1_S1_S1_S1_PKiPfP15HIP_vector_typeIfLj2EEffffjfiS5_IjLj3EEiiiiiiiiiiiliiliiiiil.num_agpr, 0
	.set _ZL15flash_attn_tileILi64ELi64ELi4ELi4ELb0EEvPKcS1_S1_S1_S1_PKiPfP15HIP_vector_typeIfLj2EEffffjfiS5_IjLj3EEiiiiiiiiiiiliiliiiiil.numbered_sgpr, 40
	.set _ZL15flash_attn_tileILi64ELi64ELi4ELi4ELb0EEvPKcS1_S1_S1_S1_PKiPfP15HIP_vector_typeIfLj2EEffffjfiS5_IjLj3EEiiiiiiiiiiiliiliiiiil.num_named_barrier, 0
	.set _ZL15flash_attn_tileILi64ELi64ELi4ELi4ELb0EEvPKcS1_S1_S1_S1_PKiPfP15HIP_vector_typeIfLj2EEffffjfiS5_IjLj3EEiiiiiiiiiiiliiliiiiil.private_seg_size, 0
	.set _ZL15flash_attn_tileILi64ELi64ELi4ELi4ELb0EEvPKcS1_S1_S1_S1_PKiPfP15HIP_vector_typeIfLj2EEffffjfiS5_IjLj3EEiiiiiiiiiiiliiliiiiil.uses_vcc, 1
	.set _ZL15flash_attn_tileILi64ELi64ELi4ELi4ELb0EEvPKcS1_S1_S1_S1_PKiPfP15HIP_vector_typeIfLj2EEffffjfiS5_IjLj3EEiiiiiiiiiiiliiliiiiil.uses_flat_scratch, 0
	.set _ZL15flash_attn_tileILi64ELi64ELi4ELi4ELb0EEvPKcS1_S1_S1_S1_PKiPfP15HIP_vector_typeIfLj2EEffffjfiS5_IjLj3EEiiiiiiiiiiiliiliiiiil.has_dyn_sized_stack, 0
	.set _ZL15flash_attn_tileILi64ELi64ELi4ELi4ELb0EEvPKcS1_S1_S1_S1_PKiPfP15HIP_vector_typeIfLj2EEffffjfiS5_IjLj3EEiiiiiiiiiiiliiliiiiil.has_recursion, 0
	.set _ZL15flash_attn_tileILi64ELi64ELi4ELi4ELb0EEvPKcS1_S1_S1_S1_PKiPfP15HIP_vector_typeIfLj2EEffffjfiS5_IjLj3EEiiiiiiiiiiiliiliiiiil.has_indirect_call, 0
	.section	.AMDGPU.csdata,"",@progbits
; Kernel info:
; codeLenInByte = 12372
; TotalNumSgprs: 44
; NumVgprs: 99
; ScratchSize: 0
; MemoryBound: 0
; FloatMode: 240
; IeeeMode: 1
; LDSByteSize: 24576 bytes/workgroup (compile time only)
; SGPRBlocks: 12
; VGPRBlocks: 24
; NumSGPRsForWavesPerEU: 102
; NumVGPRsForWavesPerEU: 99
; Occupancy: 2
; WaveLimiterHint : 1
; COMPUTE_PGM_RSRC2:SCRATCH_EN: 0
; COMPUTE_PGM_RSRC2:USER_SGPR: 6
; COMPUTE_PGM_RSRC2:TRAP_HANDLER: 0
; COMPUTE_PGM_RSRC2:TGID_X_EN: 1
; COMPUTE_PGM_RSRC2:TGID_Y_EN: 1
; COMPUTE_PGM_RSRC2:TGID_Z_EN: 1
; COMPUTE_PGM_RSRC2:TIDIG_COMP_CNT: 1
	.section	.text._ZL33flash_attn_stream_k_fixup_uniformILi64ELi4ELi4EEvPfPK15HIP_vector_typeIfLj2EEiiiiiiS1_IjLj3EES5_S5_,"axG",@progbits,_ZL33flash_attn_stream_k_fixup_uniformILi64ELi4ELi4EEvPfPK15HIP_vector_typeIfLj2EEiiiiiiS1_IjLj3EES5_S5_,comdat
	.globl	_ZL33flash_attn_stream_k_fixup_uniformILi64ELi4ELi4EEvPfPK15HIP_vector_typeIfLj2EEiiiiiiS1_IjLj3EES5_S5_ ; -- Begin function _ZL33flash_attn_stream_k_fixup_uniformILi64ELi4ELi4EEvPfPK15HIP_vector_typeIfLj2EEiiiiiiS1_IjLj3EES5_S5_
	.p2align	8
	.type	_ZL33flash_attn_stream_k_fixup_uniformILi64ELi4ELi4EEvPfPK15HIP_vector_typeIfLj2EEiiiiiiS1_IjLj3EES5_S5_,@function
_ZL33flash_attn_stream_k_fixup_uniformILi64ELi4ELi4EEvPfPK15HIP_vector_typeIfLj2EEiiiiiiS1_IjLj3EES5_S5_: ; @_ZL33flash_attn_stream_k_fixup_uniformILi64ELi4ELi4EEvPfPK15HIP_vector_typeIfLj2EEiiiiiiS1_IjLj3EES5_S5_
; %bb.0:
	s_load_dwordx8 s[12:19], s[4:5], 0x1c
	s_load_dwordx2 s[10:11], s[4:5], 0x10
	s_load_dwordx4 s[0:3], s[4:5], 0x3c
	s_waitcnt lgkmcnt(0)
	s_mul_hi_u32 s9, s15, s6
	s_add_i32 s9, s6, s9
	s_lshr_b32 s9, s9, s16
	s_mul_i32 s15, s9, s17
	s_sub_i32 s15, s6, s15
	s_mul_hi_u32 s16, s15, s18
	s_add_i32 s16, s15, s16
	s_lshr_b32 s16, s16, s19
	s_mul_i32 s0, s16, s0
	s_sub_i32 s0, s15, s0
	;; [unrolled: 5-line block ×3, first 2 shown]
	s_lshl_b32 s0, s17, 2
	s_lshl_b32 s15, s1, 2
	s_add_i32 s0, s0, s7
	s_cmp_lt_i32 s0, s10
	s_cselect_b64 s[0:1], -1, 0
	s_add_i32 s2, s15, s8
	s_cmp_lt_i32 s2, s13
	s_cselect_b64 s[2:3], -1, 0
	s_and_b64 s[0:1], s[0:1], s[2:3]
	s_andn2_b64 vcc, exec, s[0:1]
	s_cbranch_vccnz .LBB25_6
; %bb.1:
	s_load_dwordx4 s[0:3], s[4:5], 0x0
	s_mul_i32 s4, s9, s10
	s_add_i32 s4, s4, s7
	s_mul_i32 s4, s4, s11
	s_mul_i32 s16, s16, s13
	s_add_i32 s4, s4, s8
	s_add_i32 s4, s4, s16
	s_mul_i32 s5, s11, s17
	s_add_i32 s4, s4, s15
	s_lshl_b32 s5, s5, 8
	s_lshl_b32 s4, s4, 6
	s_add_i32 s5, s5, s4
	v_or_b32_e32 v1, s5, v0
	v_ashrrev_i32_e32 v2, 31, v1
	v_lshlrev_b64 v[1:2], 2, v[1:2]
	s_waitcnt lgkmcnt(0)
	v_mov_b32_e32 v3, s1
	v_add_co_u32_e32 v1, vcc, s0, v1
	v_addc_co_u32_e32 v2, vcc, v3, v2, vcc
	global_load_dword v8, v[1:2], off
	s_mul_i32 s9, s14, s6
	s_lshl_b32 s4, s7, 2
	s_add_i32 s11, s9, s14
	s_add_i32 s0, s4, s8
	s_lshl_b32 s1, s11, 4
	s_add_i32 s0, s0, s1
	s_add_i32 s0, s0, -16
	s_ashr_i32 s1, s0, 31
	s_lshl_b64 s[0:1], s[0:1], 3
	s_add_u32 s0, s2, s0
	s_addc_u32 s1, s3, s1
	s_load_dword s5, s[0:1], 0x4
	s_add_i32 s10, s11, -2
	s_cmp_lt_i32 s10, s9
	s_cbranch_scc1 .LBB25_4
; %bb.2:
	s_lshl_b32 s16, s12, 6
	s_ashr_i32 s17, s16, 31
	s_lshl_b64 s[16:17], s[16:17], 2
	s_add_u32 s10, s2, s16
	s_addc_u32 s13, s3, s17
	s_add_i32 s6, s6, 1
	s_load_dword s0, s[0:1], 0x0
	s_mul_i32 s1, s14, s6
	s_lshl_b32 s7, s7, 8
	s_lshl_b32 s14, s8, 6
	;; [unrolled: 1-line block ×3, first 2 shown]
	s_add_i32 s7, s14, s7
	s_lshl_b32 s1, s1, 4
	s_add_i32 s7, s7, s6
	s_add_i32 s1, s8, s1
	s_lshl_b32 s6, s12, 4
	s_add_i32 s1, s1, s6
	v_or_b32_e32 v0, s7, v0
	s_add_i32 s1, s1, s4
	s_add_i32 s11, s11, -1
	v_add_u32_e32 v3, 0xfffff800, v0
	s_sub_i32 s4, s1, 32
	s_waitcnt lgkmcnt(0)
	v_mov_b32_e32 v7, s5
	v_mov_b32_e32 v6, s0
	;; [unrolled: 1-line block ×3, first 2 shown]
	s_mov_b32 s6, 0x3fb8aa3b
	s_mov_b32 s7, 0xc2ce8ed0
	;; [unrolled: 1-line block ×3, first 2 shown]
	v_mov_b32_e32 v5, 0x7f800000
	s_mov_b32 s12, 0xc1a00000
.LBB25_3:                               ; =>This Inner Loop Header: Depth=1
	v_ashrrev_i32_e32 v4, 31, v3
	v_lshlrev_b64 v[9:10], 2, v[3:4]
	s_ashr_i32 s5, s4, 31
	v_add_co_u32_e32 v9, vcc, s10, v9
	v_addc_co_u32_e32 v10, vcc, v0, v10, vcc
	global_load_dword v4, v[9:10], off
	s_lshl_b64 s[0:1], s[4:5], 3
	s_add_u32 s0, s2, s0
	s_addc_u32 s1, s3, s1
	s_load_dwordx2 s[14:15], s[0:1], 0x0
	s_waitcnt vmcnt(1)
	v_mov_b32_e32 v9, v8
	v_max_f32_e32 v8, v6, v6
	v_mov_b32_e32 v10, v7
	s_add_i32 s11, s11, -1
	s_waitcnt lgkmcnt(0)
	v_max_f32_e64 v7, s14, s14
	v_max_f32_e32 v7, v8, v7
	v_sub_f32_e32 v11, s14, v7
	v_sub_f32_e32 v8, v6, v7
	v_mul_f32_e32 v12, 0x3fb8aa3b, v11
	v_mov_b32_e32 v6, v7
	v_mul_f32_e32 v7, 0x3fb8aa3b, v8
	v_fma_f32 v15, v11, s6, -v12
	v_rndne_f32_e32 v16, v12
	v_fma_f32 v13, v8, s6, -v7
	v_rndne_f32_e32 v14, v7
	v_fmac_f32_e32 v15, 0x32a5705f, v11
	v_sub_f32_e32 v12, v12, v16
	v_fmac_f32_e32 v13, 0x32a5705f, v8
	v_sub_f32_e32 v7, v7, v14
	v_add_f32_e32 v12, v12, v15
	v_cvt_i32_f32_e32 v16, v16
	v_add_f32_e32 v7, v7, v13
	v_exp_f32_e32 v12, v12
	v_cvt_i32_f32_e32 v14, v14
	v_exp_f32_e32 v7, v7
	v_cmp_ngt_f32_e32 vcc, s7, v11
	v_ldexp_f32 v12, v12, v16
	v_cmp_ngt_f32_e64 s[0:1], s7, v8
	v_ldexp_f32 v7, v7, v14
	v_cndmask_b32_e32 v12, 0, v12, vcc
	v_cmp_nlt_f32_e32 vcc, s8, v11
	v_cndmask_b32_e64 v7, 0, v7, s[0:1]
	v_cmp_nlt_f32_e64 s[0:1], s8, v8
	v_cndmask_b32_e32 v12, v5, v12, vcc
	v_cmp_le_f32_e32 vcc, s12, v11
	v_cndmask_b32_e64 v7, v5, v7, s[0:1]
	v_cmp_le_f32_e64 s[0:1], s12, v8
	v_cndmask_b32_e32 v8, 0, v12, vcc
	s_add_i32 s4, s4, -16
	v_cndmask_b32_e64 v11, 0, v7, s[0:1]
	v_mul_f32_e32 v7, s15, v8
	v_add_u32_e32 v3, 0xfffffc00, v3
	s_cmp_le_i32 s11, s9
	v_fmac_f32_e32 v7, v10, v11
	s_waitcnt vmcnt(0)
	v_mul_f32_e32 v8, v4, v8
	v_fmac_f32_e32 v8, v9, v11
	s_cbranch_scc0 .LBB25_3
	s_branch .LBB25_5
.LBB25_4:
	s_waitcnt lgkmcnt(0)
	v_mov_b32_e32 v7, s5
.LBB25_5:
	s_waitcnt vmcnt(0)
	v_div_scale_f32 v0, s[0:1], v7, v7, v8
	v_div_scale_f32 v3, vcc, v8, v7, v8
	v_rcp_f32_e32 v4, v0
	v_fma_f32 v5, -v0, v4, 1.0
	v_fmac_f32_e32 v4, v5, v4
	v_mul_f32_e32 v5, v3, v4
	v_fma_f32 v6, -v0, v5, v3
	v_fmac_f32_e32 v5, v6, v4
	v_fma_f32 v0, -v0, v5, v3
	v_div_fmas_f32 v0, v0, v4, v5
	v_div_fixup_f32 v0, v0, v7, v8
	global_store_dword v[1:2], v0, off
.LBB25_6:
	s_endpgm
	.section	.rodata,"a",@progbits
	.p2align	6, 0x0
	.amdhsa_kernel _ZL33flash_attn_stream_k_fixup_uniformILi64ELi4ELi4EEvPfPK15HIP_vector_typeIfLj2EEiiiiiiS1_IjLj3EES5_S5_
		.amdhsa_group_segment_fixed_size 0
		.amdhsa_private_segment_fixed_size 0
		.amdhsa_kernarg_size 76
		.amdhsa_user_sgpr_count 6
		.amdhsa_user_sgpr_private_segment_buffer 1
		.amdhsa_user_sgpr_dispatch_ptr 0
		.amdhsa_user_sgpr_queue_ptr 0
		.amdhsa_user_sgpr_kernarg_segment_ptr 1
		.amdhsa_user_sgpr_dispatch_id 0
		.amdhsa_user_sgpr_flat_scratch_init 0
		.amdhsa_user_sgpr_private_segment_size 0
		.amdhsa_uses_dynamic_stack 0
		.amdhsa_system_sgpr_private_segment_wavefront_offset 0
		.amdhsa_system_sgpr_workgroup_id_x 1
		.amdhsa_system_sgpr_workgroup_id_y 1
		.amdhsa_system_sgpr_workgroup_id_z 1
		.amdhsa_system_sgpr_workgroup_info 0
		.amdhsa_system_vgpr_workitem_id 0
		.amdhsa_next_free_vgpr 17
		.amdhsa_next_free_sgpr 20
		.amdhsa_reserve_vcc 1
		.amdhsa_reserve_flat_scratch 0
		.amdhsa_float_round_mode_32 0
		.amdhsa_float_round_mode_16_64 0
		.amdhsa_float_denorm_mode_32 3
		.amdhsa_float_denorm_mode_16_64 3
		.amdhsa_dx10_clamp 1
		.amdhsa_ieee_mode 1
		.amdhsa_fp16_overflow 0
		.amdhsa_exception_fp_ieee_invalid_op 0
		.amdhsa_exception_fp_denorm_src 0
		.amdhsa_exception_fp_ieee_div_zero 0
		.amdhsa_exception_fp_ieee_overflow 0
		.amdhsa_exception_fp_ieee_underflow 0
		.amdhsa_exception_fp_ieee_inexact 0
		.amdhsa_exception_int_div_zero 0
	.end_amdhsa_kernel
	.section	.text._ZL33flash_attn_stream_k_fixup_uniformILi64ELi4ELi4EEvPfPK15HIP_vector_typeIfLj2EEiiiiiiS1_IjLj3EES5_S5_,"axG",@progbits,_ZL33flash_attn_stream_k_fixup_uniformILi64ELi4ELi4EEvPfPK15HIP_vector_typeIfLj2EEiiiiiiS1_IjLj3EES5_S5_,comdat
.Lfunc_end25:
	.size	_ZL33flash_attn_stream_k_fixup_uniformILi64ELi4ELi4EEvPfPK15HIP_vector_typeIfLj2EEiiiiiiS1_IjLj3EES5_S5_, .Lfunc_end25-_ZL33flash_attn_stream_k_fixup_uniformILi64ELi4ELi4EEvPfPK15HIP_vector_typeIfLj2EEiiiiiiS1_IjLj3EES5_S5_
                                        ; -- End function
	.set _ZL33flash_attn_stream_k_fixup_uniformILi64ELi4ELi4EEvPfPK15HIP_vector_typeIfLj2EEiiiiiiS1_IjLj3EES5_S5_.num_vgpr, 17
	.set _ZL33flash_attn_stream_k_fixup_uniformILi64ELi4ELi4EEvPfPK15HIP_vector_typeIfLj2EEiiiiiiS1_IjLj3EES5_S5_.num_agpr, 0
	.set _ZL33flash_attn_stream_k_fixup_uniformILi64ELi4ELi4EEvPfPK15HIP_vector_typeIfLj2EEiiiiiiS1_IjLj3EES5_S5_.numbered_sgpr, 20
	.set _ZL33flash_attn_stream_k_fixup_uniformILi64ELi4ELi4EEvPfPK15HIP_vector_typeIfLj2EEiiiiiiS1_IjLj3EES5_S5_.num_named_barrier, 0
	.set _ZL33flash_attn_stream_k_fixup_uniformILi64ELi4ELi4EEvPfPK15HIP_vector_typeIfLj2EEiiiiiiS1_IjLj3EES5_S5_.private_seg_size, 0
	.set _ZL33flash_attn_stream_k_fixup_uniformILi64ELi4ELi4EEvPfPK15HIP_vector_typeIfLj2EEiiiiiiS1_IjLj3EES5_S5_.uses_vcc, 1
	.set _ZL33flash_attn_stream_k_fixup_uniformILi64ELi4ELi4EEvPfPK15HIP_vector_typeIfLj2EEiiiiiiS1_IjLj3EES5_S5_.uses_flat_scratch, 0
	.set _ZL33flash_attn_stream_k_fixup_uniformILi64ELi4ELi4EEvPfPK15HIP_vector_typeIfLj2EEiiiiiiS1_IjLj3EES5_S5_.has_dyn_sized_stack, 0
	.set _ZL33flash_attn_stream_k_fixup_uniformILi64ELi4ELi4EEvPfPK15HIP_vector_typeIfLj2EEiiiiiiS1_IjLj3EES5_S5_.has_recursion, 0
	.set _ZL33flash_attn_stream_k_fixup_uniformILi64ELi4ELi4EEvPfPK15HIP_vector_typeIfLj2EEiiiiiiS1_IjLj3EES5_S5_.has_indirect_call, 0
	.section	.AMDGPU.csdata,"",@progbits
; Kernel info:
; codeLenInByte = 856
; TotalNumSgprs: 24
; NumVgprs: 17
; ScratchSize: 0
; MemoryBound: 0
; FloatMode: 240
; IeeeMode: 1
; LDSByteSize: 0 bytes/workgroup (compile time only)
; SGPRBlocks: 2
; VGPRBlocks: 4
; NumSGPRsForWavesPerEU: 24
; NumVGPRsForWavesPerEU: 17
; Occupancy: 10
; WaveLimiterHint : 0
; COMPUTE_PGM_RSRC2:SCRATCH_EN: 0
; COMPUTE_PGM_RSRC2:USER_SGPR: 6
; COMPUTE_PGM_RSRC2:TRAP_HANDLER: 0
; COMPUTE_PGM_RSRC2:TGID_X_EN: 1
; COMPUTE_PGM_RSRC2:TGID_Y_EN: 1
; COMPUTE_PGM_RSRC2:TGID_Z_EN: 1
; COMPUTE_PGM_RSRC2:TIDIG_COMP_CNT: 0
	.section	.text._ZL33flash_attn_stream_k_fixup_generalILi64ELi4ELi4EEvPfPK15HIP_vector_typeIfLj2EEiiiiS1_IjLj3EES5_S5_S5_,"axG",@progbits,_ZL33flash_attn_stream_k_fixup_generalILi64ELi4ELi4EEvPfPK15HIP_vector_typeIfLj2EEiiiiS1_IjLj3EES5_S5_S5_,comdat
	.globl	_ZL33flash_attn_stream_k_fixup_generalILi64ELi4ELi4EEvPfPK15HIP_vector_typeIfLj2EEiiiiS1_IjLj3EES5_S5_S5_ ; -- Begin function _ZL33flash_attn_stream_k_fixup_generalILi64ELi4ELi4EEvPfPK15HIP_vector_typeIfLj2EEiiiiS1_IjLj3EES5_S5_S5_
	.p2align	8
	.type	_ZL33flash_attn_stream_k_fixup_generalILi64ELi4ELi4EEvPfPK15HIP_vector_typeIfLj2EEiiiiS1_IjLj3EES5_S5_S5_,@function
_ZL33flash_attn_stream_k_fixup_generalILi64ELi4ELi4EEvPfPK15HIP_vector_typeIfLj2EEiiiiS1_IjLj3EES5_S5_S5_: ; @_ZL33flash_attn_stream_k_fixup_generalILi64ELi4ELi4EEvPfPK15HIP_vector_typeIfLj2EEiiiiS1_IjLj3EES5_S5_S5_
; %bb.0:
	s_load_dwordx4 s[0:3], s[4:5], 0x10
	s_load_dword s22, s[4:5], 0x50
	s_mov_b32 s12, 0
	s_waitcnt lgkmcnt(0)
	s_mul_hi_i32 s13, s3, s6
	s_cmp_lg_u64 s[12:13], 0
	s_mul_i32 s9, s3, s6
	s_cbranch_scc0 .LBB26_20
; %bb.1:
	s_add_u32 s10, s22, 0
	s_addc_u32 s11, 0, 0
	s_xor_b64 s[10:11], s[10:11], 0
	v_cvt_f32_u32_e32 v1, s10
	v_cvt_f32_u32_e32 v2, s11
	s_sub_u32 s12, 0, s10
	s_subb_u32 s18, 0, s11
	v_madmk_f32 v1, v2, 0x4f800000, v1
	v_rcp_f32_e32 v1, v1
	v_mul_f32_e32 v1, 0x5f7ffffc, v1
	v_mul_f32_e32 v2, 0x2f800000, v1
	v_trunc_f32_e32 v2, v2
	v_madmk_f32 v1, v2, 0xcf800000, v1
	v_cvt_u32_f32_e32 v2, v2
	v_cvt_u32_f32_e32 v1, v1
	v_readfirstlane_b32 s19, v2
	v_readfirstlane_b32 s14, v1
	s_mul_i32 s15, s12, s19
	s_mul_hi_u32 s21, s12, s14
	s_mul_i32 s20, s18, s14
	s_add_i32 s15, s21, s15
	s_add_i32 s15, s15, s20
	s_mul_i32 s23, s12, s14
	s_mul_i32 s21, s14, s15
	s_mul_hi_u32 s24, s14, s23
	s_mul_hi_u32 s20, s14, s15
	s_add_u32 s21, s24, s21
	s_addc_u32 s20, 0, s20
	s_mul_hi_u32 s25, s19, s23
	s_mul_i32 s23, s19, s23
	s_add_u32 s21, s21, s23
	s_mul_hi_u32 s24, s19, s15
	s_addc_u32 s20, s20, s25
	s_addc_u32 s21, s24, 0
	s_mul_i32 s15, s19, s15
	s_add_u32 s15, s20, s15
	s_addc_u32 s20, 0, s21
	s_add_u32 s21, s14, s15
	s_cselect_b64 s[14:15], -1, 0
	s_cmp_lg_u64 s[14:15], 0
	s_addc_u32 s19, s19, s20
	s_mul_i32 s14, s12, s19
	s_mul_hi_u32 s15, s12, s21
	s_add_i32 s14, s15, s14
	s_mul_i32 s18, s18, s21
	s_add_i32 s14, s14, s18
	s_mul_i32 s12, s12, s21
	s_mul_hi_u32 s18, s19, s12
	s_mul_i32 s20, s19, s12
	s_mul_i32 s24, s21, s14
	s_mul_hi_u32 s12, s21, s12
	s_mul_hi_u32 s23, s21, s14
	s_add_u32 s12, s12, s24
	s_addc_u32 s23, 0, s23
	s_add_u32 s12, s12, s20
	s_mul_hi_u32 s15, s19, s14
	s_addc_u32 s12, s23, s18
	s_addc_u32 s15, s15, 0
	s_mul_i32 s14, s19, s14
	s_add_u32 s12, s12, s14
	s_addc_u32 s18, 0, s15
	s_add_u32 s20, s21, s12
	s_cselect_b64 s[14:15], -1, 0
	s_cmp_lg_u64 s[14:15], 0
	s_addc_u32 s18, s19, s18
	s_ashr_i32 s14, s13, 31
	s_add_u32 s12, s9, s14
	s_mov_b32 s15, s14
	s_addc_u32 s13, s13, s14
	s_xor_b64 s[12:13], s[12:13], s[14:15]
	s_mul_i32 s21, s12, s18
	s_mul_hi_u32 s23, s12, s20
	s_mul_hi_u32 s19, s12, s18
	s_add_u32 s21, s23, s21
	s_addc_u32 s19, 0, s19
	s_mul_hi_u32 s24, s13, s20
	s_mul_i32 s20, s13, s20
	s_add_u32 s20, s21, s20
	s_mul_hi_u32 s23, s13, s18
	s_addc_u32 s19, s19, s24
	s_addc_u32 s20, s23, 0
	s_mul_i32 s18, s13, s18
	s_add_u32 s23, s19, s18
	s_addc_u32 s24, 0, s20
	s_mul_i32 s18, s10, s24
	s_mul_hi_u32 s19, s10, s23
	s_add_i32 s18, s19, s18
	s_mul_i32 s19, s11, s23
	s_add_i32 s25, s18, s19
	s_sub_i32 s20, s13, s25
	s_mul_i32 s18, s10, s23
	s_sub_u32 s12, s12, s18
	s_cselect_b64 s[18:19], -1, 0
	s_cmp_lg_u64 s[18:19], 0
	s_subb_u32 s26, s20, s11
	s_sub_u32 s27, s12, s10
	s_cselect_b64 s[20:21], -1, 0
	s_cmp_lg_u64 s[20:21], 0
	s_subb_u32 s20, s26, 0
	s_cmp_ge_u32 s20, s11
	s_cselect_b32 s21, -1, 0
	s_cmp_ge_u32 s27, s10
	s_cselect_b32 s26, -1, 0
	s_cmp_eq_u32 s20, s11
	s_cselect_b32 s20, s26, s21
	s_add_u32 s21, s23, 1
	s_addc_u32 s26, s24, 0
	s_add_u32 s27, s23, 2
	s_addc_u32 s28, s24, 0
	s_cmp_lg_u32 s20, 0
	s_cselect_b32 s20, s27, s21
	s_cselect_b32 s21, s28, s26
	s_cmp_lg_u64 s[18:19], 0
	s_subb_u32 s13, s13, s25
	s_cmp_ge_u32 s13, s11
	s_cselect_b32 s18, -1, 0
	s_cmp_ge_u32 s12, s10
	s_cselect_b32 s10, -1, 0
	s_cmp_eq_u32 s13, s11
	s_cselect_b32 s10, s10, s18
	s_cmp_lg_u32 s10, 0
	s_cselect_b32 s11, s21, s24
	s_cselect_b32 s10, s20, s23
	s_xor_b64 s[12:13], s[14:15], 0
	s_xor_b64 s[10:11], s[10:11], s[12:13]
	s_sub_u32 s10, s10, s12
	s_load_dwordx4 s[12:15], s[4:5], 0x44
	s_cbranch_execnz .LBB26_3
.LBB26_2:
	v_cvt_f32_u32_e32 v1, s22
	s_sub_i32 s10, 0, s22
	v_rcp_iflag_f32_e32 v1, v1
	v_mul_f32_e32 v1, 0x4f7ffffe, v1
	v_cvt_u32_f32_e32 v1, v1
	v_readfirstlane_b32 s11, v1
	s_mul_i32 s10, s10, s11
	s_mul_hi_u32 s10, s11, s10
	s_add_i32 s11, s11, s10
	s_mul_hi_u32 s10, s9, s11
	s_waitcnt lgkmcnt(0)
	s_mul_i32 s15, s10, s22
	s_sub_i32 s9, s9, s15
	s_add_i32 s11, s10, 1
	s_sub_i32 s15, s9, s22
	s_cmp_ge_u32 s9, s22
	s_cselect_b32 s10, s11, s10
	s_cselect_b32 s9, s15, s9
	s_add_i32 s11, s10, 1
	s_cmp_ge_u32 s9, s22
	s_cselect_b32 s10, s11, s10
.LBB26_3:
	s_add_i32 s9, s6, 1
	s_mul_hi_i32 s21, s3, s9
	s_mov_b32 s20, 0
	s_cmp_lg_u64 s[20:21], 0
	s_mul_i32 s9, s3, s9
	s_cbranch_scc0 .LBB26_21
; %bb.4:
	s_add_u32 s16, s22, 0
	s_addc_u32 s17, 0, 0
	s_xor_b64 s[18:19], s[16:17], 0
	v_cvt_f32_u32_e32 v1, s18
	v_cvt_f32_u32_e32 v2, s19
	s_sub_u32 s11, 0, s18
	s_waitcnt lgkmcnt(0)
	s_subb_u32 s15, 0, s19
	v_madmk_f32 v1, v2, 0x4f800000, v1
	v_rcp_f32_e32 v1, v1
	v_mul_f32_e32 v1, 0x5f7ffffc, v1
	v_mul_f32_e32 v2, 0x2f800000, v1
	v_trunc_f32_e32 v2, v2
	v_madmk_f32 v1, v2, 0xcf800000, v1
	v_cvt_u32_f32_e32 v2, v2
	v_cvt_u32_f32_e32 v1, v1
	v_readfirstlane_b32 s20, v2
	v_readfirstlane_b32 s23, v1
	s_mul_i32 s24, s11, s20
	s_mul_hi_u32 s26, s11, s23
	s_mul_i32 s25, s15, s23
	s_add_i32 s24, s26, s24
	s_add_i32 s24, s24, s25
	s_mul_i32 s27, s11, s23
	s_mul_i32 s26, s23, s24
	s_mul_hi_u32 s28, s23, s27
	s_mul_hi_u32 s25, s23, s24
	s_add_u32 s26, s28, s26
	s_addc_u32 s25, 0, s25
	s_mul_hi_u32 s29, s20, s27
	s_mul_i32 s27, s20, s27
	s_add_u32 s26, s26, s27
	s_mul_hi_u32 s28, s20, s24
	s_addc_u32 s25, s25, s29
	s_addc_u32 s26, s28, 0
	s_mul_i32 s24, s20, s24
	s_add_u32 s24, s25, s24
	s_addc_u32 s26, 0, s26
	s_add_u32 s23, s23, s24
	s_cselect_b64 s[24:25], -1, 0
	s_cmp_lg_u64 s[24:25], 0
	s_addc_u32 s20, s20, s26
	s_mul_i32 s24, s11, s20
	s_mul_hi_u32 s25, s11, s23
	s_add_i32 s24, s25, s24
	s_mul_i32 s15, s15, s23
	s_add_i32 s24, s24, s15
	s_mul_i32 s11, s11, s23
	s_mul_hi_u32 s25, s20, s11
	s_mul_i32 s26, s20, s11
	s_mul_i32 s28, s23, s24
	s_mul_hi_u32 s11, s23, s11
	s_mul_hi_u32 s27, s23, s24
	s_add_u32 s11, s11, s28
	s_addc_u32 s27, 0, s27
	s_add_u32 s11, s11, s26
	s_mul_hi_u32 s15, s20, s24
	s_addc_u32 s11, s27, s25
	s_addc_u32 s15, s15, 0
	s_mul_i32 s24, s20, s24
	s_add_u32 s11, s11, s24
	s_addc_u32 s15, 0, s15
	s_add_u32 s11, s23, s11
	s_cselect_b64 s[24:25], -1, 0
	s_cmp_lg_u64 s[24:25], 0
	s_addc_u32 s15, s20, s15
	s_ashr_i32 s24, s21, 31
	s_add_u32 s20, s9, s24
	s_mov_b32 s25, s24
	s_addc_u32 s21, s21, s24
	s_xor_b64 s[20:21], s[20:21], s[24:25]
	s_mul_i32 s26, s20, s15
	s_mul_hi_u32 s27, s20, s11
	s_mul_hi_u32 s23, s20, s15
	s_add_u32 s26, s27, s26
	s_addc_u32 s23, 0, s23
	s_mul_hi_u32 s28, s21, s11
	s_mul_i32 s11, s21, s11
	s_add_u32 s11, s26, s11
	s_mul_hi_u32 s27, s21, s15
	s_addc_u32 s11, s23, s28
	s_addc_u32 s23, s27, 0
	s_mul_i32 s15, s21, s15
	s_add_u32 s11, s11, s15
	s_addc_u32 s15, 0, s23
	s_mul_i32 s23, s18, s15
	s_mul_hi_u32 s26, s18, s11
	s_add_i32 s23, s26, s23
	s_mul_i32 s26, s19, s11
	s_add_i32 s23, s23, s26
	s_sub_i32 s28, s21, s23
	s_mul_i32 s26, s18, s11
	s_sub_u32 s20, s20, s26
	s_cselect_b64 s[26:27], -1, 0
	s_cmp_lg_u64 s[26:27], 0
	s_subb_u32 s30, s28, s19
	s_sub_u32 s31, s20, s18
	s_cselect_b64 s[28:29], -1, 0
	s_cmp_lg_u64 s[28:29], 0
	s_subb_u32 s28, s30, 0
	s_cmp_ge_u32 s28, s19
	s_cselect_b32 s29, -1, 0
	s_cmp_ge_u32 s31, s18
	s_cselect_b32 s30, -1, 0
	s_cmp_eq_u32 s28, s19
	s_cselect_b32 s28, s30, s29
	s_add_u32 s29, s11, 1
	s_addc_u32 s30, s15, 0
	s_add_u32 s31, s11, 2
	s_addc_u32 s33, s15, 0
	s_cmp_lg_u32 s28, 0
	s_cselect_b32 s28, s31, s29
	s_cselect_b32 s29, s33, s30
	s_cmp_lg_u64 s[26:27], 0
	s_subb_u32 s21, s21, s23
	s_cmp_ge_u32 s21, s19
	s_cselect_b32 s23, -1, 0
	s_cmp_ge_u32 s20, s18
	s_cselect_b32 s18, -1, 0
	s_cmp_eq_u32 s21, s19
	s_cselect_b32 s18, s18, s23
	s_cmp_lg_u32 s18, 0
	s_cselect_b32 s19, s29, s15
	s_cselect_b32 s18, s28, s11
	s_xor_b64 s[20:21], s[24:25], 0
	s_xor_b64 s[18:19], s[18:19], s[20:21]
	s_sub_u32 s18, s18, s20
	s_cbranch_execnz .LBB26_6
.LBB26_5:
	v_cvt_f32_u32_e32 v1, s22
	s_sub_i32 s11, 0, s22
	v_rcp_iflag_f32_e32 v1, v1
	v_mul_f32_e32 v1, 0x4f7ffffe, v1
	v_cvt_u32_f32_e32 v1, v1
	s_waitcnt lgkmcnt(0)
	v_readfirstlane_b32 s15, v1
	s_mul_i32 s11, s11, s15
	s_mul_hi_u32 s11, s15, s11
	s_add_i32 s15, s15, s11
	s_mul_hi_u32 s11, s9, s15
	s_mul_i32 s16, s11, s22
	s_sub_i32 s9, s9, s16
	s_add_i32 s15, s11, 1
	s_sub_i32 s16, s9, s22
	s_cmp_ge_u32 s9, s22
	s_cselect_b32 s11, s15, s11
	s_cselect_b32 s9, s16, s9
	s_add_i32 s15, s11, 1
	s_cmp_ge_u32 s9, s22
	s_cselect_b32 s18, s15, s11
.LBB26_6:
	s_cmp_eq_u32 s10, s18
	s_waitcnt lgkmcnt(0)
	s_mul_hi_u32 s9, s10, s12
	s_cselect_b64 s[16:17], -1, 0
	s_add_i32 s9, s9, s10
	s_lshr_b32 s11, s9, s13
	s_mul_i32 s9, s11, s14
	s_cmp_eq_u32 s9, s10
	s_mul_hi_u32 s9, s18, s12
	s_cselect_b64 s[20:21], -1, 0
	s_add_i32 s9, s9, s18
	s_lshr_b32 s9, s9, s13
	s_cmp_eq_u32 s11, s9
	s_mul_i32 s9, s9, s14
	s_cselect_b64 s[24:25], -1, 0
	s_cmp_lg_u32 s9, s18
	s_cselect_b64 s[18:19], -1, 0
	s_and_b64 s[18:19], s[24:25], s[18:19]
	s_or_b64 s[16:17], s[16:17], s[20:21]
	s_or_b64 s[16:17], s[16:17], s[18:19]
	s_and_b64 vcc, exec, s[16:17]
	s_cbranch_vccnz .LBB26_23
; %bb.7:
	s_load_dwordx8 s[24:31], s[4:5], 0x20
	s_load_dword s15, s[4:5], 0x40
	s_waitcnt lgkmcnt(0)
	s_mul_hi_u32 s9, s10, s24
	s_add_i32 s9, s9, s10
	s_lshr_b32 s9, s9, s25
	s_mul_i32 s16, s9, s26
	s_sub_i32 s16, s10, s16
	s_mul_hi_u32 s17, s16, s27
	s_add_i32 s17, s16, s17
	s_lshr_b32 s23, s17, s28
	s_mul_i32 s17, s23, s29
	s_sub_i32 s16, s16, s17
	;; [unrolled: 5-line block ×3, first 2 shown]
	s_mul_hi_u32 s16, s15, s12
	s_add_i32 s15, s15, s16
	s_lshr_b32 s25, s15, s13
	s_lshl_b32 s15, s25, 2
	s_lshl_b32 s24, s17, 2
	s_add_i32 s15, s15, s7
	s_cmp_lt_i32 s15, s0
	s_cselect_b64 s[16:17], -1, 0
	s_add_i32 s15, s24, s8
	s_cmp_lt_i32 s15, s2
	s_cselect_b64 s[18:19], -1, 0
	s_and_b64 s[16:17], s[16:17], s[18:19]
	s_andn2_b64 vcc, exec, s[16:17]
	s_cbranch_vccnz .LBB26_23
; %bb.8:
	s_load_dwordx4 s[16:19], s[4:5], 0x0
	s_mov_b32 s4, 0
	s_lshl_b32 s15, s7, 2
	s_lshl_b32 s20, s22, 6
	s_mov_b32 s21, s4
	s_add_i32 s15, s15, s8
	s_lshl_b64 s[20:21], s[20:21], 2
	s_waitcnt lgkmcnt(0)
	s_add_u32 s20, s18, s20
	s_mul_i32 s0, s9, s0
	s_addc_u32 s21, s19, s21
	s_add_i32 s0, s0, s7
	s_mul_i32 s0, s0, s1
	s_mul_i32 s23, s23, s2
	s_add_i32 s0, s0, s8
	s_add_i32 s0, s0, s23
	s_mul_i32 s2, s1, s25
	s_add_i32 s0, s0, s24
	s_lshl_b32 s2, s2, 8
	s_lshl_b32 s0, s0, 6
	s_add_i32 s2, s2, s0
	v_or_b32_e32 v1, s2, v0
	v_ashrrev_i32_e32 v2, 31, v1
	v_lshlrev_b64 v[1:2], 2, v[1:2]
	v_mov_b32_e32 v3, s17
	v_add_co_u32_e32 v1, vcc, s16, v1
	v_addc_co_u32_e32 v2, vcc, v3, v2, vcc
	global_load_dword v3, v[1:2], off
	v_cvt_f32_u32_e32 v4, s22
	s_lshl_b32 s0, s6, 4
	s_add_i32 s0, s15, s0
	s_ashr_i32 s1, s0, 31
	s_lshl_b64 s[0:1], s[0:1], 3
	v_rcp_iflag_f32_e32 v4, v4
	s_add_u32 s0, s18, s0
	s_addc_u32 s1, s19, s1
	s_load_dwordx2 s[0:1], s[0:1], 0x0
	v_mul_f32_e32 v4, 0x4f7ffffe, v4
	v_cvt_u32_f32_e32 v4, v4
	s_add_i32 s24, s6, -1
	v_lshl_or_b32 v0, s15, 6, v0
	s_waitcnt lgkmcnt(0)
	v_mov_b32_e32 v6, s1
	v_mov_b32_e32 v7, s0
	s_mov_b32 s2, 0x3fb8aa3b
	s_mov_b32 s16, 0xc2ce8ed0
	;; [unrolled: 1-line block ×4, first 2 shown]
	v_mov_b32_e32 v5, 0x7f800000
	s_mul_hi_i32 s5, s24, s3
	s_cmp_lg_u64 s[4:5], 0
	s_mul_i32 s8, s24, s3
	s_cbranch_scc0 .LBB26_19
.LBB26_9:
	s_add_u32 s0, s22, 0
	s_addc_u32 s1, 0, 0
	s_xor_b64 s[0:1], s[0:1], 0
	v_cvt_f32_u32_e32 v8, s0
	v_cvt_f32_u32_e32 v9, s1
	s_sub_u32 s9, 0, s0
	s_subb_u32 s25, 0, s1
	v_mac_f32_e32 v8, 0x4f800000, v9
	v_rcp_f32_e32 v8, v8
	v_mul_f32_e32 v8, 0x5f7ffffc, v8
	v_mul_f32_e32 v9, 0x2f800000, v8
	v_trunc_f32_e32 v9, v9
	v_mac_f32_e32 v8, 0xcf800000, v9
	v_cvt_u32_f32_e32 v9, v9
	v_cvt_u32_f32_e32 v8, v8
	v_readfirstlane_b32 s26, v9
	v_readfirstlane_b32 s6, v8
	s_mul_i32 s7, s9, s26
	s_mul_hi_u32 s28, s9, s6
	s_mul_i32 s27, s25, s6
	s_add_i32 s7, s28, s7
	s_mul_i32 s29, s9, s6
	s_add_i32 s7, s7, s27
	s_mul_i32 s28, s6, s7
	s_mul_hi_u32 s30, s6, s29
	s_mul_hi_u32 s27, s6, s7
	s_add_u32 s28, s30, s28
	s_addc_u32 s27, 0, s27
	s_mul_hi_u32 s31, s26, s29
	s_mul_i32 s29, s26, s29
	s_add_u32 s28, s28, s29
	s_mul_hi_u32 s30, s26, s7
	s_addc_u32 s27, s27, s31
	s_addc_u32 s28, s30, 0
	s_mul_i32 s7, s26, s7
	s_add_u32 s7, s27, s7
	s_addc_u32 s27, 0, s28
	s_add_u32 s28, s6, s7
	s_cselect_b64 s[6:7], -1, 0
	s_cmp_lg_u64 s[6:7], 0
	s_addc_u32 s26, s26, s27
	s_mul_i32 s6, s9, s26
	s_mul_hi_u32 s7, s9, s28
	s_add_i32 s6, s7, s6
	s_mul_i32 s25, s25, s28
	s_add_i32 s6, s6, s25
	s_mul_i32 s9, s9, s28
	s_mul_hi_u32 s25, s26, s9
	s_mul_i32 s27, s26, s9
	s_mul_i32 s30, s28, s6
	s_mul_hi_u32 s9, s28, s9
	s_mul_hi_u32 s29, s28, s6
	s_add_u32 s9, s9, s30
	s_addc_u32 s29, 0, s29
	s_add_u32 s9, s9, s27
	s_mul_hi_u32 s7, s26, s6
	s_addc_u32 s9, s29, s25
	s_addc_u32 s7, s7, 0
	s_mul_i32 s6, s26, s6
	s_add_u32 s6, s9, s6
	s_addc_u32 s9, 0, s7
	s_add_u32 s25, s28, s6
	s_cselect_b64 s[6:7], -1, 0
	s_cmp_lg_u64 s[6:7], 0
	s_addc_u32 s9, s26, s9
	s_ashr_i32 s6, s5, 31
	s_add_u32 s26, s8, s6
	s_mov_b32 s7, s6
	s_addc_u32 s27, s5, s6
	s_xor_b64 s[26:27], s[26:27], s[6:7]
	s_mul_i32 s28, s26, s9
	s_mul_hi_u32 s29, s26, s25
	s_mul_hi_u32 s5, s26, s9
	s_add_u32 s28, s29, s28
	s_addc_u32 s5, 0, s5
	s_mul_hi_u32 s30, s27, s25
	s_mul_i32 s25, s27, s25
	s_add_u32 s25, s28, s25
	s_mul_hi_u32 s29, s27, s9
	s_addc_u32 s5, s5, s30
	s_addc_u32 s25, s29, 0
	s_mul_i32 s9, s27, s9
	s_add_u32 s5, s5, s9
	s_addc_u32 s9, 0, s25
	s_mul_i32 s25, s0, s9
	s_mul_hi_u32 s28, s0, s5
	s_add_i32 s25, s28, s25
	s_mul_i32 s28, s1, s5
	s_add_i32 s25, s25, s28
	s_sub_i32 s30, s27, s25
	s_mul_i32 s28, s0, s5
	s_sub_u32 s26, s26, s28
	s_cselect_b64 s[28:29], -1, 0
	s_cmp_lg_u64 s[28:29], 0
	s_subb_u32 s33, s30, s1
	s_sub_u32 s34, s26, s0
	s_cselect_b64 s[30:31], -1, 0
	s_cmp_lg_u64 s[30:31], 0
	s_subb_u32 s30, s33, 0
	s_cmp_ge_u32 s30, s1
	s_cselect_b32 s31, -1, 0
	s_cmp_ge_u32 s34, s0
	s_cselect_b32 s33, -1, 0
	s_cmp_eq_u32 s30, s1
	s_cselect_b32 s30, s33, s31
	s_add_u32 s31, s5, 1
	s_addc_u32 s33, s9, 0
	s_add_u32 s34, s5, 2
	s_addc_u32 s35, s9, 0
	s_cmp_lg_u32 s30, 0
	s_cselect_b32 s30, s34, s31
	s_cselect_b32 s31, s35, s33
	s_cmp_lg_u64 s[28:29], 0
	s_subb_u32 s25, s27, s25
	s_cmp_ge_u32 s25, s1
	s_cselect_b32 s27, -1, 0
	s_cmp_ge_u32 s26, s0
	s_cselect_b32 s0, -1, 0
	s_cmp_eq_u32 s25, s1
	s_cselect_b32 s0, s0, s27
	s_cmp_lg_u32 s0, 0
	s_cselect_b32 s1, s31, s9
	s_cselect_b32 s0, s30, s5
	s_xor_b64 s[6:7], s[6:7], 0
	s_xor_b64 s[0:1], s[0:1], s[6:7]
	s_sub_u32 s6, s0, s6
	s_cbranch_execnz .LBB26_11
.LBB26_10:
	s_sub_i32 s0, 0, s22
	v_readfirstlane_b32 s1, v4
	s_mul_i32 s0, s0, s1
	s_mul_hi_u32 s0, s1, s0
	s_add_i32 s1, s1, s0
	s_mul_hi_u32 s0, s8, s1
	s_mul_i32 s5, s0, s22
	s_sub_i32 s5, s8, s5
	s_add_i32 s1, s0, 1
	s_sub_i32 s6, s5, s22
	s_cmp_ge_u32 s5, s22
	s_cselect_b32 s0, s1, s0
	s_cselect_b32 s5, s6, s5
	s_add_i32 s1, s0, 1
	s_cmp_ge_u32 s5, s22
	s_cselect_b32 s6, s1, s0
.LBB26_11:
	s_cmp_lg_u32 s10, s6
	s_mov_b64 s[8:9], -1
                                        ; implicit-def: $sgpr0_sgpr1
                                        ; implicit-def: $vgpr10
                                        ; implicit-def: $vgpr8
                                        ; implicit-def: $vgpr9
                                        ; implicit-def: $sgpr5
                                        ; implicit-def: $sgpr7
	s_cbranch_scc1 .LBB26_14
; %bb.12:
	s_andn2_b64 vcc, exec, s[8:9]
	s_cbranch_vccz .LBB26_17
.LBB26_13:
	s_andn2_b64 vcc, exec, s[0:1]
	s_cbranch_vccnz .LBB26_18
	s_branch .LBB26_22
.LBB26_14:
	s_add_i32 s0, s24, s22
	s_lshl_b32 s0, s0, 4
	s_add_i32 s0, s0, s15
	s_mov_b32 s1, s4
	s_lshl_b64 s[0:1], s[0:1], 3
	s_add_u32 s8, s18, s0
	s_mul_hi_u32 s0, s6, s12
	s_addc_u32 s9, s19, s1
	s_add_i32 s0, s0, s6
	s_lshr_b32 s5, s0, s13
	s_mul_i32 s0, s5, s14
	s_cmp_eq_u32 s0, s6
	s_cselect_b64 s[0:1], -1, 0
	s_cmp_lt_u32 s5, s11
	s_cselect_b64 s[26:27], -1, 0
	s_or_b64 s[26:27], s[26:27], s[0:1]
	s_mov_b64 s[0:1], -1
	s_and_b64 vcc, exec, s[26:27]
	s_mov_b32 s5, s24
	s_mov_b32 s7, s10
	s_cbranch_vccnz .LBB26_16
; %bb.15:
	s_add_i32 s5, s24, -1
	s_mov_b64 s[0:1], 0
	s_mov_b32 s7, s6
.LBB26_16:
	v_lshl_add_u32 v8, s24, 10, v0
	v_ashrrev_i32_e32 v9, 31, v8
	v_lshlrev_b64 v[8:9], 2, v[8:9]
	v_mov_b32_e32 v10, s21
	v_add_co_u32_e32 v8, vcc, s20, v8
	v_addc_co_u32_e32 v9, vcc, v10, v9, vcc
	global_load_dword v10, v[8:9], off
	s_load_dwordx2 s[8:9], s[8:9], 0x0
	v_max_f32_e32 v8, v7, v7
	s_waitcnt lgkmcnt(0)
	v_max_f32_e64 v9, s8, s8
	v_max_f32_e32 v8, v8, v9
	v_sub_f32_e32 v9, v7, v8
	v_sub_f32_e32 v11, s8, v8
	v_mul_f32_e32 v12, 0x3fb8aa3b, v9
	v_mul_f32_e32 v13, 0x3fb8aa3b, v11
	v_fma_f32 v14, v9, s2, -v12
	v_rndne_f32_e32 v15, v12
	v_fma_f32 v16, v11, s2, -v13
	v_rndne_f32_e32 v17, v13
	v_fmac_f32_e32 v14, 0x32a5705f, v9
	v_sub_f32_e32 v12, v12, v15
	v_fmac_f32_e32 v16, 0x32a5705f, v11
	v_sub_f32_e32 v13, v13, v17
	v_add_f32_e32 v12, v12, v14
	v_cvt_i32_f32_e32 v15, v15
	v_add_f32_e32 v13, v13, v16
	v_exp_f32_e32 v12, v12
	v_cvt_i32_f32_e32 v17, v17
	v_exp_f32_e32 v13, v13
	v_cmp_ngt_f32_e32 vcc, s16, v9
	v_ldexp_f32 v12, v12, v15
	v_cndmask_b32_e32 v12, 0, v12, vcc
	v_ldexp_f32 v13, v13, v17
	v_cmp_ngt_f32_e32 vcc, s16, v11
	v_cndmask_b32_e32 v13, 0, v13, vcc
	v_cmp_nlt_f32_e32 vcc, s17, v9
	v_cndmask_b32_e32 v12, v5, v12, vcc
	v_cmp_nlt_f32_e32 vcc, s17, v11
	v_cndmask_b32_e32 v13, v5, v13, vcc
	v_cmp_le_f32_e32 vcc, s23, v9
	v_cndmask_b32_e32 v12, 0, v12, vcc
	v_cmp_le_f32_e32 vcc, s23, v11
	v_cndmask_b32_e32 v11, 0, v13, vcc
	v_mul_f32_e32 v9, s9, v11
	v_fmac_f32_e32 v9, v6, v12
	s_waitcnt vmcnt(0)
	v_mul_f32_e32 v10, v10, v11
	v_fmac_f32_e32 v10, v3, v12
	s_cbranch_execnz .LBB26_13
.LBB26_17:
	s_add_i32 s5, s24, -1
	s_mov_b32 s7, s10
	v_mov_b32_e32 v9, v6
	v_mov_b32_e32 v8, v7
	s_waitcnt vmcnt(0)
	v_mov_b32_e32 v10, v3
	s_cbranch_execz .LBB26_22
.LBB26_18:
	s_mov_b32 s10, s7
	s_mov_b32 s24, s5
	v_mov_b32_e32 v6, v9
	v_mov_b32_e32 v7, v8
	s_waitcnt vmcnt(0)
	v_mov_b32_e32 v3, v10
	s_mul_hi_i32 s5, s24, s3
	s_cmp_lg_u64 s[4:5], 0
	s_mul_i32 s8, s24, s3
	s_cbranch_scc1 .LBB26_9
.LBB26_19:
                                        ; implicit-def: $sgpr6_sgpr7
	s_branch .LBB26_10
.LBB26_20:
                                        ; implicit-def: $sgpr10_sgpr11
	s_load_dwordx4 s[12:15], s[4:5], 0x44
	s_branch .LBB26_2
.LBB26_21:
                                        ; implicit-def: $sgpr18_sgpr19
	s_branch .LBB26_5
.LBB26_22:
	v_div_scale_f32 v0, s[0:1], v9, v9, v10
	s_waitcnt vmcnt(0)
	v_div_scale_f32 v3, vcc, v10, v9, v10
	v_rcp_f32_e32 v4, v0
	v_fma_f32 v5, -v0, v4, 1.0
	v_fmac_f32_e32 v4, v5, v4
	v_mul_f32_e32 v5, v3, v4
	v_fma_f32 v6, -v0, v5, v3
	v_fmac_f32_e32 v5, v6, v4
	v_fma_f32 v0, -v0, v5, v3
	v_div_fmas_f32 v0, v0, v4, v5
	v_div_fixup_f32 v0, v0, v9, v10
	global_store_dword v[1:2], v0, off
.LBB26_23:
	s_endpgm
	.section	.rodata,"a",@progbits
	.p2align	6, 0x0
	.amdhsa_kernel _ZL33flash_attn_stream_k_fixup_generalILi64ELi4ELi4EEvPfPK15HIP_vector_typeIfLj2EEiiiiS1_IjLj3EES5_S5_S5_
		.amdhsa_group_segment_fixed_size 0
		.amdhsa_private_segment_fixed_size 0
		.amdhsa_kernarg_size 336
		.amdhsa_user_sgpr_count 6
		.amdhsa_user_sgpr_private_segment_buffer 1
		.amdhsa_user_sgpr_dispatch_ptr 0
		.amdhsa_user_sgpr_queue_ptr 0
		.amdhsa_user_sgpr_kernarg_segment_ptr 1
		.amdhsa_user_sgpr_dispatch_id 0
		.amdhsa_user_sgpr_flat_scratch_init 0
		.amdhsa_user_sgpr_private_segment_size 0
		.amdhsa_uses_dynamic_stack 0
		.amdhsa_system_sgpr_private_segment_wavefront_offset 0
		.amdhsa_system_sgpr_workgroup_id_x 1
		.amdhsa_system_sgpr_workgroup_id_y 1
		.amdhsa_system_sgpr_workgroup_id_z 1
		.amdhsa_system_sgpr_workgroup_info 0
		.amdhsa_system_vgpr_workitem_id 0
		.amdhsa_next_free_vgpr 18
		.amdhsa_next_free_sgpr 36
		.amdhsa_reserve_vcc 1
		.amdhsa_reserve_flat_scratch 0
		.amdhsa_float_round_mode_32 0
		.amdhsa_float_round_mode_16_64 0
		.amdhsa_float_denorm_mode_32 3
		.amdhsa_float_denorm_mode_16_64 3
		.amdhsa_dx10_clamp 1
		.amdhsa_ieee_mode 1
		.amdhsa_fp16_overflow 0
		.amdhsa_exception_fp_ieee_invalid_op 0
		.amdhsa_exception_fp_denorm_src 0
		.amdhsa_exception_fp_ieee_div_zero 0
		.amdhsa_exception_fp_ieee_overflow 0
		.amdhsa_exception_fp_ieee_underflow 0
		.amdhsa_exception_fp_ieee_inexact 0
		.amdhsa_exception_int_div_zero 0
	.end_amdhsa_kernel
	.section	.text._ZL33flash_attn_stream_k_fixup_generalILi64ELi4ELi4EEvPfPK15HIP_vector_typeIfLj2EEiiiiS1_IjLj3EES5_S5_S5_,"axG",@progbits,_ZL33flash_attn_stream_k_fixup_generalILi64ELi4ELi4EEvPfPK15HIP_vector_typeIfLj2EEiiiiS1_IjLj3EES5_S5_S5_,comdat
.Lfunc_end26:
	.size	_ZL33flash_attn_stream_k_fixup_generalILi64ELi4ELi4EEvPfPK15HIP_vector_typeIfLj2EEiiiiS1_IjLj3EES5_S5_S5_, .Lfunc_end26-_ZL33flash_attn_stream_k_fixup_generalILi64ELi4ELi4EEvPfPK15HIP_vector_typeIfLj2EEiiiiS1_IjLj3EES5_S5_S5_
                                        ; -- End function
	.set _ZL33flash_attn_stream_k_fixup_generalILi64ELi4ELi4EEvPfPK15HIP_vector_typeIfLj2EEiiiiS1_IjLj3EES5_S5_S5_.num_vgpr, 18
	.set _ZL33flash_attn_stream_k_fixup_generalILi64ELi4ELi4EEvPfPK15HIP_vector_typeIfLj2EEiiiiS1_IjLj3EES5_S5_S5_.num_agpr, 0
	.set _ZL33flash_attn_stream_k_fixup_generalILi64ELi4ELi4EEvPfPK15HIP_vector_typeIfLj2EEiiiiS1_IjLj3EES5_S5_S5_.numbered_sgpr, 36
	.set _ZL33flash_attn_stream_k_fixup_generalILi64ELi4ELi4EEvPfPK15HIP_vector_typeIfLj2EEiiiiS1_IjLj3EES5_S5_S5_.num_named_barrier, 0
	.set _ZL33flash_attn_stream_k_fixup_generalILi64ELi4ELi4EEvPfPK15HIP_vector_typeIfLj2EEiiiiS1_IjLj3EES5_S5_S5_.private_seg_size, 0
	.set _ZL33flash_attn_stream_k_fixup_generalILi64ELi4ELi4EEvPfPK15HIP_vector_typeIfLj2EEiiiiS1_IjLj3EES5_S5_S5_.uses_vcc, 1
	.set _ZL33flash_attn_stream_k_fixup_generalILi64ELi4ELi4EEvPfPK15HIP_vector_typeIfLj2EEiiiiS1_IjLj3EES5_S5_S5_.uses_flat_scratch, 0
	.set _ZL33flash_attn_stream_k_fixup_generalILi64ELi4ELi4EEvPfPK15HIP_vector_typeIfLj2EEiiiiS1_IjLj3EES5_S5_S5_.has_dyn_sized_stack, 0
	.set _ZL33flash_attn_stream_k_fixup_generalILi64ELi4ELi4EEvPfPK15HIP_vector_typeIfLj2EEiiiiS1_IjLj3EES5_S5_S5_.has_recursion, 0
	.set _ZL33flash_attn_stream_k_fixup_generalILi64ELi4ELi4EEvPfPK15HIP_vector_typeIfLj2EEiiiiS1_IjLj3EES5_S5_S5_.has_indirect_call, 0
	.section	.AMDGPU.csdata,"",@progbits
; Kernel info:
; codeLenInByte = 2940
; TotalNumSgprs: 40
; NumVgprs: 18
; ScratchSize: 0
; MemoryBound: 0
; FloatMode: 240
; IeeeMode: 1
; LDSByteSize: 0 bytes/workgroup (compile time only)
; SGPRBlocks: 4
; VGPRBlocks: 4
; NumSGPRsForWavesPerEU: 40
; NumVGPRsForWavesPerEU: 18
; Occupancy: 10
; WaveLimiterHint : 0
; COMPUTE_PGM_RSRC2:SCRATCH_EN: 0
; COMPUTE_PGM_RSRC2:USER_SGPR: 6
; COMPUTE_PGM_RSRC2:TRAP_HANDLER: 0
; COMPUTE_PGM_RSRC2:TGID_X_EN: 1
; COMPUTE_PGM_RSRC2:TGID_Y_EN: 1
; COMPUTE_PGM_RSRC2:TGID_Z_EN: 1
; COMPUTE_PGM_RSRC2:TIDIG_COMP_CNT: 0
	.section	.text._ZL15flash_attn_tileILi64ELi64ELi2ELi4ELb0EEvPKcS1_S1_S1_S1_PKiPfP15HIP_vector_typeIfLj2EEffffjfiS5_IjLj3EEiiiiiiiiiiiliiliiiiil,"axG",@progbits,_ZL15flash_attn_tileILi64ELi64ELi2ELi4ELb0EEvPKcS1_S1_S1_S1_PKiPfP15HIP_vector_typeIfLj2EEffffjfiS5_IjLj3EEiiiiiiiiiiiliiliiiiil,comdat
	.globl	_ZL15flash_attn_tileILi64ELi64ELi2ELi4ELb0EEvPKcS1_S1_S1_S1_PKiPfP15HIP_vector_typeIfLj2EEffffjfiS5_IjLj3EEiiiiiiiiiiiliiliiiiil ; -- Begin function _ZL15flash_attn_tileILi64ELi64ELi2ELi4ELb0EEvPKcS1_S1_S1_S1_PKiPfP15HIP_vector_typeIfLj2EEffffjfiS5_IjLj3EEiiiiiiiiiiiliiliiiiil
	.p2align	8
	.type	_ZL15flash_attn_tileILi64ELi64ELi2ELi4ELb0EEvPKcS1_S1_S1_S1_PKiPfP15HIP_vector_typeIfLj2EEffffjfiS5_IjLj3EEiiiiiiiiiiiliiliiiiil,@function
_ZL15flash_attn_tileILi64ELi64ELi2ELi4ELb0EEvPKcS1_S1_S1_S1_PKiPfP15HIP_vector_typeIfLj2EEffffjfiS5_IjLj3EEiiiiiiiiiiiliiliiiiil: ; @_ZL15flash_attn_tileILi64ELi64ELi2ELi4ELb0EEvPKcS1_S1_S1_S1_PKiPfP15HIP_vector_typeIfLj2EEffffjfiS5_IjLj3EEiiiiiiiiiiiliiliiiiil
; %bb.0:
	s_load_dwordx4 s[0:3], s[4:5], 0x5c
	s_load_dwordx2 s[24:25], s[4:5], 0x80
	s_load_dwordx2 s[28:29], s[4:5], 0xb8
	s_mov_b64 s[26:27], 0
	s_waitcnt lgkmcnt(0)
	s_ashr_i32 s9, s3, 31
	s_lshr_b32 s9, s9, 30
	s_add_i32 s9, s3, s9
	s_ashr_i32 s9, s9, 2
	v_cvt_f32_u32_e32 v2, s9
	s_sub_i32 s10, 0, s9
	v_rcp_iflag_f32_e32 v2, v2
	v_mul_f32_e32 v2, 0x4f7ffffe, v2
	v_cvt_u32_f32_e32 v2, v2
	v_readfirstlane_b32 s11, v2
	s_mul_i32 s10, s10, s11
	s_mul_hi_u32 s10, s11, s10
	s_add_i32 s11, s11, s10
	s_mul_hi_u32 s10, s8, s11
	s_mul_i32 s11, s10, s9
	s_sub_i32 s11, s8, s11
	s_add_i32 s12, s10, 1
	s_sub_i32 s13, s11, s9
	s_cmp_ge_u32 s11, s9
	s_cselect_b32 s10, s12, s10
	s_cselect_b32 s11, s13, s11
	s_add_i32 s12, s10, 1
	s_cmp_ge_u32 s11, s9
	s_cselect_b32 s30, s12, s10
	s_abs_i32 s9, s25
	v_cvt_f32_u32_e32 v2, s9
	s_lshl_b32 s8, s8, 2
	s_mul_i32 s12, s30, s3
	s_xor_b32 s10, s3, s25
	v_rcp_iflag_f32_e32 v2, v2
	s_sub_i32 s13, 0, s9
	s_sub_i32 s25, s8, s12
	s_abs_i32 s11, s3
	v_mul_f32_e32 v2, 0x4f7ffffe, v2
	v_cvt_u32_f32_e32 v2, v2
	s_ashr_i32 s10, s10, 31
	v_readfirstlane_b32 s8, v2
	s_mul_i32 s13, s13, s8
	s_mul_hi_u32 s12, s8, s13
	s_add_i32 s8, s8, s12
	s_mul_hi_u32 s8, s11, s8
	s_mul_i32 s12, s8, s9
	s_sub_i32 s11, s11, s12
	s_add_i32 s13, s8, 1
	s_sub_i32 s12, s11, s9
	s_cmp_ge_u32 s11, s9
	s_cselect_b32 s8, s13, s8
	s_cselect_b32 s11, s12, s11
	s_add_i32 s12, s8, 1
	s_cmp_ge_u32 s11, s9
	s_cselect_b32 s8, s12, s8
	s_xor_b32 s8, s8, s10
	s_sub_i32 s33, s8, s10
	s_abs_i32 s31, s33
	v_cvt_f32_u32_e32 v2, s31
	s_load_dwordx16 s[8:23], s[4:5], 0x0
	v_rcp_iflag_f32_e32 v2, v2
	s_waitcnt lgkmcnt(0)
	s_cmp_eq_u64 s[14:15], 0
	v_mul_f32_e32 v2, 0x4f7ffffe, v2
	v_cvt_u32_f32_e32 v2, v2
	v_readfirstlane_b32 s34, v2
	s_cbranch_scc1 .LBB27_2
; %bb.1:
	s_abs_i32 s28, s28
	v_cvt_f32_u32_e32 v2, s28
	s_sub_i32 s37, 0, s28
	s_abs_i32 s36, s30
	s_ashr_i32 s35, s30, 31
	v_rcp_iflag_f32_e32 v2, v2
	s_load_dwordx2 s[26:27], s[4:5], 0xc8
	v_mul_f32_e32 v2, 0x4f7ffffe, v2
	v_cvt_u32_f32_e32 v2, v2
	v_readfirstlane_b32 s38, v2
	s_mul_i32 s37, s37, s38
	s_mul_hi_u32 s37, s38, s37
	s_add_i32 s38, s38, s37
	s_mul_hi_u32 s37, s36, s38
	s_mul_i32 s37, s37, s28
	s_sub_i32 s36, s36, s37
	s_sub_i32 s37, s36, s28
	s_cmp_ge_u32 s36, s28
	s_cselect_b32 s36, s37, s36
	s_sub_i32 s37, s36, s28
	s_cmp_ge_u32 s36, s28
	s_cselect_b32 s28, s37, s36
	s_xor_b32 s28, s28, s35
	s_sub_i32 s28, s28, s35
	s_ashr_i32 s35, s28, 31
	s_waitcnt lgkmcnt(0)
	s_mul_hi_u32 s36, s26, s28
	s_mul_i32 s35, s26, s35
	s_mul_i32 s27, s27, s28
	s_add_i32 s35, s36, s35
	s_add_i32 s35, s35, s27
	s_mul_i32 s26, s26, s28
	s_add_u32 s26, s14, s26
	s_addc_u32 s27, s15, s35
.LBB27_2:
	v_lshrrev_b32_e32 v2, 1, v1
	s_load_dwordx4 s[36:39], s[4:5], 0x70
	v_lshl_add_u32 v13, s6, 1, v2
	v_mul_hi_u32 v2, s0, v13
	v_lshlrev_b32_e32 v9, 3, v0
	s_waitcnt lgkmcnt(0)
	s_mul_i32 s0, s30, s38
	v_add_u32_e32 v2, v13, v2
	s_ashr_i32 s15, s0, 31
	v_lshrrev_b32_e32 v2, s1, v2
	s_mul_i32 s14, s25, s37
	s_add_u32 s0, s8, s0
	v_mul_lo_u32 v2, v2, s2
	s_addc_u32 s8, s9, s15
	s_ashr_i32 s9, s14, 31
	s_add_u32 s14, s0, s14
	s_addc_u32 s15, s8, s9
	s_ashr_i32 s1, s37, 31
	s_mov_b32 s0, s37
	s_ashr_i32 s37, s36, 31
	v_sub_u32_e32 v2, v13, v2
	s_lshr_b64 s[8:9], s[36:37], 2
	v_mad_u64_u32 v[3:4], s[8:9], s8, v2, 0
	s_lshr_b32 s8, s37, 2
	v_mov_b32_e32 v6, s15
	v_mad_u64_u32 v[4:5], s[8:9], s8, v2, v[4:5]
	v_lshlrev_b32_e32 v5, 1, v1
	s_lshr_b64 s[8:9], s[0:1], 2
	v_lshlrev_b64 v[3:4], 2, v[3:4]
	v_and_b32_e32 v14, 2, v5
	v_add_co_u32_e32 v7, vcc, s14, v3
	s_lshr_b32 s9, s1, 2
	v_or_b32_e32 v11, 1, v5
	v_addc_co_u32_e32 v8, vcc, v6, v4, vcc
	v_mul_lo_u32 v10, s9, v14
	v_mad_u64_u32 v[3:4], s[0:1], s8, v14, 0
	v_and_b32_e32 v12, 3, v11
	v_mad_u64_u32 v[5:6], s[0:1], s8, v12, 0
	v_or_b32_e32 v4, v4, v10
	v_add_co_u32_e32 v9, vcc, v7, v9
	v_lshlrev_b64 v[3:4], 2, v[3:4]
	v_mad_u64_u32 v[6:7], s[0:1], s9, v12, v[6:7]
	v_addc_co_u32_e32 v15, vcc, 0, v8, vcc
	v_add_co_u32_e32 v3, vcc, v9, v3
	v_addc_co_u32_e32 v4, vcc, v15, v4, vcc
	global_load_dwordx2 v[7:8], v[3:4], off
	v_lshlrev_b64 v[3:4], 2, v[5:6]
	s_load_dword s0, s[4:5], 0x40
	v_add_co_u32_e32 v3, vcc, v9, v3
	v_addc_co_u32_e32 v4, vcc, v15, v4, vcc
	global_load_dwordx2 v[4:5], v[3:4], off
	v_mov_b32_e32 v6, 0x1200
	v_lshlrev_b32_e32 v3, 8, v1
	v_lshl_or_b32 v6, v0, 2, v6
	v_add_u32_e32 v9, v6, v3
	s_cmp_eq_u64 s[18:19], 0
	v_lshl_add_u32 v6, v11, 7, v6
	s_waitcnt vmcnt(1) lgkmcnt(0)
	v_fma_mixlo_f16 v8, s0, v8, 0
	v_fma_mixlo_f16 v7, s0, v7, 0
	v_lshlrev_b32_e32 v8, 16, v8
	v_or_b32_sdwa v7, v8, v7 dst_sel:DWORD dst_unused:UNUSED_PAD src0_sel:DWORD src1_sel:WORD_0
	s_waitcnt vmcnt(0)
	v_fma_mixlo_f16 v5, s0, v5, 0
	v_fma_mixlo_f16 v4, s0, v4, 0
	v_lshlrev_b32_e32 v5, 16, v5
	v_or_b32_sdwa v4, v5, v4 dst_sel:DWORD dst_unused:UNUSED_PAD src0_sel:DWORD src1_sel:WORD_0
	ds_write_b32 v9, v7
	ds_write_b32 v6, v4
	s_waitcnt lgkmcnt(0)
	s_barrier
	s_cbranch_scc1 .LBB27_4
; %bb.3:
	s_load_dword s0, s[4:5], 0xd0
	s_mov_b32 s1, 0
	s_waitcnt lgkmcnt(0)
	s_mul_i32 s0, s0, s30
	s_add_i32 s0, s0, s6
	s_lshl_b64 s[0:1], s[0:1], 2
	s_add_u32 s0, s18, s0
	s_addc_u32 s1, s19, s1
	s_load_dword s24, s[0:1], 0x0
.LBB27_4:
	s_lshl_b32 s6, s7, 5
	s_waitcnt lgkmcnt(0)
	s_cmp_lt_i32 s6, s24
	v_mbcnt_lo_u32_b32 v7, -1, 0
	s_cbranch_scc1 .LBB27_7
; %bb.5:
	v_mbcnt_hi_u32_b32 v15, -1, v7
	v_and_b32_e32 v4, 0x60, v15
	v_add_u32_e32 v16, 32, v4
	v_xor_b32_e32 v21, 16, v15
	v_xor_b32_e32 v20, 8, v15
	;; [unrolled: 1-line block ×5, first 2 shown]
	s_cbranch_execz .LBB27_8
; %bb.6:
	v_mov_b32_e32 v38, 0
	v_mov_b32_e32 v1, 0
	;; [unrolled: 1-line block ×6, first 2 shown]
	s_branch .LBB27_10
.LBB27_7:
                                        ; implicit-def: $vgpr15
                                        ; implicit-def: $vgpr16
                                        ; implicit-def: $vgpr21
                                        ; implicit-def: $vgpr20
                                        ; implicit-def: $vgpr19
                                        ; implicit-def: $vgpr18
                                        ; implicit-def: $vgpr17
.LBB27_8:
	s_sub_i32 s0, 0, s31
	s_mul_i32 s0, s0, s34
	s_mul_hi_u32 s0, s34, s0
	s_add_i32 s34, s34, s0
	s_load_dwordx2 s[0:1], s[4:5], 0x8c
	s_load_dwordx4 s[36:39], s[4:5], 0x98
	s_abs_i32 s18, s25
	s_mul_hi_u32 s19, s18, s34
	s_ashr_i32 s28, s25, 31
	s_waitcnt lgkmcnt(0)
	s_ashr_i32 s15, s0, 2
	s_ashr_i32 s0, s30, 31
	s_mul_hi_u32 s34, s36, s30
	s_mul_i32 s35, s36, s0
	s_add_i32 s34, s34, s35
	s_mul_i32 s35, s37, s30
	s_ashr_i32 s33, s33, 31
	s_ashr_i32 s14, s38, 2
	;; [unrolled: 1-line block ×3, first 2 shown]
	s_add_i32 s34, s34, s35
	s_mul_i32 s35, s36, s30
	s_add_u32 s10, s10, s35
	s_addc_u32 s11, s11, s34
	s_xor_b32 s28, s28, s33
	s_mul_i32 s33, s19, s31
	s_sub_i32 s18, s18, s33
	s_add_i32 s33, s19, 1
	s_sub_i32 s34, s18, s31
	s_cmp_ge_u32 s18, s31
	s_cselect_b32 s19, s33, s19
	s_cselect_b32 s18, s34, s18
	s_add_i32 s33, s19, 1
	s_cmp_ge_u32 s18, s31
	s_load_dwordx2 s[8:9], s[4:5], 0xa8
	s_cselect_b32 s18, s33, s19
	s_xor_b32 s18, s18, s28
	s_sub_i32 s18, s18, s28
	s_mul_i32 s1, s18, s1
	s_ashr_i32 s19, s1, 31
	s_add_u32 s10, s10, s1
	s_waitcnt lgkmcnt(0)
	s_mul_hi_u32 s1, s8, s30
	s_mul_i32 s0, s8, s0
	s_addc_u32 s11, s11, s19
	s_add_i32 s0, s1, s0
	s_mul_i32 s1, s9, s30
	v_lshrrev_b32_e32 v4, 3, v0
	s_add_i32 s0, s0, s1
	s_mul_i32 s1, s8, s30
	v_lshl_add_u32 v6, v1, 2, v4
	s_add_u32 s1, s12, s1
	s_mul_i32 s18, s18, s39
	v_mul_lo_u32 v4, s15, v6
	v_mul_lo_u32 v35, s14, v6
	s_addc_u32 s0, s13, s0
	s_ashr_i32 s8, s18, 31
	v_lshlrev_b32_e32 v22, 2, v0
	s_add_u32 s12, s1, s18
	v_and_b32_e32 v10, 28, v22
	s_addc_u32 s13, s0, s8
	v_lshlrev_b32_e32 v11, 2, v10
	s_movk_i32 s0, 0x90
	v_mad_u32_u24 v23, v6, s0, v11
	v_lshl_add_u32 v8, s15, 4, v4
	v_add_u32_e32 v26, 0x1200, v3
	v_mad_u64_u32 v[2:3], s[0:1], v2, s29, v[0:1]
	v_lshl_add_u32 v37, s14, 4, v35
	v_ashrrev_i32_e32 v5, 31, v4
	v_ashrrev_i32_e32 v9, 31, v8
	v_mov_b32_e32 v3, 0x1600
	v_ashrrev_i32_e32 v36, 31, v35
	v_ashrrev_i32_e32 v38, 31, v37
	v_mbcnt_hi_u32_b32 v15, -1, v7
	v_lshl_add_u32 v27, v1, 7, v3
	v_lshl_or_b32 v28, v6, 7, v11
	s_add_u32 s0, s4, 0xd0
	v_lshlrev_b64 v[3:4], 2, v[4:5]
	v_lshlrev_b32_e32 v31, 2, v10
	v_lshlrev_b64 v[5:6], 2, v[8:9]
	v_and_b32_e32 v1, 0x60, v15
	v_lshlrev_b64 v[7:8], 2, v[35:36]
	v_lshlrev_b64 v[9:10], 2, v[37:38]
	v_mov_b32_e32 v29, 0
	v_add_u32_e32 v24, 0x900, v23
	v_mul_u32_u24_e32 v25, 0x90, v0
	v_add_u32_e32 v30, 0x800, v28
	s_addc_u32 s1, s5, 0
	v_mov_b32_e32 v11, 0xfeffffff
	v_mov_b32_e32 v32, s27
	v_add_u32_e32 v16, 32, v1
	v_xor_b32_e32 v21, 16, v15
	v_xor_b32_e32 v20, 8, v15
	;; [unrolled: 1-line block ×5, first 2 shown]
	s_mov_b32 s18, 0x3fb8aa3b
	s_mov_b32 s19, 0xc2ce8ed0
	;; [unrolled: 1-line block ×3, first 2 shown]
	v_mov_b32_e32 v33, 0x7f800000
	s_mov_b32 s28, 0x10001
	v_add_u32_e32 v34, v27, v22
	v_add_u32_e32 v35, 0x400, v22
	v_add_u32_e32 v36, 0x800, v22
	v_add_u32_e32 v37, 0xc00, v22
	v_mov_b32_e32 v38, 0
	v_mov_b32_e32 v12, 0xfeffffff
	v_mov_b32_e32 v39, 0
	v_mov_b32_e32 v1, 0
.LBB27_9:                               ; =>This Inner Loop Header: Depth=1
	s_mul_hi_i32 s9, s6, s15
	s_mul_i32 s8, s6, s15
	s_lshl_b64 s[8:9], s[8:9], 2
	s_add_u32 s8, s10, s8
	s_addc_u32 s9, s11, s9
	v_mov_b32_e32 v40, v39
	v_mov_b32_e32 v41, v12
	;; [unrolled: 1-line block ×3, first 2 shown]
	v_add_co_u32_e32 v11, vcc, s8, v3
	v_mov_b32_e32 v12, s9
	v_addc_co_u32_e32 v12, vcc, v12, v4, vcc
	v_add_co_u32_e32 v11, vcc, v11, v31
	v_addc_co_u32_e32 v12, vcc, 0, v12, vcc
	global_load_dwordx4 v[42:45], v[11:12], off
	v_add_co_u32_e32 v11, vcc, s8, v5
	v_mov_b32_e32 v12, s9
	v_addc_co_u32_e32 v12, vcc, v12, v6, vcc
	v_add_co_u32_e32 v11, vcc, v11, v31
	v_addc_co_u32_e32 v12, vcc, 0, v12, vcc
	s_mul_hi_i32 s9, s6, s14
	s_mul_i32 s8, s6, s14
	s_lshl_b64 s[8:9], s[8:9], 2
	s_add_u32 s8, s12, s8
	s_addc_u32 s9, s13, s9
	s_waitcnt vmcnt(0)
	ds_write_b128 v23, v[42:45]
	global_load_dwordx4 v[42:45], v[11:12], off
	v_mov_b32_e32 v11, 0
	v_mov_b32_e32 v12, 0
	s_waitcnt vmcnt(0)
	ds_write_b128 v24, v[42:45]
	s_waitcnt lgkmcnt(0)
	s_barrier
	ds_read_b128 v[42:45], v25
	ds_read_b128 v[46:49], v26
	ds_read_b128 v[50:53], v26 offset:128
	s_waitcnt lgkmcnt(1)
	;;#ASMSTART
	v_dot2_f32_f16 v11, v42, v46, v11
	;;#ASMEND
	;;#ASMSTART
	v_dot2_f32_f16 v11, v43, v47, v11
	;;#ASMEND
	;;#ASMSTART
	v_dot2_f32_f16 v11, v44, v48, v11
	;;#ASMEND
	;;#ASMSTART
	v_dot2_f32_f16 v11, v45, v49, v11
	;;#ASMEND
	s_waitcnt lgkmcnt(0)
	;;#ASMSTART
	v_dot2_f32_f16 v12, v42, v50, v12
	;;#ASMEND
	;;#ASMSTART
	v_dot2_f32_f16 v12, v43, v51, v12
	;;#ASMEND
	;;#ASMSTART
	v_dot2_f32_f16 v12, v44, v52, v12
	;;#ASMEND
	;;#ASMSTART
	v_dot2_f32_f16 v12, v45, v53, v12
	;;#ASMEND
	ds_read_b128 v[42:45], v25 offset:16
	ds_read_b128 v[46:49], v26 offset:16
	ds_read_b128 v[50:53], v26 offset:144
	s_waitcnt lgkmcnt(1)
	;;#ASMSTART
	v_dot2_f32_f16 v11, v42, v46, v11
	;;#ASMEND
	;;#ASMSTART
	v_dot2_f32_f16 v11, v43, v47, v11
	;;#ASMEND
	;;#ASMSTART
	v_dot2_f32_f16 v11, v44, v48, v11
	;;#ASMEND
	;;#ASMSTART
	v_dot2_f32_f16 v11, v45, v49, v11
	;;#ASMEND
	s_waitcnt lgkmcnt(0)
	;;#ASMSTART
	v_dot2_f32_f16 v12, v42, v50, v12
	;;#ASMEND
	;;#ASMSTART
	v_dot2_f32_f16 v12, v43, v51, v12
	;;#ASMEND
	;;#ASMSTART
	v_dot2_f32_f16 v12, v44, v52, v12
	;;#ASMEND
	;;#ASMSTART
	v_dot2_f32_f16 v12, v45, v53, v12
	;;#ASMEND
	ds_read_b128 v[42:45], v25 offset:32
	ds_read_b128 v[46:49], v26 offset:32
	;; [unrolled: 29-line block ×7, first 2 shown]
	ds_read_b128 v[50:53], v26 offset:240
	s_waitcnt lgkmcnt(1)
	;;#ASMSTART
	v_dot2_f32_f16 v11, v42, v46, v11
	;;#ASMEND
	;;#ASMSTART
	v_dot2_f32_f16 v11, v43, v47, v11
	;;#ASMEND
	;; [unrolled: 3-line block ×4, first 2 shown]
	s_waitcnt lgkmcnt(0)
	;;#ASMSTART
	v_dot2_f32_f16 v12, v42, v50, v12
	;;#ASMEND
	v_add_u32_e32 v42, s6, v2
	;;#ASMSTART
	v_dot2_f32_f16 v12, v43, v51, v12
	;;#ASMEND
	v_ashrrev_i32_e32 v43, 31, v42
	v_lshlrev_b64 v[42:43], 1, v[42:43]
	;;#ASMSTART
	v_dot2_f32_f16 v12, v44, v52, v12
	;;#ASMEND
	v_add_co_u32_e32 v42, vcc, s26, v42
	v_addc_co_u32_e32 v43, vcc, v32, v43, vcc
	;;#ASMSTART
	v_dot2_f32_f16 v12, v45, v53, v12
	;;#ASMEND
	global_load_ushort v42, v[42:43], off
	v_cmp_lt_i32_e32 vcc, v21, v16
	v_cndmask_b32_e32 v43, v15, v21, vcc
	v_max_f32_e32 v49, v39, v39
	v_lshlrev_b32_e32 v43, 2, v43
	v_cmp_lt_i32_e32 vcc, v20, v16
	v_cndmask_b32_e32 v44, v15, v20, vcc
	v_lshlrev_b32_e32 v44, 2, v44
	v_cmp_lt_i32_e32 vcc, v19, v16
	v_cndmask_b32_e32 v45, v15, v19, vcc
	;; [unrolled: 3-line block ×4, first 2 shown]
	v_lshlrev_b32_e32 v47, 2, v47
	s_waitcnt vmcnt(0)
	s_barrier
	v_cvt_f32_f16_e32 v42, v42
	v_add_f32_e32 v48, v11, v42
	v_add_f32_e32 v11, 0x40051340, v48
	v_max_f32_e32 v11, v49, v11
	ds_bpermute_b32 v49, v43, v11
	v_add_f32_e32 v42, v12, v42
	v_add_f32_e32 v12, 0x40051340, v42
	s_waitcnt lgkmcnt(0)
	v_max_f32_e32 v49, v49, v49
	v_max_f32_e32 v11, v11, v49
	ds_bpermute_b32 v49, v44, v11
	s_waitcnt lgkmcnt(0)
	v_max_f32_e32 v49, v49, v49
	v_max_f32_e32 v11, v11, v49
	ds_bpermute_b32 v49, v45, v11
	;; [unrolled: 4-line block ×4, first 2 shown]
	s_waitcnt lgkmcnt(0)
	v_max_f32_e32 v49, v49, v49
	v_max_f32_e32 v11, v11, v49
	;; [unrolled: 1-line block ×4, first 2 shown]
	ds_bpermute_b32 v43, v43, v12
	v_sub_f32_e32 v39, v39, v11
	v_cmp_ngt_f32_e32 vcc, s19, v39
	s_waitcnt lgkmcnt(0)
	v_max_f32_e32 v43, v43, v43
	v_max_f32_e32 v12, v12, v43
	ds_bpermute_b32 v43, v44, v12
	s_waitcnt lgkmcnt(0)
	v_max_f32_e32 v43, v43, v43
	v_max_f32_e32 v12, v12, v43
	ds_bpermute_b32 v43, v45, v12
	;; [unrolled: 4-line block ×4, first 2 shown]
	s_waitcnt lgkmcnt(0)
	v_max_f32_e32 v43, v43, v43
	v_max_f32_e32 v12, v12, v43
	v_mul_f32_e32 v43, 0x3fb8aa3b, v39
	v_fma_f32 v44, v39, s18, -v43
	v_rndne_f32_e32 v45, v43
	v_fmac_f32_e32 v44, 0x32a5705f, v39
	v_sub_f32_e32 v43, v43, v45
	v_add_f32_e32 v43, v43, v44
	v_exp_f32_e32 v43, v43
	v_cvt_i32_f32_e32 v44, v45
	v_sub_f32_e32 v41, v41, v12
	v_sub_f32_e32 v42, v42, v12
	v_ldexp_f32 v43, v43, v44
	v_cndmask_b32_e32 v43, 0, v43, vcc
	v_cmp_nlt_f32_e32 vcc, s27, v39
	v_sub_f32_e32 v39, v48, v11
	v_mul_f32_e32 v44, 0x3fb8aa3b, v39
	v_fma_f32 v45, v39, s18, -v44
	v_rndne_f32_e32 v46, v44
	v_fmac_f32_e32 v45, 0x32a5705f, v39
	v_sub_f32_e32 v44, v44, v46
	v_add_f32_e32 v44, v44, v45
	v_exp_f32_e32 v44, v44
	v_cvt_i32_f32_e32 v45, v46
	v_cndmask_b32_e32 v43, v33, v43, vcc
	v_cmp_ngt_f32_e32 vcc, s19, v39
	v_ldexp_f32 v44, v44, v45
	v_cndmask_b32_e32 v44, 0, v44, vcc
	v_cmp_nlt_f32_e32 vcc, s27, v39
	v_cndmask_b32_e32 v39, v33, v44, vcc
	v_cvt_f16_f32_e32 v44, v39
	v_fmac_f32_e32 v39, v40, v43
	v_cvt_f16_f32_e32 v40, v43
	v_mul_f32_e32 v43, 0x3fb8aa3b, v41
	v_fma_f32 v45, v41, s18, -v43
	v_rndne_f32_e32 v46, v43
	v_fmac_f32_e32 v45, 0x32a5705f, v41
	v_sub_f32_e32 v43, v43, v46
	v_add_f32_e32 v43, v43, v45
	v_exp_f32_e32 v43, v43
	v_cvt_i32_f32_e32 v45, v46
	v_cmp_ngt_f32_e32 vcc, s19, v41
	v_mul_u32_u24_e32 v40, 0x10001, v40
	v_ldexp_f32 v43, v43, v45
	v_cndmask_b32_e32 v43, 0, v43, vcc
	v_cmp_nlt_f32_e32 vcc, s27, v41
	v_cndmask_b32_e32 v41, v33, v43, vcc
	v_mul_f32_e32 v43, 0x3fb8aa3b, v42
	v_fma_f32 v45, v42, s18, -v43
	v_rndne_f32_e32 v46, v43
	v_fmac_f32_e32 v45, 0x32a5705f, v42
	v_sub_f32_e32 v43, v43, v46
	v_add_f32_e32 v43, v43, v45
	v_exp_f32_e32 v43, v43
	v_cvt_i32_f32_e32 v45, v46
	v_cmp_ngt_f32_e32 vcc, s19, v42
	v_ldexp_f32 v43, v43, v45
	v_cndmask_b32_e32 v43, 0, v43, vcc
	v_cmp_nlt_f32_e32 vcc, s27, v42
	v_cndmask_b32_e32 v42, v33, v43, vcc
	v_cvt_f16_f32_e32 v43, v42
	v_mov_b32_e32 v45, v1
	v_mov_b32_e32 v1, v42
	v_fmac_f32_e32 v1, v45, v41
	v_pack_b32_f16 v42, v44, v43
	ds_write_b32 v34, v42
	v_add_co_u32_e32 v42, vcc, s8, v7
	v_mov_b32_e32 v43, s9
	v_addc_co_u32_e32 v43, vcc, v43, v8, vcc
	v_add_co_u32_e32 v42, vcc, v42, v31
	v_addc_co_u32_e32 v43, vcc, 0, v43, vcc
	v_add_co_u32_e32 v44, vcc, s8, v9
	v_mov_b32_e32 v45, s9
	v_addc_co_u32_e32 v45, vcc, v45, v10, vcc
	v_add_co_u32_e32 v46, vcc, v44, v31
	v_addc_co_u32_e32 v47, vcc, 0, v45, vcc
	global_load_dwordx4 v[42:45], v[42:43], off
	v_cvt_f16_f32_e32 v41, v41
	v_mul_u32_u24_e32 v41, 0x10001, v41
	s_waitcnt vmcnt(0)
	ds_write_b128 v28, v[42:45]
	global_load_dwordx4 v[42:45], v[46:47], off
	s_waitcnt vmcnt(0)
	ds_write_b128 v30, v[42:45]
	s_waitcnt lgkmcnt(0)
	s_barrier
	ds_read2_b32 v[58:59], v22 offset1:32
	ds_read_b128 v[42:45], v27
	ds_read_b128 v[46:49], v27 offset:16
	ds_read_b128 v[50:53], v27 offset:32
	;; [unrolled: 1-line block ×3, first 2 shown]
	s_waitcnt lgkmcnt(3)
	v_mul_u32_u24_sdwa v60, v42, s28 dst_sel:DWORD dst_unused:UNUSED_PAD src0_sel:WORD_0 src1_sel:DWORD
	v_mul_u32_u24_sdwa v42, v42, s28 dst_sel:DWORD dst_unused:UNUSED_PAD src0_sel:WORD_1 src1_sel:DWORD
	v_pk_mul_f16 v60, v58, v60
	v_pk_fma_f16 v38, v38, v40, v60
	v_pk_mul_f16 v40, v58, v42
	v_pk_fma_f16 v29, v29, v41, v40
	v_mul_u32_u24_sdwa v40, v43, s28 dst_sel:DWORD dst_unused:UNUSED_PAD src0_sel:WORD_0 src1_sel:DWORD
	v_mul_u32_u24_sdwa v41, v43, s28 dst_sel:DWORD dst_unused:UNUSED_PAD src0_sel:WORD_1 src1_sel:DWORD
	v_pk_fma_f16 v38, v59, v40, v38
	v_pk_fma_f16 v29, v59, v41, v29
	ds_read2_b32 v[40:41], v22 offset0:64 offset1:96
	v_mul_u32_u24_sdwa v42, v44, s28 dst_sel:DWORD dst_unused:UNUSED_PAD src0_sel:WORD_0 src1_sel:DWORD
	v_mul_u32_u24_sdwa v43, v44, s28 dst_sel:DWORD dst_unused:UNUSED_PAD src0_sel:WORD_1 src1_sel:DWORD
	s_waitcnt lgkmcnt(0)
	v_pk_fma_f16 v38, v40, v42, v38
	v_pk_fma_f16 v29, v40, v43, v29
	v_mul_u32_u24_sdwa v40, v45, s28 dst_sel:DWORD dst_unused:UNUSED_PAD src0_sel:WORD_0 src1_sel:DWORD
	v_mul_u32_u24_sdwa v42, v45, s28 dst_sel:DWORD dst_unused:UNUSED_PAD src0_sel:WORD_1 src1_sel:DWORD
	v_pk_fma_f16 v38, v41, v40, v38
	v_pk_fma_f16 v29, v41, v42, v29
	ds_read2_b32 v[40:41], v22 offset0:128 offset1:160
	v_mul_u32_u24_sdwa v42, v46, s28 dst_sel:DWORD dst_unused:UNUSED_PAD src0_sel:WORD_0 src1_sel:DWORD
	v_mul_u32_u24_sdwa v43, v46, s28 dst_sel:DWORD dst_unused:UNUSED_PAD src0_sel:WORD_1 src1_sel:DWORD
	s_waitcnt lgkmcnt(0)
	v_pk_fma_f16 v38, v40, v42, v38
	;; [unrolled: 10-line block ×3, first 2 shown]
	v_pk_fma_f16 v29, v40, v43, v29
	v_mul_u32_u24_sdwa v40, v49, s28 dst_sel:DWORD dst_unused:UNUSED_PAD src0_sel:WORD_0 src1_sel:DWORD
	v_mul_u32_u24_sdwa v42, v49, s28 dst_sel:DWORD dst_unused:UNUSED_PAD src0_sel:WORD_1 src1_sel:DWORD
	v_pk_fma_f16 v38, v41, v40, v38
	v_pk_fma_f16 v29, v41, v42, v29
	ds_read2_b32 v[40:41], v35 offset1:32
	v_mul_u32_u24_sdwa v42, v50, s28 dst_sel:DWORD dst_unused:UNUSED_PAD src0_sel:WORD_0 src1_sel:DWORD
	v_mul_u32_u24_sdwa v43, v50, s28 dst_sel:DWORD dst_unused:UNUSED_PAD src0_sel:WORD_1 src1_sel:DWORD
	s_waitcnt lgkmcnt(0)
	v_pk_fma_f16 v38, v40, v42, v38
	v_pk_fma_f16 v29, v40, v43, v29
	v_mul_u32_u24_sdwa v40, v51, s28 dst_sel:DWORD dst_unused:UNUSED_PAD src0_sel:WORD_0 src1_sel:DWORD
	v_mul_u32_u24_sdwa v42, v51, s28 dst_sel:DWORD dst_unused:UNUSED_PAD src0_sel:WORD_1 src1_sel:DWORD
	v_pk_fma_f16 v38, v41, v40, v38
	v_pk_fma_f16 v29, v41, v42, v29
	ds_read2_b32 v[40:41], v35 offset0:64 offset1:96
	v_mul_u32_u24_sdwa v42, v52, s28 dst_sel:DWORD dst_unused:UNUSED_PAD src0_sel:WORD_0 src1_sel:DWORD
	v_mul_u32_u24_sdwa v43, v52, s28 dst_sel:DWORD dst_unused:UNUSED_PAD src0_sel:WORD_1 src1_sel:DWORD
	s_waitcnt lgkmcnt(0)
	v_pk_fma_f16 v38, v40, v42, v38
	v_pk_fma_f16 v29, v40, v43, v29
	v_mul_u32_u24_sdwa v40, v53, s28 dst_sel:DWORD dst_unused:UNUSED_PAD src0_sel:WORD_0 src1_sel:DWORD
	v_mul_u32_u24_sdwa v42, v53, s28 dst_sel:DWORD dst_unused:UNUSED_PAD src0_sel:WORD_1 src1_sel:DWORD
	v_pk_fma_f16 v38, v41, v40, v38
	v_pk_fma_f16 v29, v41, v42, v29
	ds_read2_b32 v[40:41], v35 offset0:128 offset1:160
	;; [unrolled: 10-line block ×3, first 2 shown]
	v_mul_u32_u24_sdwa v42, v56, s28 dst_sel:DWORD dst_unused:UNUSED_PAD src0_sel:WORD_0 src1_sel:DWORD
	v_mul_u32_u24_sdwa v43, v56, s28 dst_sel:DWORD dst_unused:UNUSED_PAD src0_sel:WORD_1 src1_sel:DWORD
	s_waitcnt lgkmcnt(0)
	v_pk_fma_f16 v38, v40, v42, v38
	v_pk_fma_f16 v29, v40, v43, v29
	v_mul_u32_u24_sdwa v40, v57, s28 dst_sel:DWORD dst_unused:UNUSED_PAD src0_sel:WORD_0 src1_sel:DWORD
	v_mul_u32_u24_sdwa v42, v57, s28 dst_sel:DWORD dst_unused:UNUSED_PAD src0_sel:WORD_1 src1_sel:DWORD
	v_pk_fma_f16 v38, v41, v40, v38
	v_pk_fma_f16 v29, v41, v42, v29
	ds_read2_b32 v[44:45], v36 offset1:32
	ds_read_b128 v[40:43], v27 offset:64
	s_waitcnt lgkmcnt(0)
	v_mul_u32_u24_sdwa v46, v40, s28 dst_sel:DWORD dst_unused:UNUSED_PAD src0_sel:WORD_0 src1_sel:DWORD
	v_mul_u32_u24_sdwa v40, v40, s28 dst_sel:DWORD dst_unused:UNUSED_PAD src0_sel:WORD_1 src1_sel:DWORD
	v_pk_fma_f16 v38, v44, v46, v38
	v_pk_fma_f16 v29, v44, v40, v29
	v_mul_u32_u24_sdwa v40, v41, s28 dst_sel:DWORD dst_unused:UNUSED_PAD src0_sel:WORD_0 src1_sel:DWORD
	v_mul_u32_u24_sdwa v41, v41, s28 dst_sel:DWORD dst_unused:UNUSED_PAD src0_sel:WORD_1 src1_sel:DWORD
	v_pk_fma_f16 v38, v45, v40, v38
	v_pk_fma_f16 v29, v45, v41, v29
	ds_read2_b32 v[40:41], v36 offset0:64 offset1:96
	v_mul_u32_u24_sdwa v44, v42, s28 dst_sel:DWORD dst_unused:UNUSED_PAD src0_sel:WORD_0 src1_sel:DWORD
	v_mul_u32_u24_sdwa v42, v42, s28 dst_sel:DWORD dst_unused:UNUSED_PAD src0_sel:WORD_1 src1_sel:DWORD
	s_waitcnt lgkmcnt(0)
	v_pk_fma_f16 v38, v40, v44, v38
	v_pk_fma_f16 v29, v40, v42, v29
	v_mul_u32_u24_sdwa v40, v43, s28 dst_sel:DWORD dst_unused:UNUSED_PAD src0_sel:WORD_0 src1_sel:DWORD
	v_mul_u32_u24_sdwa v42, v43, s28 dst_sel:DWORD dst_unused:UNUSED_PAD src0_sel:WORD_1 src1_sel:DWORD
	v_pk_fma_f16 v38, v41, v40, v38
	v_pk_fma_f16 v29, v41, v42, v29
	ds_read2_b32 v[44:45], v36 offset0:128 offset1:160
	ds_read_b128 v[40:43], v27 offset:80
	s_waitcnt lgkmcnt(0)
	v_mul_u32_u24_sdwa v46, v40, s28 dst_sel:DWORD dst_unused:UNUSED_PAD src0_sel:WORD_0 src1_sel:DWORD
	v_mul_u32_u24_sdwa v40, v40, s28 dst_sel:DWORD dst_unused:UNUSED_PAD src0_sel:WORD_1 src1_sel:DWORD
	v_pk_fma_f16 v38, v44, v46, v38
	v_pk_fma_f16 v29, v44, v40, v29
	v_mul_u32_u24_sdwa v40, v41, s28 dst_sel:DWORD dst_unused:UNUSED_PAD src0_sel:WORD_0 src1_sel:DWORD
	v_mul_u32_u24_sdwa v41, v41, s28 dst_sel:DWORD dst_unused:UNUSED_PAD src0_sel:WORD_1 src1_sel:DWORD
	v_pk_fma_f16 v38, v45, v40, v38
	v_pk_fma_f16 v29, v45, v41, v29
	ds_read2_b32 v[40:41], v36 offset0:192 offset1:224
	v_mul_u32_u24_sdwa v44, v42, s28 dst_sel:DWORD dst_unused:UNUSED_PAD src0_sel:WORD_0 src1_sel:DWORD
	v_mul_u32_u24_sdwa v42, v42, s28 dst_sel:DWORD dst_unused:UNUSED_PAD src0_sel:WORD_1 src1_sel:DWORD
	s_waitcnt lgkmcnt(0)
	v_pk_fma_f16 v38, v40, v44, v38
	v_pk_fma_f16 v29, v40, v42, v29
	v_mul_u32_u24_sdwa v40, v43, s28 dst_sel:DWORD dst_unused:UNUSED_PAD src0_sel:WORD_0 src1_sel:DWORD
	v_mul_u32_u24_sdwa v42, v43, s28 dst_sel:DWORD dst_unused:UNUSED_PAD src0_sel:WORD_1 src1_sel:DWORD
	v_pk_fma_f16 v38, v41, v40, v38
	v_pk_fma_f16 v29, v41, v42, v29
	ds_read2_b32 v[44:45], v37 offset1:32
	ds_read_b128 v[40:43], v27 offset:96
	s_waitcnt lgkmcnt(0)
	v_mul_u32_u24_sdwa v46, v40, s28 dst_sel:DWORD dst_unused:UNUSED_PAD src0_sel:WORD_0 src1_sel:DWORD
	v_mul_u32_u24_sdwa v40, v40, s28 dst_sel:DWORD dst_unused:UNUSED_PAD src0_sel:WORD_1 src1_sel:DWORD
	v_pk_fma_f16 v38, v44, v46, v38
	v_pk_fma_f16 v29, v44, v40, v29
	v_mul_u32_u24_sdwa v40, v41, s28 dst_sel:DWORD dst_unused:UNUSED_PAD src0_sel:WORD_0 src1_sel:DWORD
	v_mul_u32_u24_sdwa v41, v41, s28 dst_sel:DWORD dst_unused:UNUSED_PAD src0_sel:WORD_1 src1_sel:DWORD
	v_pk_fma_f16 v38, v45, v40, v38
	v_pk_fma_f16 v29, v45, v41, v29
	ds_read2_b32 v[40:41], v37 offset0:64 offset1:96
	v_mul_u32_u24_sdwa v44, v42, s28 dst_sel:DWORD dst_unused:UNUSED_PAD src0_sel:WORD_0 src1_sel:DWORD
	v_mul_u32_u24_sdwa v42, v42, s28 dst_sel:DWORD dst_unused:UNUSED_PAD src0_sel:WORD_1 src1_sel:DWORD
	s_waitcnt lgkmcnt(0)
	v_pk_fma_f16 v38, v40, v44, v38
	v_pk_fma_f16 v29, v40, v42, v29
	v_mul_u32_u24_sdwa v40, v43, s28 dst_sel:DWORD dst_unused:UNUSED_PAD src0_sel:WORD_0 src1_sel:DWORD
	v_mul_u32_u24_sdwa v42, v43, s28 dst_sel:DWORD dst_unused:UNUSED_PAD src0_sel:WORD_1 src1_sel:DWORD
	v_pk_fma_f16 v38, v41, v40, v38
	v_pk_fma_f16 v29, v41, v42, v29
	ds_read2_b32 v[44:45], v37 offset0:128 offset1:160
	ds_read_b128 v[40:43], v27 offset:112
	s_waitcnt lgkmcnt(0)
	v_mul_u32_u24_sdwa v46, v40, s28 dst_sel:DWORD dst_unused:UNUSED_PAD src0_sel:WORD_0 src1_sel:DWORD
	v_mul_u32_u24_sdwa v40, v40, s28 dst_sel:DWORD dst_unused:UNUSED_PAD src0_sel:WORD_1 src1_sel:DWORD
	v_pk_fma_f16 v38, v44, v46, v38
	v_pk_fma_f16 v29, v44, v40, v29
	v_mul_u32_u24_sdwa v40, v41, s28 dst_sel:DWORD dst_unused:UNUSED_PAD src0_sel:WORD_0 src1_sel:DWORD
	v_mul_u32_u24_sdwa v41, v41, s28 dst_sel:DWORD dst_unused:UNUSED_PAD src0_sel:WORD_1 src1_sel:DWORD
	v_pk_fma_f16 v38, v45, v40, v38
	v_pk_fma_f16 v29, v45, v41, v29
	ds_read2_b32 v[40:41], v37 offset0:192 offset1:224
	s_waitcnt lgkmcnt(0)
	s_barrier
	s_load_dword s8, s[0:1], 0x4
	v_mul_u32_u24_sdwa v44, v42, s28 dst_sel:DWORD dst_unused:UNUSED_PAD src0_sel:WORD_0 src1_sel:DWORD
	v_mul_u32_u24_sdwa v42, v42, s28 dst_sel:DWORD dst_unused:UNUSED_PAD src0_sel:WORD_1 src1_sel:DWORD
	v_pk_fma_f16 v38, v40, v44, v38
	v_pk_fma_f16 v29, v40, v42, v29
	s_waitcnt lgkmcnt(0)
	s_lshl_b32 s8, s8, 5
	v_mul_u32_u24_sdwa v40, v43, s28 dst_sel:DWORD dst_unused:UNUSED_PAD src0_sel:WORD_0 src1_sel:DWORD
	v_mul_u32_u24_sdwa v42, v43, s28 dst_sel:DWORD dst_unused:UNUSED_PAD src0_sel:WORD_1 src1_sel:DWORD
	s_add_i32 s6, s8, s6
	v_pk_fma_f16 v38, v41, v40, v38
	v_pk_fma_f16 v29, v41, v42, v29
	s_cmp_ge_i32 s6, s24
	s_cbranch_scc0 .LBB27_9
.LBB27_10:
	v_cmp_lt_i32_e32 vcc, v21, v16
	v_cndmask_b32_e32 v2, v15, v21, vcc
	v_lshlrev_b32_e32 v2, 2, v2
	ds_bpermute_b32 v3, v2, v39
	ds_bpermute_b32 v2, v2, v1
	v_cmp_lt_i32_e32 vcc, v20, v16
	v_cndmask_b32_e32 v4, v15, v20, vcc
	v_lshlrev_b32_e32 v4, 2, v4
	s_waitcnt lgkmcnt(1)
	v_add_f32_e32 v3, v39, v3
	s_waitcnt lgkmcnt(0)
	v_add_f32_e32 v1, v1, v2
	ds_bpermute_b32 v6, v4, v3
	ds_bpermute_b32 v2, v4, v1
	v_cmp_lt_i32_e32 vcc, v19, v16
	v_cndmask_b32_e32 v4, v15, v19, vcc
	v_lshlrev_b32_e32 v4, 2, v4
	s_waitcnt lgkmcnt(1)
	v_add_f32_e32 v3, v3, v6
	s_waitcnt lgkmcnt(0)
	v_add_f32_e32 v1, v1, v2
	;; [unrolled: 9-line block ×4, first 2 shown]
	ds_bpermute_b32 v6, v4, v3
	ds_bpermute_b32 v4, v4, v2
	s_cmp_lg_u64 s[16:17], 0
	s_cselect_b64 s[0:1], -1, 0
	s_cmp_eq_u32 s7, 0
	s_cselect_b64 s[8:9], -1, 0
	s_and_b64 s[0:1], s[8:9], s[0:1]
	v_lshlrev_b32_e32 v5, 1, v0
	s_waitcnt lgkmcnt(1)
	v_add_f32_e32 v1, v3, v6
	s_waitcnt lgkmcnt(0)
	v_add_f32_e32 v2, v2, v4
	s_and_b64 vcc, exec, s[0:1]
	s_cbranch_vccz .LBB27_13
; %bb.11:
	v_add_u32_e32 v3, s25, v14
	v_ashrrev_i32_e32 v4, 31, v3
	v_lshlrev_b64 v[3:4], 2, v[3:4]
	v_mov_b32_e32 v6, s17
	v_add_co_u32_e32 v3, vcc, s16, v3
	v_addc_co_u32_e32 v4, vcc, v6, v4, vcc
	global_load_dwordx2 v[3:4], v[3:4], off
	v_max_f32_e32 v6, v11, v11
	v_max_f32_e32 v7, v12, v12
	s_mov_b32 s0, 0x3fb8aa3b
	s_mov_b32 s1, 0xc2ce8ed0
	s_mov_b32 s6, 0x42b17218
	v_mov_b32_e32 v8, 0x7f800000
	s_waitcnt vmcnt(0)
	v_max_f32_e32 v9, v3, v3
	v_max_f32_e32 v10, v4, v4
	;; [unrolled: 1-line block ×4, first 2 shown]
	v_sub_f32_e32 v9, v11, v6
	v_sub_f32_e32 v10, v12, v7
	v_mov_b32_e32 v12, v7
	v_sub_f32_e32 v3, v3, v6
	v_mov_b32_e32 v11, v6
	v_mul_f32_e32 v6, 0x3fb8aa3b, v9
	v_sub_f32_e32 v4, v4, v7
	v_mul_f32_e32 v7, 0x3fb8aa3b, v3
	v_fma_f32 v17, v9, s0, -v6
	v_rndne_f32_e32 v18, v6
	v_mul_f32_e32 v15, 0x3fb8aa3b, v10
	v_fma_f32 v19, v3, s0, -v7
	v_rndne_f32_e32 v20, v7
	v_fmac_f32_e32 v17, 0x32a5705f, v9
	v_sub_f32_e32 v6, v6, v18
	v_mul_f32_e32 v16, 0x3fb8aa3b, v4
	v_fma_f32 v21, v10, s0, -v15
	v_rndne_f32_e32 v22, v15
	v_fmac_f32_e32 v19, 0x32a5705f, v3
	v_sub_f32_e32 v7, v7, v20
	v_add_f32_e32 v6, v6, v17
	v_fma_f32 v23, v4, s0, -v16
	v_rndne_f32_e32 v24, v16
	v_cvt_i32_f32_e32 v18, v18
	v_fmac_f32_e32 v21, 0x32a5705f, v10
	v_sub_f32_e32 v15, v15, v22
	v_add_f32_e32 v7, v7, v19
	v_exp_f32_e32 v6, v6
	v_cvt_i32_f32_e32 v20, v20
	v_fmac_f32_e32 v23, 0x32a5705f, v4
	v_sub_f32_e32 v16, v16, v24
	v_add_f32_e32 v15, v15, v21
	v_exp_f32_e32 v7, v7
	v_cvt_i32_f32_e32 v22, v22
	v_add_f32_e32 v16, v16, v23
	v_exp_f32_e32 v15, v15
	v_cvt_i32_f32_e32 v24, v24
	v_exp_f32_e32 v16, v16
	v_ldexp_f32 v6, v6, v18
	v_cmp_ngt_f32_e32 vcc, s1, v9
	v_ldexp_f32 v7, v7, v20
	v_cndmask_b32_e32 v6, 0, v6, vcc
	v_cmp_ngt_f32_e32 vcc, s1, v3
	v_ldexp_f32 v15, v15, v22
	v_cndmask_b32_e32 v7, 0, v7, vcc
	;; [unrolled: 3-line block ×3, first 2 shown]
	v_cmp_ngt_f32_e32 vcc, s1, v4
	v_cndmask_b32_e32 v16, 0, v16, vcc
	v_cmp_nlt_f32_e32 vcc, s6, v9
	v_cndmask_b32_e32 v6, v8, v6, vcc
	v_cmp_nlt_f32_e32 vcc, s6, v3
	;; [unrolled: 2-line block ×4, first 2 shown]
	v_cndmask_b32_e32 v4, v8, v16, vcc
	v_fmac_f32_e32 v3, v1, v6
	v_cvt_f16_f32_e32 v6, v6
	v_cvt_f16_f32_e32 v8, v7
	v_fmac_f32_e32 v4, v2, v7
	v_mov_b32_e32 v1, v3
	v_mul_u32_u24_e32 v2, 0x10001, v6
	v_mul_u32_u24_e32 v6, 0x10001, v8
	v_pk_mul_f16 v38, v38, v2
	v_pk_mul_f16 v29, v29, v6
	v_mov_b32_e32 v2, v4
	v_cmp_gt_i32_e32 vcc, s2, v13
	s_and_saveexec_b64 s[0:1], vcc
	s_cbranch_execnz .LBB27_14
.LBB27_12:
	s_endpgm
.LBB27_13:
	v_mov_b32_e32 v4, v2
	v_mov_b32_e32 v3, v1
	v_cmp_gt_i32_e32 vcc, s2, v13
	s_and_saveexec_b64 s[0:1], vcc
	s_cbranch_execz .LBB27_12
.LBB27_14:
	s_load_dword s6, s[4:5], 0xd4
	v_mov_b32_e32 v6, 1.0
	s_waitcnt lgkmcnt(0)
	s_cmp_lg_u32 s6, 1
	s_cselect_b64 s[0:1], -1, 0
	s_cmp_eq_u32 s6, 1
	s_cselect_b64 s[4:5], -1, 0
	s_and_b64 vcc, exec, s[0:1]
	s_cbranch_vccnz .LBB27_16
; %bb.15:
	v_div_scale_f32 v6, s[8:9], v1, v1, 1.0
	v_div_scale_f32 v7, vcc, 1.0, v1, 1.0
	v_rcp_f32_e32 v8, v6
	v_fma_f32 v9, -v6, v8, 1.0
	v_fmac_f32_e32 v8, v9, v8
	v_mul_f32_e32 v9, v7, v8
	v_fma_f32 v10, -v6, v9, v7
	v_fmac_f32_e32 v9, v10, v8
	v_fma_f32 v6, -v6, v9, v7
	v_div_fmas_f32 v6, v6, v8, v9
	v_div_fixup_f32 v6, v6, v1, 1.0
.LBB27_16:
	s_mul_i32 s30, s30, s2
	v_add_u32_e32 v1, s30, v13
	v_mul_lo_u32 v1, v1, s3
	v_cmp_eq_u32_e32 vcc, 0, v0
	v_cvt_f32_f16_e32 v0, v38
	v_cvt_f32_f16_sdwa v8, v38 dst_sel:DWORD dst_unused:UNUSED_PAD src0_sel:WORD_1
	v_add3_u32 v1, s25, v14, v1
	v_mul_lo_u32 v1, s6, v1
	v_mul_f32_e32 v7, v6, v0
	v_mov_b32_e32 v10, 0
	s_and_b64 s[0:1], vcc, s[0:1]
	v_add_u32_e32 v0, s7, v1
	v_lshl_add_u32 v9, v0, 6, v5
	v_lshlrev_b64 v[9:10], 2, v[9:10]
	v_mov_b32_e32 v1, s21
	v_add_co_u32_e32 v9, vcc, s20, v9
	v_mul_f32_e32 v8, v6, v8
	v_addc_co_u32_e32 v10, vcc, v1, v10, vcc
	global_store_dwordx2 v[9:10], v[7:8], off
	s_and_saveexec_b64 s[2:3], s[0:1]
	s_cbranch_execz .LBB27_18
; %bb.17:
	v_ashrrev_i32_e32 v1, 31, v0
	v_lshlrev_b64 v[6:7], 3, v[0:1]
	v_mov_b32_e32 v1, s23
	v_add_co_u32_e32 v6, vcc, s22, v6
	v_addc_co_u32_e32 v7, vcc, v1, v7, vcc
	v_mov_b32_e32 v8, v11
	v_mov_b32_e32 v9, v3
	global_store_dwordx2 v[6:7], v[8:9], off
.LBB27_18:
	s_or_b64 exec, exec, s[2:3]
	s_andn2_b64 vcc, exec, s[4:5]
	v_mov_b32_e32 v1, 1.0
	s_cbranch_vccnz .LBB27_20
; %bb.19:
	v_div_scale_f32 v1, s[2:3], v2, v2, 1.0
	v_div_scale_f32 v3, vcc, 1.0, v2, 1.0
	v_rcp_f32_e32 v6, v1
	v_fma_f32 v7, -v1, v6, 1.0
	v_fmac_f32_e32 v6, v7, v6
	v_mul_f32_e32 v7, v3, v6
	v_fma_f32 v8, -v1, v7, v3
	v_fmac_f32_e32 v7, v8, v6
	v_fma_f32 v1, -v1, v7, v3
	v_div_fmas_f32 v1, v1, v6, v7
	v_div_fixup_f32 v1, v1, v2, 1.0
.LBB27_20:
	v_cvt_f32_f16_e32 v2, v29
	v_cvt_f32_f16_sdwa v3, v29 dst_sel:DWORD dst_unused:UNUSED_PAD src0_sel:WORD_1
	v_add_u32_e32 v0, s6, v0
	v_lshl_add_u32 v5, v0, 6, v5
	v_mov_b32_e32 v6, 0
	v_lshlrev_b64 v[5:6], 2, v[5:6]
	v_mul_f32_e32 v2, v1, v2
	v_mul_f32_e32 v3, v1, v3
	v_mov_b32_e32 v1, s21
	v_add_co_u32_e32 v5, vcc, s20, v5
	v_addc_co_u32_e32 v6, vcc, v1, v6, vcc
	global_store_dwordx2 v[5:6], v[2:3], off
	s_and_b64 exec, exec, s[0:1]
	s_cbranch_execz .LBB27_12
; %bb.21:
	v_ashrrev_i32_e32 v1, 31, v0
	v_lshlrev_b64 v[0:1], 3, v[0:1]
	v_mov_b32_e32 v2, s23
	v_add_co_u32_e32 v0, vcc, s22, v0
	v_addc_co_u32_e32 v1, vcc, v2, v1, vcc
	v_mov_b32_e32 v3, v12
	global_store_dwordx2 v[0:1], v[3:4], off
	s_endpgm
	.section	.rodata,"a",@progbits
	.p2align	6, 0x0
	.amdhsa_kernel _ZL15flash_attn_tileILi64ELi64ELi2ELi4ELb0EEvPKcS1_S1_S1_S1_PKiPfP15HIP_vector_typeIfLj2EEffffjfiS5_IjLj3EEiiiiiiiiiiiliiliiiiil
		.amdhsa_group_segment_fixed_size 6144
		.amdhsa_private_segment_fixed_size 0
		.amdhsa_kernarg_size 464
		.amdhsa_user_sgpr_count 6
		.amdhsa_user_sgpr_private_segment_buffer 1
		.amdhsa_user_sgpr_dispatch_ptr 0
		.amdhsa_user_sgpr_queue_ptr 0
		.amdhsa_user_sgpr_kernarg_segment_ptr 1
		.amdhsa_user_sgpr_dispatch_id 0
		.amdhsa_user_sgpr_flat_scratch_init 0
		.amdhsa_user_sgpr_private_segment_size 0
		.amdhsa_uses_dynamic_stack 0
		.amdhsa_system_sgpr_private_segment_wavefront_offset 0
		.amdhsa_system_sgpr_workgroup_id_x 1
		.amdhsa_system_sgpr_workgroup_id_y 1
		.amdhsa_system_sgpr_workgroup_id_z 1
		.amdhsa_system_sgpr_workgroup_info 0
		.amdhsa_system_vgpr_workitem_id 1
		.amdhsa_next_free_vgpr 61
		.amdhsa_next_free_sgpr 98
		.amdhsa_reserve_vcc 1
		.amdhsa_reserve_flat_scratch 0
		.amdhsa_float_round_mode_32 0
		.amdhsa_float_round_mode_16_64 0
		.amdhsa_float_denorm_mode_32 3
		.amdhsa_float_denorm_mode_16_64 3
		.amdhsa_dx10_clamp 1
		.amdhsa_ieee_mode 1
		.amdhsa_fp16_overflow 0
		.amdhsa_exception_fp_ieee_invalid_op 0
		.amdhsa_exception_fp_denorm_src 0
		.amdhsa_exception_fp_ieee_div_zero 0
		.amdhsa_exception_fp_ieee_overflow 0
		.amdhsa_exception_fp_ieee_underflow 0
		.amdhsa_exception_fp_ieee_inexact 0
		.amdhsa_exception_int_div_zero 0
	.end_amdhsa_kernel
	.section	.text._ZL15flash_attn_tileILi64ELi64ELi2ELi4ELb0EEvPKcS1_S1_S1_S1_PKiPfP15HIP_vector_typeIfLj2EEffffjfiS5_IjLj3EEiiiiiiiiiiiliiliiiiil,"axG",@progbits,_ZL15flash_attn_tileILi64ELi64ELi2ELi4ELb0EEvPKcS1_S1_S1_S1_PKiPfP15HIP_vector_typeIfLj2EEffffjfiS5_IjLj3EEiiiiiiiiiiiliiliiiiil,comdat
.Lfunc_end27:
	.size	_ZL15flash_attn_tileILi64ELi64ELi2ELi4ELb0EEvPKcS1_S1_S1_S1_PKiPfP15HIP_vector_typeIfLj2EEffffjfiS5_IjLj3EEiiiiiiiiiiiliiliiiiil, .Lfunc_end27-_ZL15flash_attn_tileILi64ELi64ELi2ELi4ELb0EEvPKcS1_S1_S1_S1_PKiPfP15HIP_vector_typeIfLj2EEffffjfiS5_IjLj3EEiiiiiiiiiiiliiliiiiil
                                        ; -- End function
	.set _ZL15flash_attn_tileILi64ELi64ELi2ELi4ELb0EEvPKcS1_S1_S1_S1_PKiPfP15HIP_vector_typeIfLj2EEffffjfiS5_IjLj3EEiiiiiiiiiiiliiliiiiil.num_vgpr, 61
	.set _ZL15flash_attn_tileILi64ELi64ELi2ELi4ELb0EEvPKcS1_S1_S1_S1_PKiPfP15HIP_vector_typeIfLj2EEffffjfiS5_IjLj3EEiiiiiiiiiiiliiliiiiil.num_agpr, 0
	.set _ZL15flash_attn_tileILi64ELi64ELi2ELi4ELb0EEvPKcS1_S1_S1_S1_PKiPfP15HIP_vector_typeIfLj2EEffffjfiS5_IjLj3EEiiiiiiiiiiiliiliiiiil.numbered_sgpr, 40
	.set _ZL15flash_attn_tileILi64ELi64ELi2ELi4ELb0EEvPKcS1_S1_S1_S1_PKiPfP15HIP_vector_typeIfLj2EEffffjfiS5_IjLj3EEiiiiiiiiiiiliiliiiiil.num_named_barrier, 0
	.set _ZL15flash_attn_tileILi64ELi64ELi2ELi4ELb0EEvPKcS1_S1_S1_S1_PKiPfP15HIP_vector_typeIfLj2EEffffjfiS5_IjLj3EEiiiiiiiiiiiliiliiiiil.private_seg_size, 0
	.set _ZL15flash_attn_tileILi64ELi64ELi2ELi4ELb0EEvPKcS1_S1_S1_S1_PKiPfP15HIP_vector_typeIfLj2EEffffjfiS5_IjLj3EEiiiiiiiiiiiliiliiiiil.uses_vcc, 1
	.set _ZL15flash_attn_tileILi64ELi64ELi2ELi4ELb0EEvPKcS1_S1_S1_S1_PKiPfP15HIP_vector_typeIfLj2EEffffjfiS5_IjLj3EEiiiiiiiiiiiliiliiiiil.uses_flat_scratch, 0
	.set _ZL15flash_attn_tileILi64ELi64ELi2ELi4ELb0EEvPKcS1_S1_S1_S1_PKiPfP15HIP_vector_typeIfLj2EEffffjfiS5_IjLj3EEiiiiiiiiiiiliiliiiiil.has_dyn_sized_stack, 0
	.set _ZL15flash_attn_tileILi64ELi64ELi2ELi4ELb0EEvPKcS1_S1_S1_S1_PKiPfP15HIP_vector_typeIfLj2EEffffjfiS5_IjLj3EEiiiiiiiiiiiliiliiiiil.has_recursion, 0
	.set _ZL15flash_attn_tileILi64ELi64ELi2ELi4ELb0EEvPKcS1_S1_S1_S1_PKiPfP15HIP_vector_typeIfLj2EEffffjfiS5_IjLj3EEiiiiiiiiiiiliiliiiiil.has_indirect_call, 0
	.section	.AMDGPU.csdata,"",@progbits
; Kernel info:
; codeLenInByte = 5784
; TotalNumSgprs: 44
; NumVgprs: 61
; ScratchSize: 0
; MemoryBound: 0
; FloatMode: 240
; IeeeMode: 1
; LDSByteSize: 6144 bytes/workgroup (compile time only)
; SGPRBlocks: 12
; VGPRBlocks: 15
; NumSGPRsForWavesPerEU: 102
; NumVGPRsForWavesPerEU: 61
; Occupancy: 4
; WaveLimiterHint : 1
; COMPUTE_PGM_RSRC2:SCRATCH_EN: 0
; COMPUTE_PGM_RSRC2:USER_SGPR: 6
; COMPUTE_PGM_RSRC2:TRAP_HANDLER: 0
; COMPUTE_PGM_RSRC2:TGID_X_EN: 1
; COMPUTE_PGM_RSRC2:TGID_Y_EN: 1
; COMPUTE_PGM_RSRC2:TGID_Z_EN: 1
; COMPUTE_PGM_RSRC2:TIDIG_COMP_CNT: 1
	.section	.text._ZL33flash_attn_stream_k_fixup_uniformILi64ELi2ELi4EEvPfPK15HIP_vector_typeIfLj2EEiiiiiiS1_IjLj3EES5_S5_,"axG",@progbits,_ZL33flash_attn_stream_k_fixup_uniformILi64ELi2ELi4EEvPfPK15HIP_vector_typeIfLj2EEiiiiiiS1_IjLj3EES5_S5_,comdat
	.globl	_ZL33flash_attn_stream_k_fixup_uniformILi64ELi2ELi4EEvPfPK15HIP_vector_typeIfLj2EEiiiiiiS1_IjLj3EES5_S5_ ; -- Begin function _ZL33flash_attn_stream_k_fixup_uniformILi64ELi2ELi4EEvPfPK15HIP_vector_typeIfLj2EEiiiiiiS1_IjLj3EES5_S5_
	.p2align	8
	.type	_ZL33flash_attn_stream_k_fixup_uniformILi64ELi2ELi4EEvPfPK15HIP_vector_typeIfLj2EEiiiiiiS1_IjLj3EES5_S5_,@function
_ZL33flash_attn_stream_k_fixup_uniformILi64ELi2ELi4EEvPfPK15HIP_vector_typeIfLj2EEiiiiiiS1_IjLj3EES5_S5_: ; @_ZL33flash_attn_stream_k_fixup_uniformILi64ELi2ELi4EEvPfPK15HIP_vector_typeIfLj2EEiiiiiiS1_IjLj3EES5_S5_
; %bb.0:
	s_load_dwordx8 s[12:19], s[4:5], 0x1c
	s_load_dwordx2 s[10:11], s[4:5], 0x10
	s_load_dwordx4 s[0:3], s[4:5], 0x3c
	s_waitcnt lgkmcnt(0)
	s_mul_hi_u32 s9, s15, s6
	s_add_i32 s9, s6, s9
	s_lshr_b32 s9, s9, s16
	s_mul_i32 s15, s9, s17
	s_sub_i32 s15, s6, s15
	s_mul_hi_u32 s16, s15, s18
	s_add_i32 s16, s15, s16
	s_lshr_b32 s16, s16, s19
	s_mul_i32 s0, s16, s0
	s_sub_i32 s0, s15, s0
	;; [unrolled: 5-line block ×3, first 2 shown]
	s_lshl_b32 s0, s17, 1
	s_lshl_b32 s15, s1, 2
	s_add_i32 s0, s0, s7
	s_cmp_lt_i32 s0, s10
	s_cselect_b64 s[0:1], -1, 0
	s_add_i32 s2, s15, s8
	s_cmp_lt_i32 s2, s13
	s_cselect_b64 s[2:3], -1, 0
	s_and_b64 s[0:1], s[0:1], s[2:3]
	s_andn2_b64 vcc, exec, s[0:1]
	s_cbranch_vccnz .LBB28_6
; %bb.1:
	s_load_dwordx4 s[0:3], s[4:5], 0x0
	s_mul_i32 s4, s9, s10
	s_add_i32 s4, s4, s7
	s_mul_i32 s4, s4, s11
	s_mul_i32 s16, s16, s13
	s_add_i32 s4, s4, s8
	s_add_i32 s4, s4, s16
	s_mul_i32 s5, s11, s17
	s_add_i32 s4, s4, s15
	s_lshl_b32 s5, s5, 7
	s_lshl_b32 s4, s4, 6
	s_add_i32 s5, s5, s4
	v_or_b32_e32 v1, s5, v0
	v_ashrrev_i32_e32 v2, 31, v1
	v_lshlrev_b64 v[1:2], 2, v[1:2]
	s_waitcnt lgkmcnt(0)
	v_mov_b32_e32 v3, s1
	v_add_co_u32_e32 v1, vcc, s0, v1
	v_addc_co_u32_e32 v2, vcc, v3, v2, vcc
	global_load_dword v8, v[1:2], off
	s_mul_i32 s9, s14, s6
	s_lshl_b32 s4, s7, 2
	s_add_i32 s11, s9, s14
	s_add_i32 s0, s4, s8
	s_lshl_b32 s1, s11, 3
	s_add_i32 s0, s0, s1
	s_add_i32 s0, s0, -8
	s_ashr_i32 s1, s0, 31
	s_lshl_b64 s[0:1], s[0:1], 3
	s_add_u32 s0, s2, s0
	s_addc_u32 s1, s3, s1
	s_load_dword s5, s[0:1], 0x4
	s_add_i32 s10, s11, -2
	s_cmp_lt_i32 s10, s9
	s_cbranch_scc1 .LBB28_4
; %bb.2:
	s_lshl_b32 s16, s12, 5
	s_ashr_i32 s17, s16, 31
	s_lshl_b64 s[16:17], s[16:17], 2
	s_add_u32 s10, s2, s16
	s_addc_u32 s13, s3, s17
	s_add_i32 s6, s6, 1
	s_load_dword s0, s[0:1], 0x0
	s_mul_i32 s1, s14, s6
	s_lshl_b32 s7, s7, 8
	s_lshl_b32 s14, s8, 6
	;; [unrolled: 1-line block ×3, first 2 shown]
	s_add_i32 s7, s14, s7
	s_lshl_b32 s1, s1, 3
	s_add_i32 s7, s7, s6
	s_add_i32 s1, s8, s1
	s_lshl_b32 s6, s12, 3
	s_add_i32 s1, s1, s6
	v_or_b32_e32 v0, s7, v0
	s_add_i32 s1, s1, s4
	s_add_i32 s11, s11, -1
	v_add_u32_e32 v3, 0xfffffc00, v0
	s_add_i32 s4, s1, -16
	s_waitcnt lgkmcnt(0)
	v_mov_b32_e32 v7, s5
	v_mov_b32_e32 v6, s0
	;; [unrolled: 1-line block ×3, first 2 shown]
	s_mov_b32 s6, 0x3fb8aa3b
	s_mov_b32 s7, 0xc2ce8ed0
	;; [unrolled: 1-line block ×3, first 2 shown]
	v_mov_b32_e32 v5, 0x7f800000
	s_mov_b32 s12, 0xc1a00000
.LBB28_3:                               ; =>This Inner Loop Header: Depth=1
	v_ashrrev_i32_e32 v4, 31, v3
	v_lshlrev_b64 v[9:10], 2, v[3:4]
	s_ashr_i32 s5, s4, 31
	v_add_co_u32_e32 v9, vcc, s10, v9
	v_addc_co_u32_e32 v10, vcc, v0, v10, vcc
	global_load_dword v4, v[9:10], off
	s_lshl_b64 s[0:1], s[4:5], 3
	s_add_u32 s0, s2, s0
	s_addc_u32 s1, s3, s1
	s_load_dwordx2 s[14:15], s[0:1], 0x0
	s_waitcnt vmcnt(1)
	v_mov_b32_e32 v9, v8
	v_max_f32_e32 v8, v6, v6
	v_mov_b32_e32 v10, v7
	s_add_i32 s11, s11, -1
	s_waitcnt lgkmcnt(0)
	v_max_f32_e64 v7, s14, s14
	v_max_f32_e32 v7, v8, v7
	v_sub_f32_e32 v11, s14, v7
	v_sub_f32_e32 v8, v6, v7
	v_mul_f32_e32 v12, 0x3fb8aa3b, v11
	v_mov_b32_e32 v6, v7
	v_mul_f32_e32 v7, 0x3fb8aa3b, v8
	v_fma_f32 v15, v11, s6, -v12
	v_rndne_f32_e32 v16, v12
	v_fma_f32 v13, v8, s6, -v7
	v_rndne_f32_e32 v14, v7
	v_fmac_f32_e32 v15, 0x32a5705f, v11
	v_sub_f32_e32 v12, v12, v16
	v_fmac_f32_e32 v13, 0x32a5705f, v8
	v_sub_f32_e32 v7, v7, v14
	v_add_f32_e32 v12, v12, v15
	v_cvt_i32_f32_e32 v16, v16
	v_add_f32_e32 v7, v7, v13
	v_exp_f32_e32 v12, v12
	v_cvt_i32_f32_e32 v14, v14
	v_exp_f32_e32 v7, v7
	v_cmp_ngt_f32_e32 vcc, s7, v11
	v_ldexp_f32 v12, v12, v16
	v_cmp_ngt_f32_e64 s[0:1], s7, v8
	v_ldexp_f32 v7, v7, v14
	v_cndmask_b32_e32 v12, 0, v12, vcc
	v_cmp_nlt_f32_e32 vcc, s8, v11
	v_cndmask_b32_e64 v7, 0, v7, s[0:1]
	v_cmp_nlt_f32_e64 s[0:1], s8, v8
	v_cndmask_b32_e32 v12, v5, v12, vcc
	v_cmp_le_f32_e32 vcc, s12, v11
	v_cndmask_b32_e64 v7, v5, v7, s[0:1]
	v_cmp_le_f32_e64 s[0:1], s12, v8
	v_cndmask_b32_e32 v8, 0, v12, vcc
	s_add_i32 s4, s4, -8
	v_cndmask_b32_e64 v11, 0, v7, s[0:1]
	v_mul_f32_e32 v7, s15, v8
	v_add_u32_e32 v3, 0xfffffe00, v3
	s_cmp_le_i32 s11, s9
	v_fmac_f32_e32 v7, v10, v11
	s_waitcnt vmcnt(0)
	v_mul_f32_e32 v8, v4, v8
	v_fmac_f32_e32 v8, v9, v11
	s_cbranch_scc0 .LBB28_3
	s_branch .LBB28_5
.LBB28_4:
	s_waitcnt lgkmcnt(0)
	v_mov_b32_e32 v7, s5
.LBB28_5:
	s_waitcnt vmcnt(0)
	v_div_scale_f32 v0, s[0:1], v7, v7, v8
	v_div_scale_f32 v3, vcc, v8, v7, v8
	v_rcp_f32_e32 v4, v0
	v_fma_f32 v5, -v0, v4, 1.0
	v_fmac_f32_e32 v4, v5, v4
	v_mul_f32_e32 v5, v3, v4
	v_fma_f32 v6, -v0, v5, v3
	v_fmac_f32_e32 v5, v6, v4
	v_fma_f32 v0, -v0, v5, v3
	v_div_fmas_f32 v0, v0, v4, v5
	v_div_fixup_f32 v0, v0, v7, v8
	global_store_dword v[1:2], v0, off
.LBB28_6:
	s_endpgm
	.section	.rodata,"a",@progbits
	.p2align	6, 0x0
	.amdhsa_kernel _ZL33flash_attn_stream_k_fixup_uniformILi64ELi2ELi4EEvPfPK15HIP_vector_typeIfLj2EEiiiiiiS1_IjLj3EES5_S5_
		.amdhsa_group_segment_fixed_size 0
		.amdhsa_private_segment_fixed_size 0
		.amdhsa_kernarg_size 76
		.amdhsa_user_sgpr_count 6
		.amdhsa_user_sgpr_private_segment_buffer 1
		.amdhsa_user_sgpr_dispatch_ptr 0
		.amdhsa_user_sgpr_queue_ptr 0
		.amdhsa_user_sgpr_kernarg_segment_ptr 1
		.amdhsa_user_sgpr_dispatch_id 0
		.amdhsa_user_sgpr_flat_scratch_init 0
		.amdhsa_user_sgpr_private_segment_size 0
		.amdhsa_uses_dynamic_stack 0
		.amdhsa_system_sgpr_private_segment_wavefront_offset 0
		.amdhsa_system_sgpr_workgroup_id_x 1
		.amdhsa_system_sgpr_workgroup_id_y 1
		.amdhsa_system_sgpr_workgroup_id_z 1
		.amdhsa_system_sgpr_workgroup_info 0
		.amdhsa_system_vgpr_workitem_id 0
		.amdhsa_next_free_vgpr 17
		.amdhsa_next_free_sgpr 20
		.amdhsa_reserve_vcc 1
		.amdhsa_reserve_flat_scratch 0
		.amdhsa_float_round_mode_32 0
		.amdhsa_float_round_mode_16_64 0
		.amdhsa_float_denorm_mode_32 3
		.amdhsa_float_denorm_mode_16_64 3
		.amdhsa_dx10_clamp 1
		.amdhsa_ieee_mode 1
		.amdhsa_fp16_overflow 0
		.amdhsa_exception_fp_ieee_invalid_op 0
		.amdhsa_exception_fp_denorm_src 0
		.amdhsa_exception_fp_ieee_div_zero 0
		.amdhsa_exception_fp_ieee_overflow 0
		.amdhsa_exception_fp_ieee_underflow 0
		.amdhsa_exception_fp_ieee_inexact 0
		.amdhsa_exception_int_div_zero 0
	.end_amdhsa_kernel
	.section	.text._ZL33flash_attn_stream_k_fixup_uniformILi64ELi2ELi4EEvPfPK15HIP_vector_typeIfLj2EEiiiiiiS1_IjLj3EES5_S5_,"axG",@progbits,_ZL33flash_attn_stream_k_fixup_uniformILi64ELi2ELi4EEvPfPK15HIP_vector_typeIfLj2EEiiiiiiS1_IjLj3EES5_S5_,comdat
.Lfunc_end28:
	.size	_ZL33flash_attn_stream_k_fixup_uniformILi64ELi2ELi4EEvPfPK15HIP_vector_typeIfLj2EEiiiiiiS1_IjLj3EES5_S5_, .Lfunc_end28-_ZL33flash_attn_stream_k_fixup_uniformILi64ELi2ELi4EEvPfPK15HIP_vector_typeIfLj2EEiiiiiiS1_IjLj3EES5_S5_
                                        ; -- End function
	.set _ZL33flash_attn_stream_k_fixup_uniformILi64ELi2ELi4EEvPfPK15HIP_vector_typeIfLj2EEiiiiiiS1_IjLj3EES5_S5_.num_vgpr, 17
	.set _ZL33flash_attn_stream_k_fixup_uniformILi64ELi2ELi4EEvPfPK15HIP_vector_typeIfLj2EEiiiiiiS1_IjLj3EES5_S5_.num_agpr, 0
	.set _ZL33flash_attn_stream_k_fixup_uniformILi64ELi2ELi4EEvPfPK15HIP_vector_typeIfLj2EEiiiiiiS1_IjLj3EES5_S5_.numbered_sgpr, 20
	.set _ZL33flash_attn_stream_k_fixup_uniformILi64ELi2ELi4EEvPfPK15HIP_vector_typeIfLj2EEiiiiiiS1_IjLj3EES5_S5_.num_named_barrier, 0
	.set _ZL33flash_attn_stream_k_fixup_uniformILi64ELi2ELi4EEvPfPK15HIP_vector_typeIfLj2EEiiiiiiS1_IjLj3EES5_S5_.private_seg_size, 0
	.set _ZL33flash_attn_stream_k_fixup_uniformILi64ELi2ELi4EEvPfPK15HIP_vector_typeIfLj2EEiiiiiiS1_IjLj3EES5_S5_.uses_vcc, 1
	.set _ZL33flash_attn_stream_k_fixup_uniformILi64ELi2ELi4EEvPfPK15HIP_vector_typeIfLj2EEiiiiiiS1_IjLj3EES5_S5_.uses_flat_scratch, 0
	.set _ZL33flash_attn_stream_k_fixup_uniformILi64ELi2ELi4EEvPfPK15HIP_vector_typeIfLj2EEiiiiiiS1_IjLj3EES5_S5_.has_dyn_sized_stack, 0
	.set _ZL33flash_attn_stream_k_fixup_uniformILi64ELi2ELi4EEvPfPK15HIP_vector_typeIfLj2EEiiiiiiS1_IjLj3EES5_S5_.has_recursion, 0
	.set _ZL33flash_attn_stream_k_fixup_uniformILi64ELi2ELi4EEvPfPK15HIP_vector_typeIfLj2EEiiiiiiS1_IjLj3EES5_S5_.has_indirect_call, 0
	.section	.AMDGPU.csdata,"",@progbits
; Kernel info:
; codeLenInByte = 856
; TotalNumSgprs: 24
; NumVgprs: 17
; ScratchSize: 0
; MemoryBound: 0
; FloatMode: 240
; IeeeMode: 1
; LDSByteSize: 0 bytes/workgroup (compile time only)
; SGPRBlocks: 2
; VGPRBlocks: 4
; NumSGPRsForWavesPerEU: 24
; NumVGPRsForWavesPerEU: 17
; Occupancy: 10
; WaveLimiterHint : 0
; COMPUTE_PGM_RSRC2:SCRATCH_EN: 0
; COMPUTE_PGM_RSRC2:USER_SGPR: 6
; COMPUTE_PGM_RSRC2:TRAP_HANDLER: 0
; COMPUTE_PGM_RSRC2:TGID_X_EN: 1
; COMPUTE_PGM_RSRC2:TGID_Y_EN: 1
; COMPUTE_PGM_RSRC2:TGID_Z_EN: 1
; COMPUTE_PGM_RSRC2:TIDIG_COMP_CNT: 0
	.section	.text._ZL33flash_attn_stream_k_fixup_generalILi64ELi2ELi4EEvPfPK15HIP_vector_typeIfLj2EEiiiiS1_IjLj3EES5_S5_S5_,"axG",@progbits,_ZL33flash_attn_stream_k_fixup_generalILi64ELi2ELi4EEvPfPK15HIP_vector_typeIfLj2EEiiiiS1_IjLj3EES5_S5_S5_,comdat
	.globl	_ZL33flash_attn_stream_k_fixup_generalILi64ELi2ELi4EEvPfPK15HIP_vector_typeIfLj2EEiiiiS1_IjLj3EES5_S5_S5_ ; -- Begin function _ZL33flash_attn_stream_k_fixup_generalILi64ELi2ELi4EEvPfPK15HIP_vector_typeIfLj2EEiiiiS1_IjLj3EES5_S5_S5_
	.p2align	8
	.type	_ZL33flash_attn_stream_k_fixup_generalILi64ELi2ELi4EEvPfPK15HIP_vector_typeIfLj2EEiiiiS1_IjLj3EES5_S5_S5_,@function
_ZL33flash_attn_stream_k_fixup_generalILi64ELi2ELi4EEvPfPK15HIP_vector_typeIfLj2EEiiiiS1_IjLj3EES5_S5_S5_: ; @_ZL33flash_attn_stream_k_fixup_generalILi64ELi2ELi4EEvPfPK15HIP_vector_typeIfLj2EEiiiiS1_IjLj3EES5_S5_S5_
; %bb.0:
	s_load_dwordx4 s[0:3], s[4:5], 0x10
	s_load_dword s22, s[4:5], 0x50
	s_mov_b32 s12, 0
	s_waitcnt lgkmcnt(0)
	s_mul_hi_i32 s13, s3, s6
	s_cmp_lg_u64 s[12:13], 0
	s_mul_i32 s9, s3, s6
	s_cbranch_scc0 .LBB29_20
; %bb.1:
	s_add_u32 s10, s22, 0
	s_addc_u32 s11, 0, 0
	s_xor_b64 s[10:11], s[10:11], 0
	v_cvt_f32_u32_e32 v1, s10
	v_cvt_f32_u32_e32 v2, s11
	s_sub_u32 s12, 0, s10
	s_subb_u32 s18, 0, s11
	v_madmk_f32 v1, v2, 0x4f800000, v1
	v_rcp_f32_e32 v1, v1
	v_mul_f32_e32 v1, 0x5f7ffffc, v1
	v_mul_f32_e32 v2, 0x2f800000, v1
	v_trunc_f32_e32 v2, v2
	v_madmk_f32 v1, v2, 0xcf800000, v1
	v_cvt_u32_f32_e32 v2, v2
	v_cvt_u32_f32_e32 v1, v1
	v_readfirstlane_b32 s19, v2
	v_readfirstlane_b32 s14, v1
	s_mul_i32 s15, s12, s19
	s_mul_hi_u32 s21, s12, s14
	s_mul_i32 s20, s18, s14
	s_add_i32 s15, s21, s15
	s_add_i32 s15, s15, s20
	s_mul_i32 s23, s12, s14
	s_mul_i32 s21, s14, s15
	s_mul_hi_u32 s24, s14, s23
	s_mul_hi_u32 s20, s14, s15
	s_add_u32 s21, s24, s21
	s_addc_u32 s20, 0, s20
	s_mul_hi_u32 s25, s19, s23
	s_mul_i32 s23, s19, s23
	s_add_u32 s21, s21, s23
	s_mul_hi_u32 s24, s19, s15
	s_addc_u32 s20, s20, s25
	s_addc_u32 s21, s24, 0
	s_mul_i32 s15, s19, s15
	s_add_u32 s15, s20, s15
	s_addc_u32 s20, 0, s21
	s_add_u32 s21, s14, s15
	s_cselect_b64 s[14:15], -1, 0
	s_cmp_lg_u64 s[14:15], 0
	s_addc_u32 s19, s19, s20
	s_mul_i32 s14, s12, s19
	s_mul_hi_u32 s15, s12, s21
	s_add_i32 s14, s15, s14
	s_mul_i32 s18, s18, s21
	s_add_i32 s14, s14, s18
	s_mul_i32 s12, s12, s21
	s_mul_hi_u32 s18, s19, s12
	s_mul_i32 s20, s19, s12
	s_mul_i32 s24, s21, s14
	s_mul_hi_u32 s12, s21, s12
	s_mul_hi_u32 s23, s21, s14
	s_add_u32 s12, s12, s24
	s_addc_u32 s23, 0, s23
	s_add_u32 s12, s12, s20
	s_mul_hi_u32 s15, s19, s14
	s_addc_u32 s12, s23, s18
	s_addc_u32 s15, s15, 0
	s_mul_i32 s14, s19, s14
	s_add_u32 s12, s12, s14
	s_addc_u32 s18, 0, s15
	s_add_u32 s20, s21, s12
	s_cselect_b64 s[14:15], -1, 0
	s_cmp_lg_u64 s[14:15], 0
	s_addc_u32 s18, s19, s18
	s_ashr_i32 s14, s13, 31
	s_add_u32 s12, s9, s14
	s_mov_b32 s15, s14
	s_addc_u32 s13, s13, s14
	s_xor_b64 s[12:13], s[12:13], s[14:15]
	s_mul_i32 s21, s12, s18
	s_mul_hi_u32 s23, s12, s20
	s_mul_hi_u32 s19, s12, s18
	s_add_u32 s21, s23, s21
	s_addc_u32 s19, 0, s19
	s_mul_hi_u32 s24, s13, s20
	s_mul_i32 s20, s13, s20
	s_add_u32 s20, s21, s20
	s_mul_hi_u32 s23, s13, s18
	s_addc_u32 s19, s19, s24
	s_addc_u32 s20, s23, 0
	s_mul_i32 s18, s13, s18
	s_add_u32 s23, s19, s18
	s_addc_u32 s24, 0, s20
	s_mul_i32 s18, s10, s24
	s_mul_hi_u32 s19, s10, s23
	s_add_i32 s18, s19, s18
	s_mul_i32 s19, s11, s23
	s_add_i32 s25, s18, s19
	s_sub_i32 s20, s13, s25
	s_mul_i32 s18, s10, s23
	s_sub_u32 s12, s12, s18
	s_cselect_b64 s[18:19], -1, 0
	s_cmp_lg_u64 s[18:19], 0
	s_subb_u32 s26, s20, s11
	s_sub_u32 s27, s12, s10
	s_cselect_b64 s[20:21], -1, 0
	s_cmp_lg_u64 s[20:21], 0
	s_subb_u32 s20, s26, 0
	s_cmp_ge_u32 s20, s11
	s_cselect_b32 s21, -1, 0
	s_cmp_ge_u32 s27, s10
	s_cselect_b32 s26, -1, 0
	s_cmp_eq_u32 s20, s11
	s_cselect_b32 s20, s26, s21
	s_add_u32 s21, s23, 1
	s_addc_u32 s26, s24, 0
	s_add_u32 s27, s23, 2
	s_addc_u32 s28, s24, 0
	s_cmp_lg_u32 s20, 0
	s_cselect_b32 s20, s27, s21
	s_cselect_b32 s21, s28, s26
	s_cmp_lg_u64 s[18:19], 0
	s_subb_u32 s13, s13, s25
	s_cmp_ge_u32 s13, s11
	s_cselect_b32 s18, -1, 0
	s_cmp_ge_u32 s12, s10
	s_cselect_b32 s10, -1, 0
	s_cmp_eq_u32 s13, s11
	s_cselect_b32 s10, s10, s18
	s_cmp_lg_u32 s10, 0
	s_cselect_b32 s11, s21, s24
	s_cselect_b32 s10, s20, s23
	s_xor_b64 s[12:13], s[14:15], 0
	s_xor_b64 s[10:11], s[10:11], s[12:13]
	s_sub_u32 s10, s10, s12
	s_load_dwordx4 s[12:15], s[4:5], 0x44
	s_cbranch_execnz .LBB29_3
.LBB29_2:
	v_cvt_f32_u32_e32 v1, s22
	s_sub_i32 s10, 0, s22
	v_rcp_iflag_f32_e32 v1, v1
	v_mul_f32_e32 v1, 0x4f7ffffe, v1
	v_cvt_u32_f32_e32 v1, v1
	v_readfirstlane_b32 s11, v1
	s_mul_i32 s10, s10, s11
	s_mul_hi_u32 s10, s11, s10
	s_add_i32 s11, s11, s10
	s_mul_hi_u32 s10, s9, s11
	s_waitcnt lgkmcnt(0)
	s_mul_i32 s15, s10, s22
	s_sub_i32 s9, s9, s15
	s_add_i32 s11, s10, 1
	s_sub_i32 s15, s9, s22
	s_cmp_ge_u32 s9, s22
	s_cselect_b32 s10, s11, s10
	s_cselect_b32 s9, s15, s9
	s_add_i32 s11, s10, 1
	s_cmp_ge_u32 s9, s22
	s_cselect_b32 s10, s11, s10
.LBB29_3:
	s_add_i32 s9, s6, 1
	s_mul_hi_i32 s21, s3, s9
	s_mov_b32 s20, 0
	s_cmp_lg_u64 s[20:21], 0
	s_mul_i32 s9, s3, s9
	s_cbranch_scc0 .LBB29_21
; %bb.4:
	s_add_u32 s16, s22, 0
	s_addc_u32 s17, 0, 0
	s_xor_b64 s[18:19], s[16:17], 0
	v_cvt_f32_u32_e32 v1, s18
	v_cvt_f32_u32_e32 v2, s19
	s_sub_u32 s11, 0, s18
	s_waitcnt lgkmcnt(0)
	s_subb_u32 s15, 0, s19
	v_madmk_f32 v1, v2, 0x4f800000, v1
	v_rcp_f32_e32 v1, v1
	v_mul_f32_e32 v1, 0x5f7ffffc, v1
	v_mul_f32_e32 v2, 0x2f800000, v1
	v_trunc_f32_e32 v2, v2
	v_madmk_f32 v1, v2, 0xcf800000, v1
	v_cvt_u32_f32_e32 v2, v2
	v_cvt_u32_f32_e32 v1, v1
	v_readfirstlane_b32 s20, v2
	v_readfirstlane_b32 s23, v1
	s_mul_i32 s24, s11, s20
	s_mul_hi_u32 s26, s11, s23
	s_mul_i32 s25, s15, s23
	s_add_i32 s24, s26, s24
	s_add_i32 s24, s24, s25
	s_mul_i32 s27, s11, s23
	s_mul_i32 s26, s23, s24
	s_mul_hi_u32 s28, s23, s27
	s_mul_hi_u32 s25, s23, s24
	s_add_u32 s26, s28, s26
	s_addc_u32 s25, 0, s25
	s_mul_hi_u32 s29, s20, s27
	s_mul_i32 s27, s20, s27
	s_add_u32 s26, s26, s27
	s_mul_hi_u32 s28, s20, s24
	s_addc_u32 s25, s25, s29
	s_addc_u32 s26, s28, 0
	s_mul_i32 s24, s20, s24
	s_add_u32 s24, s25, s24
	s_addc_u32 s26, 0, s26
	s_add_u32 s23, s23, s24
	s_cselect_b64 s[24:25], -1, 0
	s_cmp_lg_u64 s[24:25], 0
	s_addc_u32 s20, s20, s26
	s_mul_i32 s24, s11, s20
	s_mul_hi_u32 s25, s11, s23
	s_add_i32 s24, s25, s24
	s_mul_i32 s15, s15, s23
	s_add_i32 s24, s24, s15
	s_mul_i32 s11, s11, s23
	s_mul_hi_u32 s25, s20, s11
	s_mul_i32 s26, s20, s11
	s_mul_i32 s28, s23, s24
	s_mul_hi_u32 s11, s23, s11
	s_mul_hi_u32 s27, s23, s24
	s_add_u32 s11, s11, s28
	s_addc_u32 s27, 0, s27
	s_add_u32 s11, s11, s26
	s_mul_hi_u32 s15, s20, s24
	s_addc_u32 s11, s27, s25
	s_addc_u32 s15, s15, 0
	s_mul_i32 s24, s20, s24
	s_add_u32 s11, s11, s24
	s_addc_u32 s15, 0, s15
	s_add_u32 s11, s23, s11
	s_cselect_b64 s[24:25], -1, 0
	s_cmp_lg_u64 s[24:25], 0
	s_addc_u32 s15, s20, s15
	s_ashr_i32 s24, s21, 31
	s_add_u32 s20, s9, s24
	s_mov_b32 s25, s24
	s_addc_u32 s21, s21, s24
	s_xor_b64 s[20:21], s[20:21], s[24:25]
	s_mul_i32 s26, s20, s15
	s_mul_hi_u32 s27, s20, s11
	s_mul_hi_u32 s23, s20, s15
	s_add_u32 s26, s27, s26
	s_addc_u32 s23, 0, s23
	s_mul_hi_u32 s28, s21, s11
	s_mul_i32 s11, s21, s11
	s_add_u32 s11, s26, s11
	s_mul_hi_u32 s27, s21, s15
	s_addc_u32 s11, s23, s28
	s_addc_u32 s23, s27, 0
	s_mul_i32 s15, s21, s15
	s_add_u32 s11, s11, s15
	s_addc_u32 s15, 0, s23
	s_mul_i32 s23, s18, s15
	s_mul_hi_u32 s26, s18, s11
	s_add_i32 s23, s26, s23
	s_mul_i32 s26, s19, s11
	s_add_i32 s23, s23, s26
	s_sub_i32 s28, s21, s23
	s_mul_i32 s26, s18, s11
	s_sub_u32 s20, s20, s26
	s_cselect_b64 s[26:27], -1, 0
	s_cmp_lg_u64 s[26:27], 0
	s_subb_u32 s30, s28, s19
	s_sub_u32 s31, s20, s18
	s_cselect_b64 s[28:29], -1, 0
	s_cmp_lg_u64 s[28:29], 0
	s_subb_u32 s28, s30, 0
	s_cmp_ge_u32 s28, s19
	s_cselect_b32 s29, -1, 0
	s_cmp_ge_u32 s31, s18
	s_cselect_b32 s30, -1, 0
	s_cmp_eq_u32 s28, s19
	s_cselect_b32 s28, s30, s29
	s_add_u32 s29, s11, 1
	s_addc_u32 s30, s15, 0
	s_add_u32 s31, s11, 2
	s_addc_u32 s33, s15, 0
	s_cmp_lg_u32 s28, 0
	s_cselect_b32 s28, s31, s29
	s_cselect_b32 s29, s33, s30
	s_cmp_lg_u64 s[26:27], 0
	s_subb_u32 s21, s21, s23
	s_cmp_ge_u32 s21, s19
	s_cselect_b32 s23, -1, 0
	s_cmp_ge_u32 s20, s18
	s_cselect_b32 s18, -1, 0
	s_cmp_eq_u32 s21, s19
	s_cselect_b32 s18, s18, s23
	s_cmp_lg_u32 s18, 0
	s_cselect_b32 s19, s29, s15
	s_cselect_b32 s18, s28, s11
	s_xor_b64 s[20:21], s[24:25], 0
	s_xor_b64 s[18:19], s[18:19], s[20:21]
	s_sub_u32 s18, s18, s20
	s_cbranch_execnz .LBB29_6
.LBB29_5:
	v_cvt_f32_u32_e32 v1, s22
	s_sub_i32 s11, 0, s22
	v_rcp_iflag_f32_e32 v1, v1
	v_mul_f32_e32 v1, 0x4f7ffffe, v1
	v_cvt_u32_f32_e32 v1, v1
	s_waitcnt lgkmcnt(0)
	v_readfirstlane_b32 s15, v1
	s_mul_i32 s11, s11, s15
	s_mul_hi_u32 s11, s15, s11
	s_add_i32 s15, s15, s11
	s_mul_hi_u32 s11, s9, s15
	s_mul_i32 s16, s11, s22
	s_sub_i32 s9, s9, s16
	s_add_i32 s15, s11, 1
	s_sub_i32 s16, s9, s22
	s_cmp_ge_u32 s9, s22
	s_cselect_b32 s11, s15, s11
	s_cselect_b32 s9, s16, s9
	s_add_i32 s15, s11, 1
	s_cmp_ge_u32 s9, s22
	s_cselect_b32 s18, s15, s11
.LBB29_6:
	s_cmp_eq_u32 s10, s18
	s_waitcnt lgkmcnt(0)
	s_mul_hi_u32 s9, s10, s12
	s_cselect_b64 s[16:17], -1, 0
	s_add_i32 s9, s9, s10
	s_lshr_b32 s11, s9, s13
	s_mul_i32 s9, s11, s14
	s_cmp_eq_u32 s9, s10
	s_mul_hi_u32 s9, s18, s12
	s_cselect_b64 s[20:21], -1, 0
	s_add_i32 s9, s9, s18
	s_lshr_b32 s9, s9, s13
	s_cmp_eq_u32 s11, s9
	s_mul_i32 s9, s9, s14
	s_cselect_b64 s[24:25], -1, 0
	s_cmp_lg_u32 s9, s18
	s_cselect_b64 s[18:19], -1, 0
	s_and_b64 s[18:19], s[24:25], s[18:19]
	s_or_b64 s[16:17], s[16:17], s[20:21]
	s_or_b64 s[16:17], s[16:17], s[18:19]
	s_and_b64 vcc, exec, s[16:17]
	s_cbranch_vccnz .LBB29_23
; %bb.7:
	s_load_dwordx8 s[24:31], s[4:5], 0x20
	s_load_dword s15, s[4:5], 0x40
	s_waitcnt lgkmcnt(0)
	s_mul_hi_u32 s9, s10, s24
	s_add_i32 s9, s9, s10
	s_lshr_b32 s9, s9, s25
	s_mul_i32 s16, s9, s26
	s_sub_i32 s16, s10, s16
	s_mul_hi_u32 s17, s16, s27
	s_add_i32 s17, s16, s17
	s_lshr_b32 s23, s17, s28
	s_mul_i32 s17, s23, s29
	s_sub_i32 s16, s16, s17
	;; [unrolled: 5-line block ×3, first 2 shown]
	s_mul_hi_u32 s16, s15, s12
	s_add_i32 s15, s15, s16
	s_lshr_b32 s25, s15, s13
	s_lshl_b32 s15, s25, 1
	s_lshl_b32 s24, s17, 2
	s_add_i32 s15, s15, s7
	s_cmp_lt_i32 s15, s0
	s_cselect_b64 s[16:17], -1, 0
	s_add_i32 s15, s24, s8
	s_cmp_lt_i32 s15, s2
	s_cselect_b64 s[18:19], -1, 0
	s_and_b64 s[16:17], s[16:17], s[18:19]
	s_andn2_b64 vcc, exec, s[16:17]
	s_cbranch_vccnz .LBB29_23
; %bb.8:
	s_load_dwordx4 s[16:19], s[4:5], 0x0
	s_mov_b32 s4, 0
	s_lshl_b32 s15, s7, 2
	s_lshl_b32 s20, s22, 5
	s_mov_b32 s21, s4
	s_add_i32 s15, s15, s8
	s_lshl_b64 s[20:21], s[20:21], 2
	s_waitcnt lgkmcnt(0)
	s_add_u32 s20, s18, s20
	s_mul_i32 s0, s9, s0
	s_addc_u32 s21, s19, s21
	s_add_i32 s0, s0, s7
	s_mul_i32 s0, s0, s1
	s_mul_i32 s23, s23, s2
	s_add_i32 s0, s0, s8
	s_add_i32 s0, s0, s23
	s_mul_i32 s2, s1, s25
	s_add_i32 s0, s0, s24
	s_lshl_b32 s2, s2, 7
	s_lshl_b32 s0, s0, 6
	s_add_i32 s2, s2, s0
	v_or_b32_e32 v1, s2, v0
	v_ashrrev_i32_e32 v2, 31, v1
	v_lshlrev_b64 v[1:2], 2, v[1:2]
	v_mov_b32_e32 v3, s17
	v_add_co_u32_e32 v1, vcc, s16, v1
	v_addc_co_u32_e32 v2, vcc, v3, v2, vcc
	global_load_dword v3, v[1:2], off
	v_cvt_f32_u32_e32 v4, s22
	s_lshl_b32 s0, s6, 3
	s_add_i32 s0, s15, s0
	s_ashr_i32 s1, s0, 31
	s_lshl_b64 s[0:1], s[0:1], 3
	v_rcp_iflag_f32_e32 v4, v4
	s_add_u32 s0, s18, s0
	s_addc_u32 s1, s19, s1
	s_load_dwordx2 s[0:1], s[0:1], 0x0
	v_mul_f32_e32 v4, 0x4f7ffffe, v4
	v_cvt_u32_f32_e32 v4, v4
	s_add_i32 s24, s6, -1
	v_lshl_or_b32 v0, s15, 6, v0
	s_waitcnt lgkmcnt(0)
	v_mov_b32_e32 v6, s1
	v_mov_b32_e32 v7, s0
	s_mov_b32 s2, 0x3fb8aa3b
	s_mov_b32 s16, 0xc2ce8ed0
	;; [unrolled: 1-line block ×4, first 2 shown]
	v_mov_b32_e32 v5, 0x7f800000
	s_mul_hi_i32 s5, s24, s3
	s_cmp_lg_u64 s[4:5], 0
	s_mul_i32 s8, s24, s3
	s_cbranch_scc0 .LBB29_19
.LBB29_9:
	s_add_u32 s0, s22, 0
	s_addc_u32 s1, 0, 0
	s_xor_b64 s[0:1], s[0:1], 0
	v_cvt_f32_u32_e32 v8, s0
	v_cvt_f32_u32_e32 v9, s1
	s_sub_u32 s9, 0, s0
	s_subb_u32 s25, 0, s1
	v_mac_f32_e32 v8, 0x4f800000, v9
	v_rcp_f32_e32 v8, v8
	v_mul_f32_e32 v8, 0x5f7ffffc, v8
	v_mul_f32_e32 v9, 0x2f800000, v8
	v_trunc_f32_e32 v9, v9
	v_mac_f32_e32 v8, 0xcf800000, v9
	v_cvt_u32_f32_e32 v9, v9
	v_cvt_u32_f32_e32 v8, v8
	v_readfirstlane_b32 s26, v9
	v_readfirstlane_b32 s6, v8
	s_mul_i32 s7, s9, s26
	s_mul_hi_u32 s28, s9, s6
	s_mul_i32 s27, s25, s6
	s_add_i32 s7, s28, s7
	s_mul_i32 s29, s9, s6
	s_add_i32 s7, s7, s27
	s_mul_i32 s28, s6, s7
	s_mul_hi_u32 s30, s6, s29
	s_mul_hi_u32 s27, s6, s7
	s_add_u32 s28, s30, s28
	s_addc_u32 s27, 0, s27
	s_mul_hi_u32 s31, s26, s29
	s_mul_i32 s29, s26, s29
	s_add_u32 s28, s28, s29
	s_mul_hi_u32 s30, s26, s7
	s_addc_u32 s27, s27, s31
	s_addc_u32 s28, s30, 0
	s_mul_i32 s7, s26, s7
	s_add_u32 s7, s27, s7
	s_addc_u32 s27, 0, s28
	s_add_u32 s28, s6, s7
	s_cselect_b64 s[6:7], -1, 0
	s_cmp_lg_u64 s[6:7], 0
	s_addc_u32 s26, s26, s27
	s_mul_i32 s6, s9, s26
	s_mul_hi_u32 s7, s9, s28
	s_add_i32 s6, s7, s6
	s_mul_i32 s25, s25, s28
	s_add_i32 s6, s6, s25
	s_mul_i32 s9, s9, s28
	s_mul_hi_u32 s25, s26, s9
	s_mul_i32 s27, s26, s9
	s_mul_i32 s30, s28, s6
	s_mul_hi_u32 s9, s28, s9
	s_mul_hi_u32 s29, s28, s6
	s_add_u32 s9, s9, s30
	s_addc_u32 s29, 0, s29
	s_add_u32 s9, s9, s27
	s_mul_hi_u32 s7, s26, s6
	s_addc_u32 s9, s29, s25
	s_addc_u32 s7, s7, 0
	s_mul_i32 s6, s26, s6
	s_add_u32 s6, s9, s6
	s_addc_u32 s9, 0, s7
	s_add_u32 s25, s28, s6
	s_cselect_b64 s[6:7], -1, 0
	s_cmp_lg_u64 s[6:7], 0
	s_addc_u32 s9, s26, s9
	s_ashr_i32 s6, s5, 31
	s_add_u32 s26, s8, s6
	s_mov_b32 s7, s6
	s_addc_u32 s27, s5, s6
	s_xor_b64 s[26:27], s[26:27], s[6:7]
	s_mul_i32 s28, s26, s9
	s_mul_hi_u32 s29, s26, s25
	s_mul_hi_u32 s5, s26, s9
	s_add_u32 s28, s29, s28
	s_addc_u32 s5, 0, s5
	s_mul_hi_u32 s30, s27, s25
	s_mul_i32 s25, s27, s25
	s_add_u32 s25, s28, s25
	s_mul_hi_u32 s29, s27, s9
	s_addc_u32 s5, s5, s30
	s_addc_u32 s25, s29, 0
	s_mul_i32 s9, s27, s9
	s_add_u32 s5, s5, s9
	s_addc_u32 s9, 0, s25
	s_mul_i32 s25, s0, s9
	s_mul_hi_u32 s28, s0, s5
	s_add_i32 s25, s28, s25
	s_mul_i32 s28, s1, s5
	s_add_i32 s25, s25, s28
	s_sub_i32 s30, s27, s25
	s_mul_i32 s28, s0, s5
	s_sub_u32 s26, s26, s28
	s_cselect_b64 s[28:29], -1, 0
	s_cmp_lg_u64 s[28:29], 0
	s_subb_u32 s33, s30, s1
	s_sub_u32 s34, s26, s0
	s_cselect_b64 s[30:31], -1, 0
	s_cmp_lg_u64 s[30:31], 0
	s_subb_u32 s30, s33, 0
	s_cmp_ge_u32 s30, s1
	s_cselect_b32 s31, -1, 0
	s_cmp_ge_u32 s34, s0
	s_cselect_b32 s33, -1, 0
	s_cmp_eq_u32 s30, s1
	s_cselect_b32 s30, s33, s31
	s_add_u32 s31, s5, 1
	s_addc_u32 s33, s9, 0
	s_add_u32 s34, s5, 2
	s_addc_u32 s35, s9, 0
	s_cmp_lg_u32 s30, 0
	s_cselect_b32 s30, s34, s31
	s_cselect_b32 s31, s35, s33
	s_cmp_lg_u64 s[28:29], 0
	s_subb_u32 s25, s27, s25
	s_cmp_ge_u32 s25, s1
	s_cselect_b32 s27, -1, 0
	s_cmp_ge_u32 s26, s0
	s_cselect_b32 s0, -1, 0
	s_cmp_eq_u32 s25, s1
	s_cselect_b32 s0, s0, s27
	s_cmp_lg_u32 s0, 0
	s_cselect_b32 s1, s31, s9
	s_cselect_b32 s0, s30, s5
	s_xor_b64 s[6:7], s[6:7], 0
	s_xor_b64 s[0:1], s[0:1], s[6:7]
	s_sub_u32 s6, s0, s6
	s_cbranch_execnz .LBB29_11
.LBB29_10:
	s_sub_i32 s0, 0, s22
	v_readfirstlane_b32 s1, v4
	s_mul_i32 s0, s0, s1
	s_mul_hi_u32 s0, s1, s0
	s_add_i32 s1, s1, s0
	s_mul_hi_u32 s0, s8, s1
	s_mul_i32 s5, s0, s22
	s_sub_i32 s5, s8, s5
	s_add_i32 s1, s0, 1
	s_sub_i32 s6, s5, s22
	s_cmp_ge_u32 s5, s22
	s_cselect_b32 s0, s1, s0
	s_cselect_b32 s5, s6, s5
	s_add_i32 s1, s0, 1
	s_cmp_ge_u32 s5, s22
	s_cselect_b32 s6, s1, s0
.LBB29_11:
	s_cmp_lg_u32 s10, s6
	s_mov_b64 s[8:9], -1
                                        ; implicit-def: $sgpr0_sgpr1
                                        ; implicit-def: $vgpr10
                                        ; implicit-def: $vgpr8
                                        ; implicit-def: $vgpr9
                                        ; implicit-def: $sgpr5
                                        ; implicit-def: $sgpr7
	s_cbranch_scc1 .LBB29_14
; %bb.12:
	s_andn2_b64 vcc, exec, s[8:9]
	s_cbranch_vccz .LBB29_17
.LBB29_13:
	s_andn2_b64 vcc, exec, s[0:1]
	s_cbranch_vccnz .LBB29_18
	s_branch .LBB29_22
.LBB29_14:
	s_add_i32 s0, s24, s22
	s_lshl_b32 s0, s0, 3
	s_add_i32 s0, s0, s15
	s_mov_b32 s1, s4
	s_lshl_b64 s[0:1], s[0:1], 3
	s_add_u32 s8, s18, s0
	s_mul_hi_u32 s0, s6, s12
	s_addc_u32 s9, s19, s1
	s_add_i32 s0, s0, s6
	s_lshr_b32 s5, s0, s13
	s_mul_i32 s0, s5, s14
	s_cmp_eq_u32 s0, s6
	s_cselect_b64 s[0:1], -1, 0
	s_cmp_lt_u32 s5, s11
	s_cselect_b64 s[26:27], -1, 0
	s_or_b64 s[26:27], s[26:27], s[0:1]
	s_mov_b64 s[0:1], -1
	s_and_b64 vcc, exec, s[26:27]
	s_mov_b32 s5, s24
	s_mov_b32 s7, s10
	s_cbranch_vccnz .LBB29_16
; %bb.15:
	s_add_i32 s5, s24, -1
	s_mov_b64 s[0:1], 0
	s_mov_b32 s7, s6
.LBB29_16:
	v_lshl_add_u32 v8, s24, 9, v0
	v_ashrrev_i32_e32 v9, 31, v8
	v_lshlrev_b64 v[8:9], 2, v[8:9]
	v_mov_b32_e32 v10, s21
	v_add_co_u32_e32 v8, vcc, s20, v8
	v_addc_co_u32_e32 v9, vcc, v10, v9, vcc
	global_load_dword v10, v[8:9], off
	s_load_dwordx2 s[8:9], s[8:9], 0x0
	v_max_f32_e32 v8, v7, v7
	s_waitcnt lgkmcnt(0)
	v_max_f32_e64 v9, s8, s8
	v_max_f32_e32 v8, v8, v9
	v_sub_f32_e32 v9, v7, v8
	v_sub_f32_e32 v11, s8, v8
	v_mul_f32_e32 v12, 0x3fb8aa3b, v9
	v_mul_f32_e32 v13, 0x3fb8aa3b, v11
	v_fma_f32 v14, v9, s2, -v12
	v_rndne_f32_e32 v15, v12
	v_fma_f32 v16, v11, s2, -v13
	v_rndne_f32_e32 v17, v13
	v_fmac_f32_e32 v14, 0x32a5705f, v9
	v_sub_f32_e32 v12, v12, v15
	v_fmac_f32_e32 v16, 0x32a5705f, v11
	v_sub_f32_e32 v13, v13, v17
	v_add_f32_e32 v12, v12, v14
	v_cvt_i32_f32_e32 v15, v15
	v_add_f32_e32 v13, v13, v16
	v_exp_f32_e32 v12, v12
	v_cvt_i32_f32_e32 v17, v17
	v_exp_f32_e32 v13, v13
	v_cmp_ngt_f32_e32 vcc, s16, v9
	v_ldexp_f32 v12, v12, v15
	v_cndmask_b32_e32 v12, 0, v12, vcc
	v_ldexp_f32 v13, v13, v17
	v_cmp_ngt_f32_e32 vcc, s16, v11
	v_cndmask_b32_e32 v13, 0, v13, vcc
	v_cmp_nlt_f32_e32 vcc, s17, v9
	v_cndmask_b32_e32 v12, v5, v12, vcc
	v_cmp_nlt_f32_e32 vcc, s17, v11
	v_cndmask_b32_e32 v13, v5, v13, vcc
	v_cmp_le_f32_e32 vcc, s23, v9
	v_cndmask_b32_e32 v12, 0, v12, vcc
	v_cmp_le_f32_e32 vcc, s23, v11
	v_cndmask_b32_e32 v11, 0, v13, vcc
	v_mul_f32_e32 v9, s9, v11
	v_fmac_f32_e32 v9, v6, v12
	s_waitcnt vmcnt(0)
	v_mul_f32_e32 v10, v10, v11
	v_fmac_f32_e32 v10, v3, v12
	s_cbranch_execnz .LBB29_13
.LBB29_17:
	s_add_i32 s5, s24, -1
	s_mov_b32 s7, s10
	v_mov_b32_e32 v9, v6
	v_mov_b32_e32 v8, v7
	s_waitcnt vmcnt(0)
	v_mov_b32_e32 v10, v3
	s_cbranch_execz .LBB29_22
.LBB29_18:
	s_mov_b32 s10, s7
	s_mov_b32 s24, s5
	v_mov_b32_e32 v6, v9
	v_mov_b32_e32 v7, v8
	s_waitcnt vmcnt(0)
	v_mov_b32_e32 v3, v10
	s_mul_hi_i32 s5, s24, s3
	s_cmp_lg_u64 s[4:5], 0
	s_mul_i32 s8, s24, s3
	s_cbranch_scc1 .LBB29_9
.LBB29_19:
                                        ; implicit-def: $sgpr6_sgpr7
	s_branch .LBB29_10
.LBB29_20:
                                        ; implicit-def: $sgpr10_sgpr11
	s_load_dwordx4 s[12:15], s[4:5], 0x44
	s_branch .LBB29_2
.LBB29_21:
                                        ; implicit-def: $sgpr18_sgpr19
	s_branch .LBB29_5
.LBB29_22:
	v_div_scale_f32 v0, s[0:1], v9, v9, v10
	s_waitcnt vmcnt(0)
	v_div_scale_f32 v3, vcc, v10, v9, v10
	v_rcp_f32_e32 v4, v0
	v_fma_f32 v5, -v0, v4, 1.0
	v_fmac_f32_e32 v4, v5, v4
	v_mul_f32_e32 v5, v3, v4
	v_fma_f32 v6, -v0, v5, v3
	v_fmac_f32_e32 v5, v6, v4
	v_fma_f32 v0, -v0, v5, v3
	v_div_fmas_f32 v0, v0, v4, v5
	v_div_fixup_f32 v0, v0, v9, v10
	global_store_dword v[1:2], v0, off
.LBB29_23:
	s_endpgm
	.section	.rodata,"a",@progbits
	.p2align	6, 0x0
	.amdhsa_kernel _ZL33flash_attn_stream_k_fixup_generalILi64ELi2ELi4EEvPfPK15HIP_vector_typeIfLj2EEiiiiS1_IjLj3EES5_S5_S5_
		.amdhsa_group_segment_fixed_size 0
		.amdhsa_private_segment_fixed_size 0
		.amdhsa_kernarg_size 336
		.amdhsa_user_sgpr_count 6
		.amdhsa_user_sgpr_private_segment_buffer 1
		.amdhsa_user_sgpr_dispatch_ptr 0
		.amdhsa_user_sgpr_queue_ptr 0
		.amdhsa_user_sgpr_kernarg_segment_ptr 1
		.amdhsa_user_sgpr_dispatch_id 0
		.amdhsa_user_sgpr_flat_scratch_init 0
		.amdhsa_user_sgpr_private_segment_size 0
		.amdhsa_uses_dynamic_stack 0
		.amdhsa_system_sgpr_private_segment_wavefront_offset 0
		.amdhsa_system_sgpr_workgroup_id_x 1
		.amdhsa_system_sgpr_workgroup_id_y 1
		.amdhsa_system_sgpr_workgroup_id_z 1
		.amdhsa_system_sgpr_workgroup_info 0
		.amdhsa_system_vgpr_workitem_id 0
		.amdhsa_next_free_vgpr 18
		.amdhsa_next_free_sgpr 36
		.amdhsa_reserve_vcc 1
		.amdhsa_reserve_flat_scratch 0
		.amdhsa_float_round_mode_32 0
		.amdhsa_float_round_mode_16_64 0
		.amdhsa_float_denorm_mode_32 3
		.amdhsa_float_denorm_mode_16_64 3
		.amdhsa_dx10_clamp 1
		.amdhsa_ieee_mode 1
		.amdhsa_fp16_overflow 0
		.amdhsa_exception_fp_ieee_invalid_op 0
		.amdhsa_exception_fp_denorm_src 0
		.amdhsa_exception_fp_ieee_div_zero 0
		.amdhsa_exception_fp_ieee_overflow 0
		.amdhsa_exception_fp_ieee_underflow 0
		.amdhsa_exception_fp_ieee_inexact 0
		.amdhsa_exception_int_div_zero 0
	.end_amdhsa_kernel
	.section	.text._ZL33flash_attn_stream_k_fixup_generalILi64ELi2ELi4EEvPfPK15HIP_vector_typeIfLj2EEiiiiS1_IjLj3EES5_S5_S5_,"axG",@progbits,_ZL33flash_attn_stream_k_fixup_generalILi64ELi2ELi4EEvPfPK15HIP_vector_typeIfLj2EEiiiiS1_IjLj3EES5_S5_S5_,comdat
.Lfunc_end29:
	.size	_ZL33flash_attn_stream_k_fixup_generalILi64ELi2ELi4EEvPfPK15HIP_vector_typeIfLj2EEiiiiS1_IjLj3EES5_S5_S5_, .Lfunc_end29-_ZL33flash_attn_stream_k_fixup_generalILi64ELi2ELi4EEvPfPK15HIP_vector_typeIfLj2EEiiiiS1_IjLj3EES5_S5_S5_
                                        ; -- End function
	.set _ZL33flash_attn_stream_k_fixup_generalILi64ELi2ELi4EEvPfPK15HIP_vector_typeIfLj2EEiiiiS1_IjLj3EES5_S5_S5_.num_vgpr, 18
	.set _ZL33flash_attn_stream_k_fixup_generalILi64ELi2ELi4EEvPfPK15HIP_vector_typeIfLj2EEiiiiS1_IjLj3EES5_S5_S5_.num_agpr, 0
	.set _ZL33flash_attn_stream_k_fixup_generalILi64ELi2ELi4EEvPfPK15HIP_vector_typeIfLj2EEiiiiS1_IjLj3EES5_S5_S5_.numbered_sgpr, 36
	.set _ZL33flash_attn_stream_k_fixup_generalILi64ELi2ELi4EEvPfPK15HIP_vector_typeIfLj2EEiiiiS1_IjLj3EES5_S5_S5_.num_named_barrier, 0
	.set _ZL33flash_attn_stream_k_fixup_generalILi64ELi2ELi4EEvPfPK15HIP_vector_typeIfLj2EEiiiiS1_IjLj3EES5_S5_S5_.private_seg_size, 0
	.set _ZL33flash_attn_stream_k_fixup_generalILi64ELi2ELi4EEvPfPK15HIP_vector_typeIfLj2EEiiiiS1_IjLj3EES5_S5_S5_.uses_vcc, 1
	.set _ZL33flash_attn_stream_k_fixup_generalILi64ELi2ELi4EEvPfPK15HIP_vector_typeIfLj2EEiiiiS1_IjLj3EES5_S5_S5_.uses_flat_scratch, 0
	.set _ZL33flash_attn_stream_k_fixup_generalILi64ELi2ELi4EEvPfPK15HIP_vector_typeIfLj2EEiiiiS1_IjLj3EES5_S5_S5_.has_dyn_sized_stack, 0
	.set _ZL33flash_attn_stream_k_fixup_generalILi64ELi2ELi4EEvPfPK15HIP_vector_typeIfLj2EEiiiiS1_IjLj3EES5_S5_S5_.has_recursion, 0
	.set _ZL33flash_attn_stream_k_fixup_generalILi64ELi2ELi4EEvPfPK15HIP_vector_typeIfLj2EEiiiiS1_IjLj3EES5_S5_S5_.has_indirect_call, 0
	.section	.AMDGPU.csdata,"",@progbits
; Kernel info:
; codeLenInByte = 2940
; TotalNumSgprs: 40
; NumVgprs: 18
; ScratchSize: 0
; MemoryBound: 0
; FloatMode: 240
; IeeeMode: 1
; LDSByteSize: 0 bytes/workgroup (compile time only)
; SGPRBlocks: 4
; VGPRBlocks: 4
; NumSGPRsForWavesPerEU: 40
; NumVGPRsForWavesPerEU: 18
; Occupancy: 10
; WaveLimiterHint : 0
; COMPUTE_PGM_RSRC2:SCRATCH_EN: 0
; COMPUTE_PGM_RSRC2:USER_SGPR: 6
; COMPUTE_PGM_RSRC2:TRAP_HANDLER: 0
; COMPUTE_PGM_RSRC2:TGID_X_EN: 1
; COMPUTE_PGM_RSRC2:TGID_Y_EN: 1
; COMPUTE_PGM_RSRC2:TGID_Z_EN: 1
; COMPUTE_PGM_RSRC2:TIDIG_COMP_CNT: 0
	.section	.text._ZL15flash_attn_tileILi64ELi64ELi1ELi4ELb0EEvPKcS1_S1_S1_S1_PKiPfP15HIP_vector_typeIfLj2EEffffjfiS5_IjLj3EEiiiiiiiiiiiliiliiiiil,"axG",@progbits,_ZL15flash_attn_tileILi64ELi64ELi1ELi4ELb0EEvPKcS1_S1_S1_S1_PKiPfP15HIP_vector_typeIfLj2EEffffjfiS5_IjLj3EEiiiiiiiiiiiliiliiiiil,comdat
	.globl	_ZL15flash_attn_tileILi64ELi64ELi1ELi4ELb0EEvPKcS1_S1_S1_S1_PKiPfP15HIP_vector_typeIfLj2EEffffjfiS5_IjLj3EEiiiiiiiiiiiliiliiiiil ; -- Begin function _ZL15flash_attn_tileILi64ELi64ELi1ELi4ELb0EEvPKcS1_S1_S1_S1_PKiPfP15HIP_vector_typeIfLj2EEffffjfiS5_IjLj3EEiiiiiiiiiiiliiliiiiil
	.p2align	8
	.type	_ZL15flash_attn_tileILi64ELi64ELi1ELi4ELb0EEvPKcS1_S1_S1_S1_PKiPfP15HIP_vector_typeIfLj2EEffffjfiS5_IjLj3EEiiiiiiiiiiiliiliiiiil,@function
_ZL15flash_attn_tileILi64ELi64ELi1ELi4ELb0EEvPKcS1_S1_S1_S1_PKiPfP15HIP_vector_typeIfLj2EEffffjfiS5_IjLj3EEiiiiiiiiiiiliiliiiiil: ; @_ZL15flash_attn_tileILi64ELi64ELi1ELi4ELb0EEvPKcS1_S1_S1_S1_PKiPfP15HIP_vector_typeIfLj2EEffffjfiS5_IjLj3EEiiiiiiiiiiiliiliiiiil
; %bb.0:
	s_load_dwordx4 s[0:3], s[4:5], 0x5c
	s_load_dwordx2 s[28:29], s[4:5], 0x80
	s_load_dwordx2 s[34:35], s[4:5], 0xb8
	s_mov_b64 s[30:31], 0
	s_waitcnt lgkmcnt(0)
	s_ashr_i32 s9, s3, 31
	s_lshr_b32 s9, s9, 30
	s_add_i32 s9, s3, s9
	s_ashr_i32 s9, s9, 2
	v_cvt_f32_u32_e32 v2, s9
	s_sub_i32 s10, 0, s9
	v_rcp_iflag_f32_e32 v2, v2
	v_mul_f32_e32 v2, 0x4f7ffffe, v2
	v_cvt_u32_f32_e32 v2, v2
	v_readfirstlane_b32 s11, v2
	s_mul_i32 s10, s10, s11
	s_mul_hi_u32 s10, s11, s10
	s_add_i32 s11, s11, s10
	s_mul_hi_u32 s10, s8, s11
	s_mul_i32 s11, s10, s9
	s_sub_i32 s11, s8, s11
	s_add_i32 s12, s10, 1
	s_sub_i32 s13, s11, s9
	s_cmp_ge_u32 s11, s9
	s_cselect_b32 s10, s12, s10
	s_cselect_b32 s11, s13, s11
	s_add_i32 s12, s10, 1
	s_cmp_ge_u32 s11, s9
	s_cselect_b32 s33, s12, s10
	s_abs_i32 s9, s29
	v_cvt_f32_u32_e32 v2, s9
	s_lshl_b32 s8, s8, 2
	s_mul_i32 s12, s33, s3
	s_xor_b32 s10, s3, s29
	v_rcp_iflag_f32_e32 v2, v2
	s_sub_i32 s13, 0, s9
	s_sub_i32 s29, s8, s12
	s_abs_i32 s11, s3
	v_mul_f32_e32 v2, 0x4f7ffffe, v2
	v_cvt_u32_f32_e32 v2, v2
	s_ashr_i32 s10, s10, 31
	v_readfirstlane_b32 s8, v2
	s_mul_i32 s13, s13, s8
	s_mul_hi_u32 s12, s8, s13
	s_add_i32 s8, s8, s12
	s_mul_hi_u32 s8, s11, s8
	s_mul_i32 s12, s8, s9
	s_sub_i32 s11, s11, s12
	s_add_i32 s13, s8, 1
	s_sub_i32 s12, s11, s9
	s_cmp_ge_u32 s11, s9
	s_cselect_b32 s8, s13, s8
	s_cselect_b32 s11, s12, s11
	s_add_i32 s12, s8, 1
	s_cmp_ge_u32 s11, s9
	s_cselect_b32 s8, s12, s8
	s_xor_b32 s8, s8, s10
	s_sub_i32 s37, s8, s10
	s_abs_i32 s36, s37
	v_cvt_f32_u32_e32 v2, s36
	s_load_dwordx16 s[8:23], s[4:5], 0x0
	v_rcp_iflag_f32_e32 v2, v2
	s_waitcnt lgkmcnt(0)
	s_cmp_eq_u64 s[14:15], 0
	v_mul_f32_e32 v2, 0x4f7ffffe, v2
	v_cvt_u32_f32_e32 v2, v2
	v_readfirstlane_b32 s38, v2
	s_cbranch_scc1 .LBB30_2
; %bb.1:
	s_abs_i32 s26, s34
	v_cvt_f32_u32_e32 v2, s26
	s_sub_i32 s31, 0, s26
	s_abs_i32 s30, s33
	s_ashr_i32 s27, s33, 31
	v_rcp_iflag_f32_e32 v2, v2
	s_load_dwordx2 s[24:25], s[4:5], 0xc8
	v_mul_f32_e32 v2, 0x4f7ffffe, v2
	v_cvt_u32_f32_e32 v2, v2
	v_readfirstlane_b32 s34, v2
	s_mul_i32 s31, s31, s34
	s_mul_hi_u32 s31, s34, s31
	s_add_i32 s34, s34, s31
	s_mul_hi_u32 s31, s30, s34
	s_mul_i32 s31, s31, s26
	s_sub_i32 s30, s30, s31
	s_sub_i32 s31, s30, s26
	s_cmp_ge_u32 s30, s26
	s_cselect_b32 s30, s31, s30
	s_sub_i32 s31, s30, s26
	s_cmp_ge_u32 s30, s26
	s_cselect_b32 s26, s31, s30
	s_xor_b32 s26, s26, s27
	s_sub_i32 s26, s26, s27
	s_ashr_i32 s27, s26, 31
	s_waitcnt lgkmcnt(0)
	s_mul_hi_u32 s30, s24, s26
	s_mul_i32 s27, s24, s27
	s_mul_i32 s25, s25, s26
	s_add_i32 s27, s30, s27
	s_add_i32 s27, s27, s25
	s_mul_i32 s24, s24, s26
	s_add_u32 s30, s14, s24
	s_addc_u32 s31, s15, s27
.LBB30_2:
	v_lshrrev_b32_e32 v2, 2, v1
	s_load_dwordx4 s[24:27], s[4:5], 0x70
	v_add_u32_e32 v27, s6, v2
	v_mul_hi_u32 v2, s0, v27
	v_and_b32_e32 v28, 3, v1
	s_waitcnt lgkmcnt(0)
	s_mul_i32 s14, s33, s26
	v_add_u32_e32 v2, v27, v2
	s_ashr_i32 s26, s14, 31
	v_lshrrev_b32_e32 v2, s1, v2
	s_mul_i32 s15, s29, s25
	s_add_u32 s8, s8, s14
	v_mul_lo_u32 v2, v2, s2
	s_addc_u32 s9, s9, s26
	s_ashr_i32 s14, s15, 31
	s_add_u32 s26, s8, s15
	s_addc_u32 s27, s9, s14
	s_ashr_i32 s9, s25, 31
	s_mov_b32 s8, s25
	s_ashr_i32 s25, s24, 31
	s_lshr_b64 s[14:15], s[8:9], 2
	v_sub_u32_e32 v2, v27, v2
	s_lshr_b64 s[0:1], s[24:25], 2
	v_mad_u64_u32 v[3:4], s[14:15], s14, v28, 0
	v_mad_u64_u32 v[5:6], s[0:1], s0, v2, 0
	s_lshr_b32 s0, s9, 2
	v_mad_u64_u32 v[7:8], s[0:1], s0, v28, v[4:5]
	v_mov_b32_e32 v4, v6
	s_lshr_b32 s0, s25, 2
	v_mad_u64_u32 v[8:9], s[0:1], s0, v2, v[4:5]
	v_mov_b32_e32 v4, v7
	v_lshlrev_b64 v[3:4], 2, v[3:4]
	v_mov_b32_e32 v6, v8
	v_mov_b32_e32 v7, s27
	v_add_co_u32_e32 v8, vcc, s26, v3
	v_addc_co_u32_e32 v7, vcc, v7, v4, vcc
	v_lshlrev_b64 v[3:4], 2, v[5:6]
	v_lshlrev_b32_e32 v5, 3, v0
	v_add_co_u32_e32 v3, vcc, v8, v3
	v_addc_co_u32_e32 v4, vcc, v7, v4, vcc
	v_add_co_u32_e32 v3, vcc, v3, v5
	v_addc_co_u32_e32 v4, vcc, 0, v4, vcc
	global_load_dwordx2 v[4:5], v[3:4], off
	s_load_dword s0, s[4:5], 0x40
	v_lshlrev_b32_e32 v3, 7, v1
	v_add_u32_e32 v29, 0x2600, v3
	v_lshl_add_u32 v6, v0, 2, v29
	s_cmp_eq_u64 s[18:19], 0
	s_waitcnt vmcnt(0) lgkmcnt(0)
	v_fma_mixlo_f16 v5, s0, v5, 0
	v_fma_mixlo_f16 v4, s0, v4, 0
	v_lshlrev_b32_e32 v5, 16, v5
	v_or_b32_sdwa v4, v5, v4 dst_sel:DWORD dst_unused:UNUSED_PAD src0_sel:DWORD src1_sel:WORD_0
	ds_write_b32 v6, v4
	s_waitcnt lgkmcnt(0)
	s_barrier
	s_cbranch_scc1 .LBB30_4
; %bb.3:
	s_load_dword s0, s[4:5], 0xd0
	s_mov_b32 s1, 0
	s_waitcnt lgkmcnt(0)
	s_mul_i32 s0, s0, s33
	s_add_i32 s0, s0, s6
	s_lshl_b64 s[0:1], s[0:1], 2
	s_add_u32 s0, s18, s0
	s_addc_u32 s1, s19, s1
	s_load_dword s28, s[0:1], 0x0
.LBB30_4:
	s_lshl_b32 s6, s7, 6
	s_waitcnt lgkmcnt(0)
	s_cmp_lt_i32 s6, s28
	v_mbcnt_lo_u32_b32 v4, -1, 0
	s_cbranch_scc1 .LBB30_7
; %bb.5:
	v_mbcnt_hi_u32_b32 v30, -1, v4
	v_and_b32_e32 v5, 0x60, v30
	v_add_u32_e32 v31, 32, v5
	v_xor_b32_e32 v36, 16, v30
	v_xor_b32_e32 v32, 8, v30
	;; [unrolled: 1-line block ×5, first 2 shown]
	s_cbranch_execz .LBB30_8
; %bb.6:
	v_mov_b32_e32 v44, 0
	v_mov_b32_e32 v22, 0xfeffffff
	;; [unrolled: 1-line block ×3, first 2 shown]
	s_branch .LBB30_10
.LBB30_7:
                                        ; implicit-def: $vgpr30
                                        ; implicit-def: $vgpr31
                                        ; implicit-def: $vgpr36
                                        ; implicit-def: $vgpr32
                                        ; implicit-def: $vgpr35
                                        ; implicit-def: $vgpr33
                                        ; implicit-def: $vgpr34
.LBB30_8:
	s_sub_i32 s0, 0, s36
	s_mul_i32 s0, s0, s38
	s_mul_hi_u32 s0, s38, s0
	s_add_i32 s38, s38, s0
	s_load_dwordx2 s[0:1], s[4:5], 0x8c
	s_load_dwordx4 s[24:27], s[4:5], 0x98
	s_abs_i32 s18, s29
	s_mul_hi_u32 s19, s18, s38
	s_ashr_i32 s34, s29, 31
	s_waitcnt lgkmcnt(0)
	s_ashr_i32 s9, s0, 2
	s_ashr_i32 s8, s26, 2
	;; [unrolled: 1-line block ×4, first 2 shown]
	s_mul_hi_u32 s35, s24, s33
	s_mul_i32 s38, s24, s26
	s_add_i32 s35, s35, s38
	s_mul_i32 s25, s25, s33
	s_ashr_i32 s37, s37, 31
	s_add_i32 s35, s35, s25
	s_mul_i32 s24, s24, s33
	s_add_u32 s10, s10, s24
	s_mul_i32 s25, s19, s36
	s_addc_u32 s11, s11, s35
	s_sub_i32 s18, s18, s25
	s_xor_b32 s24, s34, s37
	s_add_i32 s25, s19, 1
	s_sub_i32 s34, s18, s36
	s_cmp_ge_u32 s18, s36
	s_cselect_b32 s19, s25, s19
	s_cselect_b32 s18, s34, s18
	s_add_i32 s25, s19, 1
	s_cmp_ge_u32 s18, s36
	s_cselect_b32 s18, s25, s19
	s_load_dwordx2 s[14:15], s[4:5], 0xa8
	s_xor_b32 s18, s18, s24
	s_sub_i32 s18, s18, s24
	s_mul_i32 s1, s18, s1
	s_ashr_i32 s19, s1, 31
	s_add_u32 s10, s10, s1
	s_addc_u32 s11, s11, s19
	s_waitcnt lgkmcnt(0)
	s_mul_hi_u32 s1, s14, s33
	s_mul_i32 s19, s14, s26
	s_add_i32 s1, s1, s19
	s_mul_i32 s15, s15, s33
	s_add_i32 s1, s1, s15
	s_mul_i32 s14, s14, s33
	v_lshrrev_b32_e32 v5, 3, v0
	s_add_u32 s12, s12, s14
	s_mul_i32 s18, s18, s27
	v_lshl_add_u32 v15, v1, 2, v5
	s_addc_u32 s1, s13, s1
	s_ashr_i32 s13, s18, 31
	v_lshlrev_b32_e32 v37, 2, v0
	v_mul_lo_u32 v7, s9, v15
	s_add_u32 s12, s12, s18
	v_and_b32_e32 v23, 28, v37
	s_addc_u32 s13, s1, s13
	v_lshlrev_b32_e32 v16, 2, v23
	s_movk_i32 s1, 0x90
	v_mad_u32_u24 v38, v15, s1, v16
	s_lshl_b32 s1, s9, 4
	v_add_u32_e32 v9, s1, v7
	v_add_u32_e32 v11, s1, v9
	;; [unrolled: 1-line block ×3, first 2 shown]
	v_mad_u64_u32 v[5:6], s[0:1], v2, s0, v[0:1]
	v_mul_lo_u32 v1, s8, v15
	s_lshl_b32 s0, s8, 4
	v_lshl_or_b32 v46, v15, 7, v16
	v_ashrrev_i32_e32 v8, 31, v7
	v_add_u32_e32 v16, s0, v1
	v_add_u32_e32 v18, s0, v16
	;; [unrolled: 1-line block ×3, first 2 shown]
	v_ashrrev_i32_e32 v10, 31, v9
	v_ashrrev_i32_e32 v12, 31, v11
	;; [unrolled: 1-line block ×7, first 2 shown]
	v_mbcnt_hi_u32_b32 v30, -1, v4
	v_add_u32_e32 v43, 0x2400, v3
	s_add_u32 s0, s4, 0xd0
	v_lshlrev_b64 v[6:7], 2, v[7:8]
	v_lshlrev_b64 v[8:9], 2, v[9:10]
	;; [unrolled: 1-line block ×4, first 2 shown]
	v_and_b32_e32 v3, 0x60, v30
	v_lshlrev_b64 v[14:15], 2, v[1:2]
	v_lshlrev_b64 v[16:17], 2, v[16:17]
	v_lshlrev_b64 v[18:19], 2, v[18:19]
	v_lshlrev_b64 v[20:21], 2, v[20:21]
	v_mov_b32_e32 v60, 0
	v_add_u32_e32 v39, 0x900, v38
	v_add_u32_e32 v40, 0x1200, v38
	;; [unrolled: 1-line block ×3, first 2 shown]
	v_mul_u32_u24_e32 v42, 0x90, v0
	v_lshl_add_u32 v45, v0, 1, v43
	v_add_u32_e32 v47, 0x800, v46
	v_add_u32_e32 v48, 0x1000, v46
	v_add_u32_e32 v49, 0x1800, v46
	s_addc_u32 s1, s5, 0
	v_mov_b32_e32 v22, 0xfeffffff
	v_lshlrev_b32_e32 v50, 2, v23
	v_add_u32_e32 v31, 32, v3
	v_xor_b32_e32 v36, 16, v30
	v_xor_b32_e32 v32, 8, v30
	s_mov_b32 s14, 0x3fb8aa3b
	s_mov_b32 s15, 0xc2ce8ed0
	;; [unrolled: 1-line block ×4, first 2 shown]
	v_xor_b32_e32 v35, 4, v30
	v_xor_b32_e32 v33, 2, v30
	;; [unrolled: 1-line block ×3, first 2 shown]
	v_mov_b32_e32 v51, s31
	v_mov_b32_e32 v52, 0x7f800000
	v_add_u32_e32 v53, 0x400, v37
	v_add_u32_e32 v54, 0x800, v37
	v_add_u32_e32 v55, 0xc00, v37
	v_add_u32_e32 v56, 0x1000, v37
	v_add_u32_e32 v57, 0x1400, v37
	v_add_u32_e32 v58, 0x1800, v37
	v_add_u32_e32 v59, 0x1c00, v37
	v_mov_b32_e32 v44, 0
.LBB30_9:                               ; =>This Inner Loop Header: Depth=1
	s_mul_hi_i32 s25, s6, s9
	s_mul_i32 s24, s6, s9
	s_lshl_b64 s[24:25], s[24:25], 2
	s_add_u32 s24, s10, s24
	s_addc_u32 s25, s11, s25
	v_add_co_u32_e32 v2, vcc, s24, v6
	v_mov_b32_e32 v3, s25
	v_addc_co_u32_e32 v3, vcc, v3, v7, vcc
	v_add_co_u32_e32 v2, vcc, v2, v50
	v_addc_co_u32_e32 v3, vcc, 0, v3, vcc
	v_mov_b32_e32 v1, v22
	global_load_dwordx4 v[22:25], v[2:3], off
	v_add_co_u32_e32 v2, vcc, s24, v8
	v_mov_b32_e32 v3, s25
	v_addc_co_u32_e32 v3, vcc, v3, v9, vcc
	v_add_co_u32_e32 v2, vcc, v2, v50
	v_addc_co_u32_e32 v3, vcc, 0, v3, vcc
	s_waitcnt vmcnt(0)
	ds_write_b128 v38, v[22:25]
	global_load_dwordx4 v[22:25], v[2:3], off
	v_add_co_u32_e32 v2, vcc, s24, v10
	v_mov_b32_e32 v3, s25
	v_addc_co_u32_e32 v3, vcc, v3, v11, vcc
	v_add_co_u32_e32 v2, vcc, v2, v50
	v_addc_co_u32_e32 v3, vcc, 0, v3, vcc
	s_waitcnt vmcnt(0)
	ds_write_b128 v39, v[22:25]
	global_load_dwordx4 v[22:25], v[2:3], off
	v_add_co_u32_e32 v2, vcc, s24, v12
	v_mov_b32_e32 v3, s25
	v_addc_co_u32_e32 v3, vcc, v3, v13, vcc
	v_add_co_u32_e32 v2, vcc, v2, v50
	v_addc_co_u32_e32 v3, vcc, 0, v3, vcc
	v_cmp_lt_i32_e32 vcc, v36, v31
	v_cndmask_b32_e32 v4, v30, v36, vcc
	v_cmp_lt_i32_e32 vcc, v32, v31
	v_lshlrev_b32_e32 v4, 2, v4
	s_mul_hi_i32 s25, s6, s8
	s_mul_i32 s24, s6, s8
	s_lshl_b64 s[24:25], s[24:25], 2
	s_add_u32 s24, s12, s24
	s_addc_u32 s25, s13, s25
	s_waitcnt vmcnt(0)
	ds_write_b128 v40, v[22:25]
	global_load_dwordx4 v[22:25], v[2:3], off
	v_mov_b32_e32 v2, 0
	v_mov_b32_e32 v3, 0
	s_waitcnt vmcnt(0)
	ds_write_b128 v41, v[22:25]
	s_waitcnt lgkmcnt(0)
	s_barrier
	ds_read_b128 v[22:25], v42
	ds_read_b128 v[61:64], v42 offset:4608
	ds_read_b128 v[65:68], v29
	s_waitcnt lgkmcnt(0)
	;;#ASMSTART
	v_dot2_f32_f16 v2, v22, v65, v2
	;;#ASMEND
	;;#ASMSTART
	v_dot2_f32_f16 v2, v23, v66, v2
	;;#ASMEND
	;;#ASMSTART
	v_dot2_f32_f16 v2, v24, v67, v2
	;;#ASMEND
	;;#ASMSTART
	v_dot2_f32_f16 v2, v25, v68, v2
	;;#ASMEND
	;;#ASMSTART
	v_dot2_f32_f16 v3, v61, v65, v3
	;;#ASMEND
	;;#ASMSTART
	v_dot2_f32_f16 v3, v62, v66, v3
	;;#ASMEND
	;;#ASMSTART
	v_dot2_f32_f16 v3, v63, v67, v3
	;;#ASMEND
	;;#ASMSTART
	v_dot2_f32_f16 v3, v64, v68, v3
	;;#ASMEND
	ds_read_b128 v[22:25], v42 offset:16
	ds_read_b128 v[61:64], v42 offset:4624
	ds_read_b128 v[65:68], v29 offset:16
	s_waitcnt lgkmcnt(0)
	;;#ASMSTART
	v_dot2_f32_f16 v2, v22, v65, v2
	;;#ASMEND
	;;#ASMSTART
	v_dot2_f32_f16 v2, v23, v66, v2
	;;#ASMEND
	;;#ASMSTART
	v_dot2_f32_f16 v2, v24, v67, v2
	;;#ASMEND
	;;#ASMSTART
	v_dot2_f32_f16 v2, v25, v68, v2
	;;#ASMEND
	;;#ASMSTART
	v_dot2_f32_f16 v3, v61, v65, v3
	;;#ASMEND
	;;#ASMSTART
	v_dot2_f32_f16 v3, v62, v66, v3
	;;#ASMEND
	;;#ASMSTART
	v_dot2_f32_f16 v3, v63, v67, v3
	;;#ASMEND
	;;#ASMSTART
	v_dot2_f32_f16 v3, v64, v68, v3
	;;#ASMEND
	ds_read_b128 v[22:25], v42 offset:32
	ds_read_b128 v[61:64], v42 offset:4640
	ds_read_b128 v[65:68], v29 offset:32
	s_waitcnt lgkmcnt(0)
	;;#ASMSTART
	v_dot2_f32_f16 v2, v22, v65, v2
	;;#ASMEND
	;;#ASMSTART
	v_dot2_f32_f16 v2, v23, v66, v2
	;;#ASMEND
	;;#ASMSTART
	v_dot2_f32_f16 v2, v24, v67, v2
	;;#ASMEND
	;;#ASMSTART
	v_dot2_f32_f16 v2, v25, v68, v2
	;;#ASMEND
	;;#ASMSTART
	v_dot2_f32_f16 v3, v61, v65, v3
	;;#ASMEND
	;;#ASMSTART
	v_dot2_f32_f16 v3, v62, v66, v3
	;;#ASMEND
	;;#ASMSTART
	v_dot2_f32_f16 v3, v63, v67, v3
	;;#ASMEND
	;;#ASMSTART
	v_dot2_f32_f16 v3, v64, v68, v3
	;;#ASMEND
	ds_read_b128 v[22:25], v42 offset:48
	ds_read_b128 v[61:64], v42 offset:4656
	ds_read_b128 v[65:68], v29 offset:48
	s_waitcnt lgkmcnt(0)
	;;#ASMSTART
	v_dot2_f32_f16 v2, v22, v65, v2
	;;#ASMEND
	;;#ASMSTART
	v_dot2_f32_f16 v2, v23, v66, v2
	;;#ASMEND
	;;#ASMSTART
	v_dot2_f32_f16 v2, v24, v67, v2
	;;#ASMEND
	;;#ASMSTART
	v_dot2_f32_f16 v2, v25, v68, v2
	;;#ASMEND
	;;#ASMSTART
	v_dot2_f32_f16 v3, v61, v65, v3
	;;#ASMEND
	;;#ASMSTART
	v_dot2_f32_f16 v3, v62, v66, v3
	;;#ASMEND
	;;#ASMSTART
	v_dot2_f32_f16 v3, v63, v67, v3
	;;#ASMEND
	;;#ASMSTART
	v_dot2_f32_f16 v3, v64, v68, v3
	;;#ASMEND
	ds_read_b128 v[22:25], v42 offset:64
	ds_read_b128 v[61:64], v42 offset:4672
	ds_read_b128 v[65:68], v29 offset:64
	s_waitcnt lgkmcnt(0)
	;;#ASMSTART
	v_dot2_f32_f16 v2, v22, v65, v2
	;;#ASMEND
	;;#ASMSTART
	v_dot2_f32_f16 v2, v23, v66, v2
	;;#ASMEND
	;;#ASMSTART
	v_dot2_f32_f16 v2, v24, v67, v2
	;;#ASMEND
	;;#ASMSTART
	v_dot2_f32_f16 v2, v25, v68, v2
	;;#ASMEND
	;;#ASMSTART
	v_dot2_f32_f16 v3, v61, v65, v3
	;;#ASMEND
	;;#ASMSTART
	v_dot2_f32_f16 v3, v62, v66, v3
	;;#ASMEND
	;;#ASMSTART
	v_dot2_f32_f16 v3, v63, v67, v3
	;;#ASMEND
	;;#ASMSTART
	v_dot2_f32_f16 v3, v64, v68, v3
	;;#ASMEND
	ds_read_b128 v[22:25], v42 offset:80
	ds_read_b128 v[61:64], v42 offset:4688
	ds_read_b128 v[65:68], v29 offset:80
	s_waitcnt lgkmcnt(0)
	;;#ASMSTART
	v_dot2_f32_f16 v2, v22, v65, v2
	;;#ASMEND
	;;#ASMSTART
	v_dot2_f32_f16 v2, v23, v66, v2
	;;#ASMEND
	;;#ASMSTART
	v_dot2_f32_f16 v2, v24, v67, v2
	;;#ASMEND
	;;#ASMSTART
	v_dot2_f32_f16 v2, v25, v68, v2
	;;#ASMEND
	;;#ASMSTART
	v_dot2_f32_f16 v3, v61, v65, v3
	;;#ASMEND
	;;#ASMSTART
	v_dot2_f32_f16 v3, v62, v66, v3
	;;#ASMEND
	;;#ASMSTART
	v_dot2_f32_f16 v3, v63, v67, v3
	;;#ASMEND
	;;#ASMSTART
	v_dot2_f32_f16 v3, v64, v68, v3
	;;#ASMEND
	ds_read_b128 v[22:25], v42 offset:96
	ds_read_b128 v[61:64], v42 offset:4704
	ds_read_b128 v[65:68], v29 offset:96
	s_waitcnt lgkmcnt(0)
	;;#ASMSTART
	v_dot2_f32_f16 v2, v22, v65, v2
	;;#ASMEND
	;;#ASMSTART
	v_dot2_f32_f16 v2, v23, v66, v2
	;;#ASMEND
	;;#ASMSTART
	v_dot2_f32_f16 v2, v24, v67, v2
	;;#ASMEND
	;;#ASMSTART
	v_dot2_f32_f16 v2, v25, v68, v2
	;;#ASMEND
	;;#ASMSTART
	v_dot2_f32_f16 v3, v61, v65, v3
	;;#ASMEND
	;;#ASMSTART
	v_dot2_f32_f16 v3, v62, v66, v3
	;;#ASMEND
	;;#ASMSTART
	v_dot2_f32_f16 v3, v63, v67, v3
	;;#ASMEND
	;;#ASMSTART
	v_dot2_f32_f16 v3, v64, v68, v3
	;;#ASMEND
	ds_read_b128 v[22:25], v42 offset:112
	ds_read_b128 v[61:64], v42 offset:4720
	ds_read_b128 v[65:68], v29 offset:112
	s_waitcnt lgkmcnt(0)
	;;#ASMSTART
	v_dot2_f32_f16 v2, v22, v65, v2
	;;#ASMEND
	;;#ASMSTART
	v_dot2_f32_f16 v2, v23, v66, v2
	;;#ASMEND
	v_add_u32_e32 v22, s6, v5
	;;#ASMSTART
	v_dot2_f32_f16 v2, v24, v67, v2
	;;#ASMEND
	v_cndmask_b32_e32 v24, v30, v32, vcc
	v_cmp_lt_i32_e32 vcc, v35, v31
	v_ashrrev_i32_e32 v23, 31, v22
	;;#ASMSTART
	v_dot2_f32_f16 v2, v25, v68, v2
	;;#ASMEND
	v_cndmask_b32_e32 v25, v30, v35, vcc
	v_cmp_lt_i32_e32 vcc, v33, v31
	v_lshlrev_b64 v[22:23], 1, v[22:23]
	;;#ASMSTART
	v_dot2_f32_f16 v3, v61, v65, v3
	;;#ASMEND
	v_cndmask_b32_e32 v26, v30, v33, vcc
	v_cmp_lt_i32_e32 vcc, v34, v31
	;;#ASMSTART
	v_dot2_f32_f16 v3, v62, v66, v3
	;;#ASMEND
	v_cndmask_b32_e32 v61, v30, v34, vcc
	v_add_co_u32_e32 v22, vcc, s30, v22
	;;#ASMSTART
	v_dot2_f32_f16 v3, v63, v67, v3
	;;#ASMEND
	v_addc_co_u32_e32 v23, vcc, v51, v23, vcc
	;;#ASMSTART
	v_dot2_f32_f16 v3, v64, v68, v3
	;;#ASMEND
	global_load_ushort v62, v[22:23], off
	s_waitcnt vmcnt(0)
	v_cvt_f32_f16_e32 v62, v62
	global_load_ushort v22, v[22:23], off offset:64
	v_lshlrev_b32_e32 v23, 2, v24
	v_lshlrev_b32_e32 v24, 2, v25
	v_add_f32_e32 v2, v2, v62
	v_add_f32_e32 v62, 0x40051340, v2
	v_lshlrev_b32_e32 v25, 2, v26
	v_lshlrev_b32_e32 v26, 2, v61
	s_waitcnt vmcnt(0)
	s_barrier
	v_cvt_f32_f16_e32 v22, v22
	v_add_f32_e32 v3, v3, v22
	v_add_f32_e32 v22, 0x40051340, v3
	v_max3_f32 v22, v1, v62, v22
	ds_bpermute_b32 v4, v4, v22
	s_waitcnt lgkmcnt(0)
	v_max_f32_e32 v4, v4, v4
	v_max_f32_e32 v4, v22, v4
	ds_bpermute_b32 v22, v23, v4
	s_waitcnt lgkmcnt(0)
	v_max_f32_e32 v22, v22, v22
	v_max_f32_e32 v4, v4, v22
	;; [unrolled: 4-line block ×4, first 2 shown]
	ds_bpermute_b32 v22, v26, v4
	v_mov_b32_e32 v26, s25
	s_waitcnt lgkmcnt(0)
	v_max_f32_e32 v22, v22, v22
	v_max_f32_e32 v22, v4, v22
	v_sub_f32_e32 v2, v2, v22
	v_mul_f32_e32 v4, 0x3fb8aa3b, v2
	v_fma_f32 v23, v2, s14, -v4
	v_rndne_f32_e32 v24, v4
	v_fmac_f32_e32 v23, 0x32a5705f, v2
	v_sub_f32_e32 v4, v4, v24
	v_add_f32_e32 v4, v4, v23
	v_exp_f32_e32 v4, v4
	v_cvt_i32_f32_e32 v23, v24
	v_sub_f32_e32 v3, v3, v22
	v_cmp_ngt_f32_e32 vcc, s15, v2
	v_sub_f32_e32 v1, v1, v22
	v_ldexp_f32 v4, v4, v23
	v_mul_f32_e32 v23, 0x3fb8aa3b, v3
	v_fma_f32 v24, v3, s14, -v23
	v_rndne_f32_e32 v25, v23
	v_fmac_f32_e32 v24, 0x32a5705f, v3
	v_sub_f32_e32 v23, v23, v25
	v_add_f32_e32 v23, v23, v24
	v_exp_f32_e32 v23, v23
	v_cvt_i32_f32_e32 v24, v25
	v_cndmask_b32_e32 v4, 0, v4, vcc
	v_cmp_nlt_f32_e32 vcc, s18, v2
	v_cndmask_b32_e32 v2, v52, v4, vcc
	v_ldexp_f32 v23, v23, v24
	v_cmp_ngt_f32_e32 vcc, s15, v3
	v_cndmask_b32_e32 v23, 0, v23, vcc
	v_cmp_nlt_f32_e32 vcc, s18, v3
	v_cndmask_b32_e32 v3, v52, v23, vcc
	v_mul_f32_e32 v23, 0x3fb8aa3b, v1
	v_fma_f32 v24, v1, s14, -v23
	v_rndne_f32_e32 v25, v23
	v_fmac_f32_e32 v24, 0x32a5705f, v1
	v_sub_f32_e32 v23, v23, v25
	v_add_f32_e32 v23, v23, v24
	v_exp_f32_e32 v23, v23
	v_cvt_i32_f32_e32 v24, v25
	v_cmp_ngt_f32_e32 vcc, s15, v1
	v_cvt_f16_f32_e32 v4, v2
	v_add_f32_e32 v2, v2, v3
	v_ldexp_f32 v23, v23, v24
	v_cndmask_b32_e32 v23, 0, v23, vcc
	v_cmp_nlt_f32_e32 vcc, s18, v1
	v_cndmask_b32_e32 v1, v52, v23, vcc
	v_mov_b32_e32 v23, v44
	v_mov_b32_e32 v44, v2
	v_fmac_f32_e32 v44, v23, v1
	v_cvt_f16_f32_e32 v1, v1
	v_mov_b32_e32 v2, s25
	v_cvt_f16_f32_e32 v3, v3
	ds_write_b16 v45, v4
	ds_write_b16 v45, v3 offset:64
	v_mul_u32_u24_e32 v61, 0x10001, v1
	v_add_co_u32_e32 v1, vcc, s24, v14
	v_addc_co_u32_e32 v2, vcc, v2, v15, vcc
	v_add_co_u32_e32 v1, vcc, v1, v50
	v_addc_co_u32_e32 v2, vcc, 0, v2, vcc
	v_add_co_u32_e32 v3, vcc, s24, v16
	v_mov_b32_e32 v4, s25
	v_addc_co_u32_e32 v4, vcc, v4, v17, vcc
	v_add_co_u32_e32 v3, vcc, v3, v50
	v_addc_co_u32_e32 v4, vcc, 0, v4, vcc
	global_load_dwordx4 v[62:65], v[1:2], off
	v_add_co_u32_e32 v23, vcc, s24, v18
	global_load_dwordx4 v[1:4], v[3:4], off
	v_mov_b32_e32 v24, s25
	v_addc_co_u32_e32 v24, vcc, v24, v19, vcc
	v_add_co_u32_e32 v23, vcc, v23, v50
	v_addc_co_u32_e32 v24, vcc, 0, v24, vcc
	v_add_co_u32_e32 v25, vcc, s24, v20
	;; [unrolled: 2-line block ×3, first 2 shown]
	v_addc_co_u32_e32 v26, vcc, 0, v26, vcc
	s_waitcnt vmcnt(1)
	ds_write_b128 v46, v[62:65]
	s_waitcnt vmcnt(0)
	ds_write_b128 v47, v[1:4]
	global_load_dwordx4 v[1:4], v[23:24], off
	s_waitcnt vmcnt(0)
	ds_write_b128 v48, v[1:4]
	global_load_dwordx4 v[1:4], v[25:26], off
	s_waitcnt vmcnt(0)
	ds_write_b128 v49, v[1:4]
	s_waitcnt lgkmcnt(0)
	s_barrier
	ds_read2_b32 v[70:71], v37 offset1:32
	ds_read_b128 v[23:26], v43
	ds_read_b128 v[62:65], v43 offset:16
	ds_read_b128 v[66:69], v43 offset:32
	;; [unrolled: 1-line block ×3, first 2 shown]
	s_waitcnt lgkmcnt(3)
	v_mul_u32_u24_sdwa v72, v23, s19 dst_sel:DWORD dst_unused:UNUSED_PAD src0_sel:WORD_0 src1_sel:DWORD
	v_pk_mul_f16 v70, v70, v72
	v_pk_fma_f16 v60, v60, v61, v70
	v_mul_u32_u24_sdwa v23, v23, s19 dst_sel:DWORD dst_unused:UNUSED_PAD src0_sel:WORD_1 src1_sel:DWORD
	v_pk_fma_f16 v23, v71, v23, v60
	ds_read2_b32 v[60:61], v37 offset0:64 offset1:96
	v_mul_u32_u24_sdwa v70, v24, s19 dst_sel:DWORD dst_unused:UNUSED_PAD src0_sel:WORD_0 src1_sel:DWORD
	v_mul_u32_u24_sdwa v24, v24, s19 dst_sel:DWORD dst_unused:UNUSED_PAD src0_sel:WORD_1 src1_sel:DWORD
	s_waitcnt lgkmcnt(0)
	v_pk_fma_f16 v23, v60, v70, v23
	v_pk_fma_f16 v60, v61, v24, v23
	ds_read2_b32 v[23:24], v37 offset0:128 offset1:160
	v_mul_u32_u24_sdwa v61, v25, s19 dst_sel:DWORD dst_unused:UNUSED_PAD src0_sel:WORD_0 src1_sel:DWORD
	v_mul_u32_u24_sdwa v25, v25, s19 dst_sel:DWORD dst_unused:UNUSED_PAD src0_sel:WORD_1 src1_sel:DWORD
	s_waitcnt lgkmcnt(0)
	v_pk_fma_f16 v23, v23, v61, v60
	v_pk_fma_f16 v25, v24, v25, v23
	ds_read2_b32 v[23:24], v37 offset0:192 offset1:224
	v_mul_u32_u24_sdwa v60, v26, s19 dst_sel:DWORD dst_unused:UNUSED_PAD src0_sel:WORD_0 src1_sel:DWORD
	s_waitcnt lgkmcnt(0)
	v_pk_fma_f16 v23, v23, v60, v25
	v_mul_u32_u24_sdwa v25, v26, s19 dst_sel:DWORD dst_unused:UNUSED_PAD src0_sel:WORD_1 src1_sel:DWORD
	v_pk_fma_f16 v25, v24, v25, v23
	ds_read2_b32 v[23:24], v53 offset1:32
	v_mul_u32_u24_sdwa v26, v62, s19 dst_sel:DWORD dst_unused:UNUSED_PAD src0_sel:WORD_0 src1_sel:DWORD
	s_waitcnt lgkmcnt(0)
	v_pk_fma_f16 v23, v23, v26, v25
	v_mul_u32_u24_sdwa v25, v62, s19 dst_sel:DWORD dst_unused:UNUSED_PAD src0_sel:WORD_1 src1_sel:DWORD
	v_pk_fma_f16 v25, v24, v25, v23
	ds_read2_b32 v[23:24], v53 offset0:64 offset1:96
	v_mul_u32_u24_sdwa v26, v63, s19 dst_sel:DWORD dst_unused:UNUSED_PAD src0_sel:WORD_0 src1_sel:DWORD
	s_waitcnt lgkmcnt(0)
	v_pk_fma_f16 v23, v23, v26, v25
	v_mul_u32_u24_sdwa v25, v63, s19 dst_sel:DWORD dst_unused:UNUSED_PAD src0_sel:WORD_1 src1_sel:DWORD
	v_pk_fma_f16 v25, v24, v25, v23
	ds_read2_b32 v[23:24], v53 offset0:128 offset1:160
	;; [unrolled: 6-line block ×3, first 2 shown]
	v_mul_u32_u24_sdwa v26, v65, s19 dst_sel:DWORD dst_unused:UNUSED_PAD src0_sel:WORD_0 src1_sel:DWORD
	s_waitcnt lgkmcnt(0)
	v_pk_fma_f16 v23, v23, v26, v25
	v_mul_u32_u24_sdwa v25, v65, s19 dst_sel:DWORD dst_unused:UNUSED_PAD src0_sel:WORD_1 src1_sel:DWORD
	v_pk_fma_f16 v25, v24, v25, v23
	ds_read2_b32 v[23:24], v54 offset1:32
	v_mul_u32_u24_sdwa v26, v66, s19 dst_sel:DWORD dst_unused:UNUSED_PAD src0_sel:WORD_0 src1_sel:DWORD
	s_waitcnt lgkmcnt(0)
	v_pk_fma_f16 v23, v23, v26, v25
	v_mul_u32_u24_sdwa v25, v66, s19 dst_sel:DWORD dst_unused:UNUSED_PAD src0_sel:WORD_1 src1_sel:DWORD
	v_pk_fma_f16 v25, v24, v25, v23
	ds_read2_b32 v[23:24], v54 offset0:64 offset1:96
	v_mul_u32_u24_sdwa v26, v67, s19 dst_sel:DWORD dst_unused:UNUSED_PAD src0_sel:WORD_0 src1_sel:DWORD
	s_waitcnt lgkmcnt(0)
	v_pk_fma_f16 v23, v23, v26, v25
	v_mul_u32_u24_sdwa v25, v67, s19 dst_sel:DWORD dst_unused:UNUSED_PAD src0_sel:WORD_1 src1_sel:DWORD
	v_pk_fma_f16 v25, v24, v25, v23
	ds_read2_b32 v[23:24], v54 offset0:128 offset1:160
	;; [unrolled: 6-line block ×3, first 2 shown]
	v_mul_u32_u24_sdwa v26, v69, s19 dst_sel:DWORD dst_unused:UNUSED_PAD src0_sel:WORD_0 src1_sel:DWORD
	s_waitcnt lgkmcnt(0)
	v_pk_fma_f16 v23, v23, v26, v25
	v_mul_u32_u24_sdwa v25, v69, s19 dst_sel:DWORD dst_unused:UNUSED_PAD src0_sel:WORD_1 src1_sel:DWORD
	v_pk_fma_f16 v25, v24, v25, v23
	ds_read2_b32 v[23:24], v55 offset1:32
	v_mul_u32_u24_sdwa v26, v1, s19 dst_sel:DWORD dst_unused:UNUSED_PAD src0_sel:WORD_0 src1_sel:DWORD
	v_mul_u32_u24_sdwa v1, v1, s19 dst_sel:DWORD dst_unused:UNUSED_PAD src0_sel:WORD_1 src1_sel:DWORD
	s_waitcnt lgkmcnt(0)
	v_pk_fma_f16 v23, v23, v26, v25
	v_pk_fma_f16 v1, v24, v1, v23
	ds_read2_b32 v[23:24], v55 offset0:64 offset1:96
	v_mul_u32_u24_sdwa v25, v2, s19 dst_sel:DWORD dst_unused:UNUSED_PAD src0_sel:WORD_0 src1_sel:DWORD
	v_mul_u32_u24_sdwa v2, v2, s19 dst_sel:DWORD dst_unused:UNUSED_PAD src0_sel:WORD_1 src1_sel:DWORD
	s_waitcnt lgkmcnt(0)
	v_pk_fma_f16 v1, v23, v25, v1
	v_pk_fma_f16 v23, v24, v2, v1
	ds_read2_b32 v[1:2], v55 offset0:128 offset1:160
	;; [unrolled: 6-line block ×3, first 2 shown]
	v_mul_u32_u24_sdwa v23, v4, s19 dst_sel:DWORD dst_unused:UNUSED_PAD src0_sel:WORD_0 src1_sel:DWORD
	s_waitcnt lgkmcnt(0)
	v_pk_fma_f16 v1, v1, v23, v3
	v_mul_u32_u24_sdwa v3, v4, s19 dst_sel:DWORD dst_unused:UNUSED_PAD src0_sel:WORD_1 src1_sel:DWORD
	v_pk_fma_f16 v25, v2, v3, v1
	ds_read2_b32 v[23:24], v56 offset1:32
	ds_read_b128 v[1:4], v43 offset:64
	s_waitcnt lgkmcnt(0)
	v_mul_u32_u24_sdwa v26, v1, s19 dst_sel:DWORD dst_unused:UNUSED_PAD src0_sel:WORD_0 src1_sel:DWORD
	v_pk_fma_f16 v23, v23, v26, v25
	v_mul_u32_u24_sdwa v1, v1, s19 dst_sel:DWORD dst_unused:UNUSED_PAD src0_sel:WORD_1 src1_sel:DWORD
	v_pk_fma_f16 v1, v24, v1, v23
	ds_read2_b32 v[23:24], v56 offset0:64 offset1:96
	v_mul_u32_u24_sdwa v25, v2, s19 dst_sel:DWORD dst_unused:UNUSED_PAD src0_sel:WORD_0 src1_sel:DWORD
	v_mul_u32_u24_sdwa v2, v2, s19 dst_sel:DWORD dst_unused:UNUSED_PAD src0_sel:WORD_1 src1_sel:DWORD
	s_waitcnt lgkmcnt(0)
	v_pk_fma_f16 v1, v23, v25, v1
	v_pk_fma_f16 v23, v24, v2, v1
	ds_read2_b32 v[1:2], v56 offset0:128 offset1:160
	v_mul_u32_u24_sdwa v24, v3, s19 dst_sel:DWORD dst_unused:UNUSED_PAD src0_sel:WORD_0 src1_sel:DWORD
	v_mul_u32_u24_sdwa v3, v3, s19 dst_sel:DWORD dst_unused:UNUSED_PAD src0_sel:WORD_1 src1_sel:DWORD
	s_waitcnt lgkmcnt(0)
	v_pk_fma_f16 v1, v1, v24, v23
	v_pk_fma_f16 v3, v2, v3, v1
	ds_read2_b32 v[1:2], v56 offset0:192 offset1:224
	v_mul_u32_u24_sdwa v23, v4, s19 dst_sel:DWORD dst_unused:UNUSED_PAD src0_sel:WORD_0 src1_sel:DWORD
	s_waitcnt lgkmcnt(0)
	v_pk_fma_f16 v1, v1, v23, v3
	v_mul_u32_u24_sdwa v3, v4, s19 dst_sel:DWORD dst_unused:UNUSED_PAD src0_sel:WORD_1 src1_sel:DWORD
	v_pk_fma_f16 v25, v2, v3, v1
	ds_read2_b32 v[23:24], v57 offset1:32
	ds_read_b128 v[1:4], v43 offset:80
	s_waitcnt lgkmcnt(0)
	v_mul_u32_u24_sdwa v26, v1, s19 dst_sel:DWORD dst_unused:UNUSED_PAD src0_sel:WORD_0 src1_sel:DWORD
	v_pk_fma_f16 v23, v23, v26, v25
	v_mul_u32_u24_sdwa v1, v1, s19 dst_sel:DWORD dst_unused:UNUSED_PAD src0_sel:WORD_1 src1_sel:DWORD
	v_pk_fma_f16 v1, v24, v1, v23
	ds_read2_b32 v[23:24], v57 offset0:64 offset1:96
	v_mul_u32_u24_sdwa v25, v2, s19 dst_sel:DWORD dst_unused:UNUSED_PAD src0_sel:WORD_0 src1_sel:DWORD
	v_mul_u32_u24_sdwa v2, v2, s19 dst_sel:DWORD dst_unused:UNUSED_PAD src0_sel:WORD_1 src1_sel:DWORD
	s_waitcnt lgkmcnt(0)
	v_pk_fma_f16 v1, v23, v25, v1
	v_pk_fma_f16 v23, v24, v2, v1
	ds_read2_b32 v[1:2], v57 offset0:128 offset1:160
	v_mul_u32_u24_sdwa v24, v3, s19 dst_sel:DWORD dst_unused:UNUSED_PAD src0_sel:WORD_0 src1_sel:DWORD
	v_mul_u32_u24_sdwa v3, v3, s19 dst_sel:DWORD dst_unused:UNUSED_PAD src0_sel:WORD_1 src1_sel:DWORD
	s_waitcnt lgkmcnt(0)
	v_pk_fma_f16 v1, v1, v24, v23
	v_pk_fma_f16 v3, v2, v3, v1
	ds_read2_b32 v[1:2], v57 offset0:192 offset1:224
	;; [unrolled: 25-line block ×4, first 2 shown]
	s_waitcnt lgkmcnt(0)
	s_barrier
	s_load_dword s24, s[0:1], 0x4
	v_mul_u32_u24_sdwa v23, v4, s19 dst_sel:DWORD dst_unused:UNUSED_PAD src0_sel:WORD_0 src1_sel:DWORD
	v_pk_fma_f16 v1, v1, v23, v3
	v_mul_u32_u24_sdwa v3, v4, s19 dst_sel:DWORD dst_unused:UNUSED_PAD src0_sel:WORD_1 src1_sel:DWORD
	v_pk_fma_f16 v60, v2, v3, v1
	s_waitcnt lgkmcnt(0)
	s_lshl_b32 s24, s24, 6
	s_add_i32 s6, s24, s6
	s_cmp_ge_i32 s6, s28
	s_cbranch_scc0 .LBB30_9
.LBB30_10:
	v_cmp_lt_i32_e32 vcc, v36, v31
	v_cndmask_b32_e32 v1, v30, v36, vcc
	v_lshlrev_b32_e32 v1, 2, v1
	ds_bpermute_b32 v1, v1, v44
	v_cmp_lt_i32_e32 vcc, v32, v31
	v_cndmask_b32_e32 v2, v30, v32, vcc
	v_lshlrev_b32_e32 v2, 2, v2
	v_cmp_lt_i32_e32 vcc, v35, v31
	s_waitcnt lgkmcnt(0)
	v_add_f32_e32 v1, v44, v1
	ds_bpermute_b32 v2, v2, v1
	v_cndmask_b32_e32 v4, v30, v35, vcc
	v_lshlrev_b32_e32 v4, 2, v4
	v_cmp_lt_i32_e32 vcc, v33, v31
	s_cmp_lg_u64 s[16:17], 0
	s_waitcnt lgkmcnt(0)
	v_add_f32_e32 v1, v1, v2
	ds_bpermute_b32 v2, v4, v1
	v_cndmask_b32_e32 v4, v30, v33, vcc
	v_lshlrev_b32_e32 v4, 2, v4
	v_cmp_lt_i32_e32 vcc, v34, v31
	v_cndmask_b32_e32 v5, v30, v34, vcc
	s_waitcnt lgkmcnt(0)
	v_add_f32_e32 v2, v1, v2
	ds_bpermute_b32 v4, v4, v2
	v_lshlrev_b32_e32 v5, 2, v5
	s_cselect_b64 s[0:1], -1, 0
	s_cmp_eq_u32 s7, 0
	s_cselect_b64 s[8:9], -1, 0
	s_waitcnt lgkmcnt(0)
	v_add_f32_e32 v2, v2, v4
	ds_bpermute_b32 v4, v5, v2
	s_and_b64 s[0:1], s[8:9], s[0:1]
	v_lshlrev_b32_e32 v3, 1, v0
	v_add_u32_e32 v1, s29, v28
	s_and_b64 vcc, exec, s[0:1]
	s_waitcnt lgkmcnt(0)
	v_add_f32_e32 v23, v2, v4
	s_cbranch_vccz .LBB30_12
; %bb.11:
	v_ashrrev_i32_e32 v2, 31, v1
	v_lshlrev_b64 v[4:5], 2, v[1:2]
	v_mov_b32_e32 v2, s17
	v_add_co_u32_e32 v4, vcc, s16, v4
	v_addc_co_u32_e32 v5, vcc, v2, v5, vcc
	global_load_dword v2, v[4:5], off
	v_max_f32_e32 v4, v22, v22
	s_mov_b32 s0, 0x3fb8aa3b
	s_mov_b32 s1, 0xc2ce8ed0
	s_waitcnt vmcnt(0)
	v_max_f32_e32 v5, v2, v2
	v_max_f32_e32 v4, v4, v5
	v_sub_f32_e32 v5, v22, v4
	v_sub_f32_e32 v2, v2, v4
	v_mul_f32_e32 v6, 0x3fb8aa3b, v5
	v_mul_f32_e32 v7, 0x3fb8aa3b, v2
	v_fma_f32 v8, v5, s0, -v6
	v_rndne_f32_e32 v9, v6
	v_fma_f32 v10, v2, s0, -v7
	v_rndne_f32_e32 v11, v7
	v_fmac_f32_e32 v8, 0x32a5705f, v5
	v_sub_f32_e32 v6, v6, v9
	v_fmac_f32_e32 v10, 0x32a5705f, v2
	v_sub_f32_e32 v7, v7, v11
	v_add_f32_e32 v6, v6, v8
	v_cvt_i32_f32_e32 v9, v9
	v_add_f32_e32 v7, v7, v10
	v_exp_f32_e32 v6, v6
	v_cvt_i32_f32_e32 v11, v11
	v_exp_f32_e32 v7, v7
	v_cmp_ngt_f32_e32 vcc, s1, v5
	v_ldexp_f32 v6, v6, v9
	s_mov_b32 s0, 0x42b17218
	v_ldexp_f32 v7, v7, v11
	v_cndmask_b32_e32 v6, 0, v6, vcc
	v_cmp_ngt_f32_e32 vcc, s1, v2
	v_mov_b32_e32 v8, 0x7f800000
	v_cndmask_b32_e32 v7, 0, v7, vcc
	v_cmp_nlt_f32_e32 vcc, s0, v5
	v_cndmask_b32_e32 v5, v8, v6, vcc
	v_cvt_f16_f32_e32 v6, v5
	v_cmp_nlt_f32_e32 vcc, s0, v2
	v_cndmask_b32_e32 v2, v8, v7, vcc
	v_fmac_f32_e32 v2, v23, v5
	v_mov_b32_e32 v23, v2
	v_mul_u32_u24_e32 v2, 0x10001, v6
	v_pk_mul_f16 v60, v60, v2
	v_mov_b32_e32 v22, v4
.LBB30_12:
	v_div_scale_f32 v2, s[0:1], v23, v23, 1.0
	v_div_scale_f32 v4, vcc, 1.0, v23, 1.0
	s_mul_i32 s33, s33, s2
	s_load_dword s4, s[4:5], 0xd4
	v_add_u32_e32 v6, s33, v27
	s_waitcnt lgkmcnt(0)
	s_cmp_lg_u32 s4, 1
	v_rcp_f32_e32 v5, v2
	v_fma_f32 v7, -v2, v5, 1.0
	v_fmac_f32_e32 v5, v7, v5
	v_mul_f32_e32 v7, v4, v5
	v_fma_f32 v8, -v2, v7, v4
	v_fmac_f32_e32 v7, v8, v5
	v_fma_f32 v2, -v2, v7, v4
	v_div_fmas_f32 v4, v2, v5, v7
	v_mad_u64_u32 v[1:2], s[0:1], v6, s3, v[1:2]
	v_cmp_eq_u32_e32 vcc, 0, v0
	v_mov_b32_e32 v2, 0
	v_mul_lo_u32 v1, s4, v1
	v_cvt_f32_f16_e32 v5, v60
	v_cvt_f32_f16_sdwa v6, v60 dst_sel:DWORD dst_unused:UNUSED_PAD src0_sel:WORD_1
	v_mov_b32_e32 v7, s21
	v_add_u32_e32 v0, s7, v1
	v_lshl_add_u32 v1, v0, 6, v3
	v_lshlrev_b64 v[1:2], 2, v[1:2]
	v_add_co_u32_e64 v1, s[0:1], s20, v1
	v_addc_co_u32_e64 v2, s[0:1], v7, v2, s[0:1]
	v_div_fixup_f32 v3, v4, v23, 1.0
	s_cselect_b64 s[0:1], -1, 0
	v_cndmask_b32_e64 v4, v3, 1.0, s[0:1]
	v_mul_f32_e32 v3, v4, v5
	v_mul_f32_e32 v4, v4, v6
	s_and_b64 s[0:1], vcc, s[0:1]
	global_store_dwordx2 v[1:2], v[3:4], off
	s_and_saveexec_b64 s[2:3], s[0:1]
	s_cbranch_execz .LBB30_14
; %bb.13:
	v_ashrrev_i32_e32 v1, 31, v0
	v_lshlrev_b64 v[0:1], 3, v[0:1]
	v_mov_b32_e32 v2, s23
	v_add_co_u32_e32 v0, vcc, s22, v0
	v_addc_co_u32_e32 v1, vcc, v2, v1, vcc
	global_store_dwordx2 v[0:1], v[22:23], off
.LBB30_14:
	s_endpgm
	.section	.rodata,"a",@progbits
	.p2align	6, 0x0
	.amdhsa_kernel _ZL15flash_attn_tileILi64ELi64ELi1ELi4ELb0EEvPKcS1_S1_S1_S1_PKiPfP15HIP_vector_typeIfLj2EEffffjfiS5_IjLj3EEiiiiiiiiiiiliiliiiiil
		.amdhsa_group_segment_fixed_size 10240
		.amdhsa_private_segment_fixed_size 0
		.amdhsa_kernarg_size 464
		.amdhsa_user_sgpr_count 6
		.amdhsa_user_sgpr_private_segment_buffer 1
		.amdhsa_user_sgpr_dispatch_ptr 0
		.amdhsa_user_sgpr_queue_ptr 0
		.amdhsa_user_sgpr_kernarg_segment_ptr 1
		.amdhsa_user_sgpr_dispatch_id 0
		.amdhsa_user_sgpr_flat_scratch_init 0
		.amdhsa_user_sgpr_private_segment_size 0
		.amdhsa_uses_dynamic_stack 0
		.amdhsa_system_sgpr_private_segment_wavefront_offset 0
		.amdhsa_system_sgpr_workgroup_id_x 1
		.amdhsa_system_sgpr_workgroup_id_y 1
		.amdhsa_system_sgpr_workgroup_id_z 1
		.amdhsa_system_sgpr_workgroup_info 0
		.amdhsa_system_vgpr_workitem_id 1
		.amdhsa_next_free_vgpr 73
		.amdhsa_next_free_sgpr 98
		.amdhsa_reserve_vcc 1
		.amdhsa_reserve_flat_scratch 0
		.amdhsa_float_round_mode_32 0
		.amdhsa_float_round_mode_16_64 0
		.amdhsa_float_denorm_mode_32 3
		.amdhsa_float_denorm_mode_16_64 3
		.amdhsa_dx10_clamp 1
		.amdhsa_ieee_mode 1
		.amdhsa_fp16_overflow 0
		.amdhsa_exception_fp_ieee_invalid_op 0
		.amdhsa_exception_fp_denorm_src 0
		.amdhsa_exception_fp_ieee_div_zero 0
		.amdhsa_exception_fp_ieee_overflow 0
		.amdhsa_exception_fp_ieee_underflow 0
		.amdhsa_exception_fp_ieee_inexact 0
		.amdhsa_exception_int_div_zero 0
	.end_amdhsa_kernel
	.section	.text._ZL15flash_attn_tileILi64ELi64ELi1ELi4ELb0EEvPKcS1_S1_S1_S1_PKiPfP15HIP_vector_typeIfLj2EEffffjfiS5_IjLj3EEiiiiiiiiiiiliiliiiiil,"axG",@progbits,_ZL15flash_attn_tileILi64ELi64ELi1ELi4ELb0EEvPKcS1_S1_S1_S1_PKiPfP15HIP_vector_typeIfLj2EEffffjfiS5_IjLj3EEiiiiiiiiiiiliiliiiiil,comdat
.Lfunc_end30:
	.size	_ZL15flash_attn_tileILi64ELi64ELi1ELi4ELb0EEvPKcS1_S1_S1_S1_PKiPfP15HIP_vector_typeIfLj2EEffffjfiS5_IjLj3EEiiiiiiiiiiiliiliiiiil, .Lfunc_end30-_ZL15flash_attn_tileILi64ELi64ELi1ELi4ELb0EEvPKcS1_S1_S1_S1_PKiPfP15HIP_vector_typeIfLj2EEffffjfiS5_IjLj3EEiiiiiiiiiiiliiliiiiil
                                        ; -- End function
	.set _ZL15flash_attn_tileILi64ELi64ELi1ELi4ELb0EEvPKcS1_S1_S1_S1_PKiPfP15HIP_vector_typeIfLj2EEffffjfiS5_IjLj3EEiiiiiiiiiiiliiliiiiil.num_vgpr, 73
	.set _ZL15flash_attn_tileILi64ELi64ELi1ELi4ELb0EEvPKcS1_S1_S1_S1_PKiPfP15HIP_vector_typeIfLj2EEffffjfiS5_IjLj3EEiiiiiiiiiiiliiliiiiil.num_agpr, 0
	.set _ZL15flash_attn_tileILi64ELi64ELi1ELi4ELb0EEvPKcS1_S1_S1_S1_PKiPfP15HIP_vector_typeIfLj2EEffffjfiS5_IjLj3EEiiiiiiiiiiiliiliiiiil.numbered_sgpr, 39
	.set _ZL15flash_attn_tileILi64ELi64ELi1ELi4ELb0EEvPKcS1_S1_S1_S1_PKiPfP15HIP_vector_typeIfLj2EEffffjfiS5_IjLj3EEiiiiiiiiiiiliiliiiiil.num_named_barrier, 0
	.set _ZL15flash_attn_tileILi64ELi64ELi1ELi4ELb0EEvPKcS1_S1_S1_S1_PKiPfP15HIP_vector_typeIfLj2EEffffjfiS5_IjLj3EEiiiiiiiiiiiliiliiiiil.private_seg_size, 0
	.set _ZL15flash_attn_tileILi64ELi64ELi1ELi4ELb0EEvPKcS1_S1_S1_S1_PKiPfP15HIP_vector_typeIfLj2EEffffjfiS5_IjLj3EEiiiiiiiiiiiliiliiiiil.uses_vcc, 1
	.set _ZL15flash_attn_tileILi64ELi64ELi1ELi4ELb0EEvPKcS1_S1_S1_S1_PKiPfP15HIP_vector_typeIfLj2EEffffjfiS5_IjLj3EEiiiiiiiiiiiliiliiiiil.uses_flat_scratch, 0
	.set _ZL15flash_attn_tileILi64ELi64ELi1ELi4ELb0EEvPKcS1_S1_S1_S1_PKiPfP15HIP_vector_typeIfLj2EEffffjfiS5_IjLj3EEiiiiiiiiiiiliiliiiiil.has_dyn_sized_stack, 0
	.set _ZL15flash_attn_tileILi64ELi64ELi1ELi4ELb0EEvPKcS1_S1_S1_S1_PKiPfP15HIP_vector_typeIfLj2EEffffjfiS5_IjLj3EEiiiiiiiiiiiliiliiiiil.has_recursion, 0
	.set _ZL15flash_attn_tileILi64ELi64ELi1ELi4ELb0EEvPKcS1_S1_S1_S1_PKiPfP15HIP_vector_typeIfLj2EEffffjfiS5_IjLj3EEiiiiiiiiiiiliiliiiiil.has_indirect_call, 0
	.section	.AMDGPU.csdata,"",@progbits
; Kernel info:
; codeLenInByte = 5376
; TotalNumSgprs: 43
; NumVgprs: 73
; ScratchSize: 0
; MemoryBound: 0
; FloatMode: 240
; IeeeMode: 1
; LDSByteSize: 10240 bytes/workgroup (compile time only)
; SGPRBlocks: 12
; VGPRBlocks: 18
; NumSGPRsForWavesPerEU: 102
; NumVGPRsForWavesPerEU: 73
; Occupancy: 3
; WaveLimiterHint : 1
; COMPUTE_PGM_RSRC2:SCRATCH_EN: 0
; COMPUTE_PGM_RSRC2:USER_SGPR: 6
; COMPUTE_PGM_RSRC2:TRAP_HANDLER: 0
; COMPUTE_PGM_RSRC2:TGID_X_EN: 1
; COMPUTE_PGM_RSRC2:TGID_Y_EN: 1
; COMPUTE_PGM_RSRC2:TGID_Z_EN: 1
; COMPUTE_PGM_RSRC2:TIDIG_COMP_CNT: 1
	.section	.text._ZL33flash_attn_stream_k_fixup_uniformILi64ELi1ELi4EEvPfPK15HIP_vector_typeIfLj2EEiiiiiiS1_IjLj3EES5_S5_,"axG",@progbits,_ZL33flash_attn_stream_k_fixup_uniformILi64ELi1ELi4EEvPfPK15HIP_vector_typeIfLj2EEiiiiiiS1_IjLj3EES5_S5_,comdat
	.globl	_ZL33flash_attn_stream_k_fixup_uniformILi64ELi1ELi4EEvPfPK15HIP_vector_typeIfLj2EEiiiiiiS1_IjLj3EES5_S5_ ; -- Begin function _ZL33flash_attn_stream_k_fixup_uniformILi64ELi1ELi4EEvPfPK15HIP_vector_typeIfLj2EEiiiiiiS1_IjLj3EES5_S5_
	.p2align	8
	.type	_ZL33flash_attn_stream_k_fixup_uniformILi64ELi1ELi4EEvPfPK15HIP_vector_typeIfLj2EEiiiiiiS1_IjLj3EES5_S5_,@function
_ZL33flash_attn_stream_k_fixup_uniformILi64ELi1ELi4EEvPfPK15HIP_vector_typeIfLj2EEiiiiiiS1_IjLj3EES5_S5_: ; @_ZL33flash_attn_stream_k_fixup_uniformILi64ELi1ELi4EEvPfPK15HIP_vector_typeIfLj2EEiiiiiiS1_IjLj3EES5_S5_
; %bb.0:
	s_load_dwordx8 s[12:19], s[4:5], 0x1c
	s_load_dwordx2 s[10:11], s[4:5], 0x10
	s_load_dwordx4 s[0:3], s[4:5], 0x3c
	s_waitcnt lgkmcnt(0)
	s_mul_hi_u32 s9, s15, s6
	s_add_i32 s9, s6, s9
	s_lshr_b32 s9, s9, s16
	s_mul_i32 s15, s9, s17
	s_sub_i32 s16, s6, s15
	s_mul_hi_u32 s15, s16, s18
	s_add_i32 s15, s16, s15
	s_lshr_b32 s15, s15, s19
	s_mul_i32 s0, s15, s0
	s_sub_i32 s0, s16, s0
	;; [unrolled: 5-line block ×3, first 2 shown]
	s_lshl_b32 s17, s1, 2
	s_add_i32 s16, s16, s7
	s_cmp_lt_i32 s16, s10
	s_cselect_b64 s[0:1], -1, 0
	s_add_i32 s17, s17, s8
	s_cmp_lt_i32 s17, s13
	s_cselect_b64 s[2:3], -1, 0
	s_and_b64 s[0:1], s[0:1], s[2:3]
	s_andn2_b64 vcc, exec, s[0:1]
	s_cbranch_vccnz .LBB31_6
; %bb.1:
	s_mul_i32 s9, s9, s10
	s_load_dwordx4 s[0:3], s[4:5], 0x0
	s_mul_i32 s15, s15, s13
	s_add_i32 s4, s16, s9
	s_mul_i32 s4, s4, s11
	s_add_i32 s5, s17, s15
	s_add_i32 s5, s5, s4
	v_lshl_or_b32 v1, s5, 6, v0
	v_ashrrev_i32_e32 v2, 31, v1
	v_lshlrev_b64 v[1:2], 2, v[1:2]
	s_waitcnt lgkmcnt(0)
	v_mov_b32_e32 v3, s1
	v_add_co_u32_e32 v1, vcc, s0, v1
	v_addc_co_u32_e32 v2, vcc, v3, v2, vcc
	global_load_dword v8, v[1:2], off
	s_mul_i32 s9, s14, s6
	s_add_i32 s4, s9, s14
	s_add_i32 s0, s7, s4
	s_lshl_b32 s0, s0, 2
	s_add_i32 s0, s0, s8
	s_add_i32 s0, s0, -4
	s_ashr_i32 s1, s0, 31
	s_lshl_b64 s[0:1], s[0:1], 3
	s_add_u32 s0, s2, s0
	s_addc_u32 s1, s3, s1
	s_load_dword s5, s[0:1], 0x4
	s_add_i32 s10, s4, -2
	s_cmp_lt_i32 s10, s9
	s_cbranch_scc1 .LBB31_4
; %bb.2:
	s_lshl_b32 s10, s12, 4
	s_ashr_i32 s11, s10, 31
	s_lshl_b64 s[10:11], s[10:11], 2
	s_add_u32 s10, s2, s10
	s_addc_u32 s13, s3, s11
	s_load_dword s0, s[0:1], 0x0
	s_add_i32 s6, s6, 1
	s_lshl_b32 s1, s8, 6
	s_add_i32 s12, s7, s12
	s_mul_i32 s6, s14, s6
	s_lshl_b32 s7, s7, 8
	s_add_i32 s12, s12, s4
	s_lshl_b32 s6, s6, 8
	s_add_i32 s1, s1, s7
	s_add_i32 s11, s4, -1
	s_lshl_b32 s4, s12, 2
	s_add_i32 s1, s1, s6
	s_add_i32 s4, s8, s4
	v_or_b32_e32 v0, s1, v0
	s_add_i32 s4, s4, -8
	v_add_u32_e32 v3, 0xfffffe00, v0
	s_waitcnt lgkmcnt(0)
	v_mov_b32_e32 v7, s5
	v_mov_b32_e32 v6, s0
	v_mov_b32_e32 v0, s13
	s_mov_b32 s6, 0x3fb8aa3b
	s_mov_b32 s7, 0xc2ce8ed0
	;; [unrolled: 1-line block ×3, first 2 shown]
	v_mov_b32_e32 v5, 0x7f800000
	s_mov_b32 s12, 0xc1a00000
.LBB31_3:                               ; =>This Inner Loop Header: Depth=1
	v_ashrrev_i32_e32 v4, 31, v3
	v_lshlrev_b64 v[9:10], 2, v[3:4]
	s_ashr_i32 s5, s4, 31
	v_add_co_u32_e32 v9, vcc, s10, v9
	v_addc_co_u32_e32 v10, vcc, v0, v10, vcc
	global_load_dword v4, v[9:10], off
	s_lshl_b64 s[0:1], s[4:5], 3
	s_add_u32 s0, s2, s0
	s_addc_u32 s1, s3, s1
	s_load_dwordx2 s[14:15], s[0:1], 0x0
	s_waitcnt vmcnt(1)
	v_mov_b32_e32 v9, v8
	v_max_f32_e32 v8, v6, v6
	v_mov_b32_e32 v10, v7
	s_add_i32 s11, s11, -1
	s_waitcnt lgkmcnt(0)
	v_max_f32_e64 v7, s14, s14
	v_max_f32_e32 v7, v8, v7
	v_sub_f32_e32 v11, s14, v7
	v_sub_f32_e32 v8, v6, v7
	v_mul_f32_e32 v12, 0x3fb8aa3b, v11
	v_mov_b32_e32 v6, v7
	v_mul_f32_e32 v7, 0x3fb8aa3b, v8
	v_fma_f32 v15, v11, s6, -v12
	v_rndne_f32_e32 v16, v12
	v_fma_f32 v13, v8, s6, -v7
	v_rndne_f32_e32 v14, v7
	v_fmac_f32_e32 v15, 0x32a5705f, v11
	v_sub_f32_e32 v12, v12, v16
	v_fmac_f32_e32 v13, 0x32a5705f, v8
	v_sub_f32_e32 v7, v7, v14
	v_add_f32_e32 v12, v12, v15
	v_cvt_i32_f32_e32 v16, v16
	v_add_f32_e32 v7, v7, v13
	v_exp_f32_e32 v12, v12
	v_cvt_i32_f32_e32 v14, v14
	v_exp_f32_e32 v7, v7
	v_cmp_ngt_f32_e32 vcc, s7, v11
	v_ldexp_f32 v12, v12, v16
	v_cmp_ngt_f32_e64 s[0:1], s7, v8
	v_ldexp_f32 v7, v7, v14
	v_cndmask_b32_e32 v12, 0, v12, vcc
	v_cmp_nlt_f32_e32 vcc, s8, v11
	v_cndmask_b32_e64 v7, 0, v7, s[0:1]
	v_cmp_nlt_f32_e64 s[0:1], s8, v8
	v_cndmask_b32_e32 v12, v5, v12, vcc
	v_cmp_le_f32_e32 vcc, s12, v11
	v_cndmask_b32_e64 v7, v5, v7, s[0:1]
	v_cmp_le_f32_e64 s[0:1], s12, v8
	v_cndmask_b32_e32 v8, 0, v12, vcc
	s_add_i32 s4, s4, -4
	v_cndmask_b32_e64 v11, 0, v7, s[0:1]
	v_mul_f32_e32 v7, s15, v8
	v_add_u32_e32 v3, 0xffffff00, v3
	s_cmp_le_i32 s11, s9
	v_fmac_f32_e32 v7, v10, v11
	s_waitcnt vmcnt(0)
	v_mul_f32_e32 v8, v4, v8
	v_fmac_f32_e32 v8, v9, v11
	s_cbranch_scc0 .LBB31_3
	s_branch .LBB31_5
.LBB31_4:
	s_waitcnt lgkmcnt(0)
	v_mov_b32_e32 v7, s5
.LBB31_5:
	s_waitcnt vmcnt(0)
	v_div_scale_f32 v0, s[0:1], v7, v7, v8
	v_div_scale_f32 v3, vcc, v8, v7, v8
	v_rcp_f32_e32 v4, v0
	v_fma_f32 v5, -v0, v4, 1.0
	v_fmac_f32_e32 v4, v5, v4
	v_mul_f32_e32 v5, v3, v4
	v_fma_f32 v6, -v0, v5, v3
	v_fmac_f32_e32 v5, v6, v4
	v_fma_f32 v0, -v0, v5, v3
	v_div_fmas_f32 v0, v0, v4, v5
	v_div_fixup_f32 v0, v0, v7, v8
	global_store_dword v[1:2], v0, off
.LBB31_6:
	s_endpgm
	.section	.rodata,"a",@progbits
	.p2align	6, 0x0
	.amdhsa_kernel _ZL33flash_attn_stream_k_fixup_uniformILi64ELi1ELi4EEvPfPK15HIP_vector_typeIfLj2EEiiiiiiS1_IjLj3EES5_S5_
		.amdhsa_group_segment_fixed_size 0
		.amdhsa_private_segment_fixed_size 0
		.amdhsa_kernarg_size 76
		.amdhsa_user_sgpr_count 6
		.amdhsa_user_sgpr_private_segment_buffer 1
		.amdhsa_user_sgpr_dispatch_ptr 0
		.amdhsa_user_sgpr_queue_ptr 0
		.amdhsa_user_sgpr_kernarg_segment_ptr 1
		.amdhsa_user_sgpr_dispatch_id 0
		.amdhsa_user_sgpr_flat_scratch_init 0
		.amdhsa_user_sgpr_private_segment_size 0
		.amdhsa_uses_dynamic_stack 0
		.amdhsa_system_sgpr_private_segment_wavefront_offset 0
		.amdhsa_system_sgpr_workgroup_id_x 1
		.amdhsa_system_sgpr_workgroup_id_y 1
		.amdhsa_system_sgpr_workgroup_id_z 1
		.amdhsa_system_sgpr_workgroup_info 0
		.amdhsa_system_vgpr_workitem_id 0
		.amdhsa_next_free_vgpr 17
		.amdhsa_next_free_sgpr 20
		.amdhsa_reserve_vcc 1
		.amdhsa_reserve_flat_scratch 0
		.amdhsa_float_round_mode_32 0
		.amdhsa_float_round_mode_16_64 0
		.amdhsa_float_denorm_mode_32 3
		.amdhsa_float_denorm_mode_16_64 3
		.amdhsa_dx10_clamp 1
		.amdhsa_ieee_mode 1
		.amdhsa_fp16_overflow 0
		.amdhsa_exception_fp_ieee_invalid_op 0
		.amdhsa_exception_fp_denorm_src 0
		.amdhsa_exception_fp_ieee_div_zero 0
		.amdhsa_exception_fp_ieee_overflow 0
		.amdhsa_exception_fp_ieee_underflow 0
		.amdhsa_exception_fp_ieee_inexact 0
		.amdhsa_exception_int_div_zero 0
	.end_amdhsa_kernel
	.section	.text._ZL33flash_attn_stream_k_fixup_uniformILi64ELi1ELi4EEvPfPK15HIP_vector_typeIfLj2EEiiiiiiS1_IjLj3EES5_S5_,"axG",@progbits,_ZL33flash_attn_stream_k_fixup_uniformILi64ELi1ELi4EEvPfPK15HIP_vector_typeIfLj2EEiiiiiiS1_IjLj3EES5_S5_,comdat
.Lfunc_end31:
	.size	_ZL33flash_attn_stream_k_fixup_uniformILi64ELi1ELi4EEvPfPK15HIP_vector_typeIfLj2EEiiiiiiS1_IjLj3EES5_S5_, .Lfunc_end31-_ZL33flash_attn_stream_k_fixup_uniformILi64ELi1ELi4EEvPfPK15HIP_vector_typeIfLj2EEiiiiiiS1_IjLj3EES5_S5_
                                        ; -- End function
	.set _ZL33flash_attn_stream_k_fixup_uniformILi64ELi1ELi4EEvPfPK15HIP_vector_typeIfLj2EEiiiiiiS1_IjLj3EES5_S5_.num_vgpr, 17
	.set _ZL33flash_attn_stream_k_fixup_uniformILi64ELi1ELi4EEvPfPK15HIP_vector_typeIfLj2EEiiiiiiS1_IjLj3EES5_S5_.num_agpr, 0
	.set _ZL33flash_attn_stream_k_fixup_uniformILi64ELi1ELi4EEvPfPK15HIP_vector_typeIfLj2EEiiiiiiS1_IjLj3EES5_S5_.numbered_sgpr, 20
	.set _ZL33flash_attn_stream_k_fixup_uniformILi64ELi1ELi4EEvPfPK15HIP_vector_typeIfLj2EEiiiiiiS1_IjLj3EES5_S5_.num_named_barrier, 0
	.set _ZL33flash_attn_stream_k_fixup_uniformILi64ELi1ELi4EEvPfPK15HIP_vector_typeIfLj2EEiiiiiiS1_IjLj3EES5_S5_.private_seg_size, 0
	.set _ZL33flash_attn_stream_k_fixup_uniformILi64ELi1ELi4EEvPfPK15HIP_vector_typeIfLj2EEiiiiiiS1_IjLj3EES5_S5_.uses_vcc, 1
	.set _ZL33flash_attn_stream_k_fixup_uniformILi64ELi1ELi4EEvPfPK15HIP_vector_typeIfLj2EEiiiiiiS1_IjLj3EES5_S5_.uses_flat_scratch, 0
	.set _ZL33flash_attn_stream_k_fixup_uniformILi64ELi1ELi4EEvPfPK15HIP_vector_typeIfLj2EEiiiiiiS1_IjLj3EES5_S5_.has_dyn_sized_stack, 0
	.set _ZL33flash_attn_stream_k_fixup_uniformILi64ELi1ELi4EEvPfPK15HIP_vector_typeIfLj2EEiiiiiiS1_IjLj3EES5_S5_.has_recursion, 0
	.set _ZL33flash_attn_stream_k_fixup_uniformILi64ELi1ELi4EEvPfPK15HIP_vector_typeIfLj2EEiiiiiiS1_IjLj3EES5_S5_.has_indirect_call, 0
	.section	.AMDGPU.csdata,"",@progbits
; Kernel info:
; codeLenInByte = 828
; TotalNumSgprs: 24
; NumVgprs: 17
; ScratchSize: 0
; MemoryBound: 0
; FloatMode: 240
; IeeeMode: 1
; LDSByteSize: 0 bytes/workgroup (compile time only)
; SGPRBlocks: 2
; VGPRBlocks: 4
; NumSGPRsForWavesPerEU: 24
; NumVGPRsForWavesPerEU: 17
; Occupancy: 10
; WaveLimiterHint : 0
; COMPUTE_PGM_RSRC2:SCRATCH_EN: 0
; COMPUTE_PGM_RSRC2:USER_SGPR: 6
; COMPUTE_PGM_RSRC2:TRAP_HANDLER: 0
; COMPUTE_PGM_RSRC2:TGID_X_EN: 1
; COMPUTE_PGM_RSRC2:TGID_Y_EN: 1
; COMPUTE_PGM_RSRC2:TGID_Z_EN: 1
; COMPUTE_PGM_RSRC2:TIDIG_COMP_CNT: 0
	.section	.text._ZL33flash_attn_stream_k_fixup_generalILi64ELi1ELi4EEvPfPK15HIP_vector_typeIfLj2EEiiiiS1_IjLj3EES5_S5_S5_,"axG",@progbits,_ZL33flash_attn_stream_k_fixup_generalILi64ELi1ELi4EEvPfPK15HIP_vector_typeIfLj2EEiiiiS1_IjLj3EES5_S5_S5_,comdat
	.globl	_ZL33flash_attn_stream_k_fixup_generalILi64ELi1ELi4EEvPfPK15HIP_vector_typeIfLj2EEiiiiS1_IjLj3EES5_S5_S5_ ; -- Begin function _ZL33flash_attn_stream_k_fixup_generalILi64ELi1ELi4EEvPfPK15HIP_vector_typeIfLj2EEiiiiS1_IjLj3EES5_S5_S5_
	.p2align	8
	.type	_ZL33flash_attn_stream_k_fixup_generalILi64ELi1ELi4EEvPfPK15HIP_vector_typeIfLj2EEiiiiS1_IjLj3EES5_S5_S5_,@function
_ZL33flash_attn_stream_k_fixup_generalILi64ELi1ELi4EEvPfPK15HIP_vector_typeIfLj2EEiiiiS1_IjLj3EES5_S5_S5_: ; @_ZL33flash_attn_stream_k_fixup_generalILi64ELi1ELi4EEvPfPK15HIP_vector_typeIfLj2EEiiiiS1_IjLj3EES5_S5_S5_
; %bb.0:
	s_load_dwordx4 s[0:3], s[4:5], 0x10
	s_load_dword s9, s[4:5], 0x50
	s_mov_b32 s12, 0
	s_waitcnt lgkmcnt(0)
	s_mul_hi_i32 s13, s3, s6
	s_cmp_lg_u64 s[12:13], 0
	s_mul_i32 s18, s3, s6
	s_cbranch_scc0 .LBB32_20
; %bb.1:
	s_add_u32 s10, s9, 0
	s_addc_u32 s11, 0, 0
	s_xor_b64 s[10:11], s[10:11], 0
	v_cvt_f32_u32_e32 v1, s10
	v_cvt_f32_u32_e32 v2, s11
	s_sub_u32 s12, 0, s10
	s_subb_u32 s19, 0, s11
	v_madmk_f32 v1, v2, 0x4f800000, v1
	v_rcp_f32_e32 v1, v1
	v_mul_f32_e32 v1, 0x5f7ffffc, v1
	v_mul_f32_e32 v2, 0x2f800000, v1
	v_trunc_f32_e32 v2, v2
	v_madmk_f32 v1, v2, 0xcf800000, v1
	v_cvt_u32_f32_e32 v2, v2
	v_cvt_u32_f32_e32 v1, v1
	v_readfirstlane_b32 s20, v2
	v_readfirstlane_b32 s14, v1
	s_mul_i32 s15, s12, s20
	s_mul_hi_u32 s22, s12, s14
	s_mul_i32 s21, s19, s14
	s_add_i32 s15, s22, s15
	s_add_i32 s15, s15, s21
	s_mul_i32 s23, s12, s14
	s_mul_i32 s22, s14, s15
	s_mul_hi_u32 s24, s14, s23
	s_mul_hi_u32 s21, s14, s15
	s_add_u32 s22, s24, s22
	s_addc_u32 s21, 0, s21
	s_mul_hi_u32 s25, s20, s23
	s_mul_i32 s23, s20, s23
	s_add_u32 s22, s22, s23
	s_mul_hi_u32 s24, s20, s15
	s_addc_u32 s21, s21, s25
	s_addc_u32 s22, s24, 0
	s_mul_i32 s15, s20, s15
	s_add_u32 s15, s21, s15
	s_addc_u32 s21, 0, s22
	s_add_u32 s22, s14, s15
	s_cselect_b64 s[14:15], -1, 0
	s_cmp_lg_u64 s[14:15], 0
	s_addc_u32 s20, s20, s21
	s_mul_i32 s14, s12, s20
	s_mul_hi_u32 s15, s12, s22
	s_add_i32 s14, s15, s14
	s_mul_i32 s19, s19, s22
	s_add_i32 s14, s14, s19
	s_mul_i32 s12, s12, s22
	s_mul_hi_u32 s19, s20, s12
	s_mul_i32 s21, s20, s12
	s_mul_i32 s24, s22, s14
	s_mul_hi_u32 s12, s22, s12
	s_mul_hi_u32 s23, s22, s14
	s_add_u32 s12, s12, s24
	s_addc_u32 s23, 0, s23
	s_add_u32 s12, s12, s21
	s_mul_hi_u32 s15, s20, s14
	s_addc_u32 s12, s23, s19
	s_addc_u32 s15, s15, 0
	s_mul_i32 s14, s20, s14
	s_add_u32 s12, s12, s14
	s_addc_u32 s19, 0, s15
	s_add_u32 s21, s22, s12
	s_cselect_b64 s[14:15], -1, 0
	s_cmp_lg_u64 s[14:15], 0
	s_addc_u32 s19, s20, s19
	s_ashr_i32 s14, s13, 31
	s_add_u32 s12, s18, s14
	s_mov_b32 s15, s14
	s_addc_u32 s13, s13, s14
	s_xor_b64 s[12:13], s[12:13], s[14:15]
	s_mul_i32 s22, s12, s19
	s_mul_hi_u32 s23, s12, s21
	s_mul_hi_u32 s20, s12, s19
	s_add_u32 s22, s23, s22
	s_addc_u32 s20, 0, s20
	s_mul_hi_u32 s24, s13, s21
	s_mul_i32 s21, s13, s21
	s_add_u32 s21, s22, s21
	s_mul_hi_u32 s23, s13, s19
	s_addc_u32 s20, s20, s24
	s_addc_u32 s21, s23, 0
	s_mul_i32 s19, s13, s19
	s_add_u32 s19, s20, s19
	s_addc_u32 s24, 0, s21
	s_mul_i32 s20, s10, s24
	s_mul_hi_u32 s21, s10, s19
	s_add_i32 s20, s21, s20
	s_mul_i32 s21, s11, s19
	s_add_i32 s25, s20, s21
	s_sub_i32 s22, s13, s25
	s_mul_i32 s20, s10, s19
	s_sub_u32 s12, s12, s20
	s_cselect_b64 s[20:21], -1, 0
	s_cmp_lg_u64 s[20:21], 0
	s_subb_u32 s26, s22, s11
	s_sub_u32 s27, s12, s10
	s_cselect_b64 s[22:23], -1, 0
	s_cmp_lg_u64 s[22:23], 0
	s_subb_u32 s22, s26, 0
	s_cmp_ge_u32 s22, s11
	s_cselect_b32 s23, -1, 0
	s_cmp_ge_u32 s27, s10
	s_cselect_b32 s26, -1, 0
	s_cmp_eq_u32 s22, s11
	s_cselect_b32 s22, s26, s23
	s_add_u32 s23, s19, 1
	s_addc_u32 s26, s24, 0
	s_add_u32 s27, s19, 2
	s_addc_u32 s28, s24, 0
	s_cmp_lg_u32 s22, 0
	s_cselect_b32 s22, s27, s23
	s_cselect_b32 s23, s28, s26
	s_cmp_lg_u64 s[20:21], 0
	s_subb_u32 s13, s13, s25
	s_cmp_ge_u32 s13, s11
	s_cselect_b32 s20, -1, 0
	s_cmp_ge_u32 s12, s10
	s_cselect_b32 s10, -1, 0
	s_cmp_eq_u32 s13, s11
	s_cselect_b32 s10, s10, s20
	s_cmp_lg_u32 s10, 0
	s_cselect_b32 s11, s23, s24
	s_cselect_b32 s10, s22, s19
	s_xor_b64 s[12:13], s[14:15], 0
	s_xor_b64 s[10:11], s[10:11], s[12:13]
	s_sub_u32 s10, s10, s12
	s_load_dwordx4 s[12:15], s[4:5], 0x44
	s_cbranch_execnz .LBB32_3
.LBB32_2:
	v_cvt_f32_u32_e32 v1, s9
	s_sub_i32 s10, 0, s9
	v_rcp_iflag_f32_e32 v1, v1
	v_mul_f32_e32 v1, 0x4f7ffffe, v1
	v_cvt_u32_f32_e32 v1, v1
	v_readfirstlane_b32 s11, v1
	s_mul_i32 s10, s10, s11
	s_mul_hi_u32 s10, s11, s10
	s_add_i32 s11, s11, s10
	s_mul_hi_u32 s10, s18, s11
	s_waitcnt lgkmcnt(0)
	s_mul_i32 s15, s10, s9
	s_sub_i32 s15, s18, s15
	s_add_i32 s11, s10, 1
	s_sub_i32 s16, s15, s9
	s_cmp_ge_u32 s15, s9
	s_cselect_b32 s10, s11, s10
	s_cselect_b32 s15, s16, s15
	s_add_i32 s11, s10, 1
	s_cmp_ge_u32 s15, s9
	s_cselect_b32 s10, s11, s10
.LBB32_3:
	s_add_i32 s11, s6, 1
	s_mul_hi_i32 s21, s3, s11
	s_mov_b32 s20, 0
	s_cmp_lg_u64 s[20:21], 0
	s_mul_i32 s11, s3, s11
	s_cbranch_scc0 .LBB32_21
; %bb.4:
	s_add_u32 s16, s9, 0
	s_addc_u32 s17, 0, 0
	s_xor_b64 s[18:19], s[16:17], 0
	v_cvt_f32_u32_e32 v1, s18
	v_cvt_f32_u32_e32 v2, s19
	s_waitcnt lgkmcnt(0)
	s_sub_u32 s15, 0, s18
	s_subb_u32 s20, 0, s19
	v_madmk_f32 v1, v2, 0x4f800000, v1
	v_rcp_f32_e32 v1, v1
	v_mul_f32_e32 v1, 0x5f7ffffc, v1
	v_mul_f32_e32 v2, 0x2f800000, v1
	v_trunc_f32_e32 v2, v2
	v_madmk_f32 v1, v2, 0xcf800000, v1
	v_cvt_u32_f32_e32 v2, v2
	v_cvt_u32_f32_e32 v1, v1
	v_readfirstlane_b32 s24, v2
	v_readfirstlane_b32 s22, v1
	s_mul_i32 s23, s15, s24
	s_mul_hi_u32 s26, s15, s22
	s_mul_i32 s25, s20, s22
	s_add_i32 s23, s26, s23
	s_add_i32 s23, s23, s25
	s_mul_i32 s27, s15, s22
	s_mul_i32 s26, s22, s23
	s_mul_hi_u32 s28, s22, s27
	s_mul_hi_u32 s25, s22, s23
	s_add_u32 s26, s28, s26
	s_addc_u32 s25, 0, s25
	s_mul_hi_u32 s29, s24, s27
	s_mul_i32 s27, s24, s27
	s_add_u32 s26, s26, s27
	s_mul_hi_u32 s28, s24, s23
	s_addc_u32 s25, s25, s29
	s_addc_u32 s26, s28, 0
	s_mul_i32 s23, s24, s23
	s_add_u32 s23, s25, s23
	s_addc_u32 s25, 0, s26
	s_add_u32 s26, s22, s23
	s_cselect_b64 s[22:23], -1, 0
	s_cmp_lg_u64 s[22:23], 0
	s_addc_u32 s24, s24, s25
	s_mul_i32 s22, s15, s24
	s_mul_hi_u32 s23, s15, s26
	s_add_i32 s22, s23, s22
	s_mul_i32 s20, s20, s26
	s_add_i32 s22, s22, s20
	s_mul_i32 s15, s15, s26
	s_mul_hi_u32 s23, s24, s15
	s_mul_i32 s25, s24, s15
	s_mul_i32 s28, s26, s22
	s_mul_hi_u32 s15, s26, s15
	s_mul_hi_u32 s27, s26, s22
	s_add_u32 s15, s15, s28
	s_addc_u32 s27, 0, s27
	s_add_u32 s15, s15, s25
	s_mul_hi_u32 s20, s24, s22
	s_addc_u32 s15, s27, s23
	s_addc_u32 s20, s20, 0
	s_mul_i32 s22, s24, s22
	s_add_u32 s15, s15, s22
	s_addc_u32 s20, 0, s20
	s_add_u32 s15, s26, s15
	s_cselect_b64 s[22:23], -1, 0
	s_cmp_lg_u64 s[22:23], 0
	s_addc_u32 s24, s24, s20
	s_ashr_i32 s22, s21, 31
	s_add_u32 s20, s11, s22
	s_mov_b32 s23, s22
	s_addc_u32 s21, s21, s22
	s_xor_b64 s[20:21], s[20:21], s[22:23]
	s_mul_i32 s26, s20, s24
	s_mul_hi_u32 s27, s20, s15
	s_mul_hi_u32 s25, s20, s24
	s_add_u32 s26, s27, s26
	s_addc_u32 s25, 0, s25
	s_mul_hi_u32 s28, s21, s15
	s_mul_i32 s15, s21, s15
	s_add_u32 s15, s26, s15
	s_mul_hi_u32 s27, s21, s24
	s_addc_u32 s15, s25, s28
	s_addc_u32 s25, s27, 0
	s_mul_i32 s24, s21, s24
	s_add_u32 s15, s15, s24
	s_addc_u32 s28, 0, s25
	s_mul_i32 s24, s18, s28
	s_mul_hi_u32 s25, s18, s15
	s_add_i32 s24, s25, s24
	s_mul_i32 s25, s19, s15
	s_add_i32 s29, s24, s25
	s_sub_i32 s26, s21, s29
	s_mul_i32 s24, s18, s15
	s_sub_u32 s20, s20, s24
	s_cselect_b64 s[24:25], -1, 0
	s_cmp_lg_u64 s[24:25], 0
	s_subb_u32 s30, s26, s19
	s_sub_u32 s31, s20, s18
	s_cselect_b64 s[26:27], -1, 0
	s_cmp_lg_u64 s[26:27], 0
	s_subb_u32 s26, s30, 0
	s_cmp_ge_u32 s26, s19
	s_cselect_b32 s27, -1, 0
	s_cmp_ge_u32 s31, s18
	s_cselect_b32 s30, -1, 0
	s_cmp_eq_u32 s26, s19
	s_cselect_b32 s26, s30, s27
	s_add_u32 s27, s15, 1
	s_addc_u32 s30, s28, 0
	s_add_u32 s31, s15, 2
	s_addc_u32 s33, s28, 0
	s_cmp_lg_u32 s26, 0
	s_cselect_b32 s26, s31, s27
	s_cselect_b32 s27, s33, s30
	s_cmp_lg_u64 s[24:25], 0
	s_subb_u32 s21, s21, s29
	s_cmp_ge_u32 s21, s19
	s_cselect_b32 s24, -1, 0
	s_cmp_ge_u32 s20, s18
	s_cselect_b32 s18, -1, 0
	s_cmp_eq_u32 s21, s19
	s_cselect_b32 s18, s18, s24
	s_cmp_lg_u32 s18, 0
	s_cselect_b32 s19, s27, s28
	s_cselect_b32 s18, s26, s15
	s_xor_b64 s[20:21], s[22:23], 0
	s_xor_b64 s[18:19], s[18:19], s[20:21]
	s_sub_u32 s18, s18, s20
	s_cbranch_execnz .LBB32_6
.LBB32_5:
	v_cvt_f32_u32_e32 v1, s9
	s_waitcnt lgkmcnt(0)
	s_sub_i32 s15, 0, s9
	v_rcp_iflag_f32_e32 v1, v1
	v_mul_f32_e32 v1, 0x4f7ffffe, v1
	v_cvt_u32_f32_e32 v1, v1
	v_readfirstlane_b32 s16, v1
	s_mul_i32 s15, s15, s16
	s_mul_hi_u32 s15, s16, s15
	s_add_i32 s16, s16, s15
	s_mul_hi_u32 s15, s11, s16
	s_mul_i32 s17, s15, s9
	s_sub_i32 s11, s11, s17
	s_add_i32 s16, s15, 1
	s_sub_i32 s17, s11, s9
	s_cmp_ge_u32 s11, s9
	s_cselect_b32 s15, s16, s15
	s_cselect_b32 s11, s17, s11
	s_add_i32 s16, s15, 1
	s_cmp_ge_u32 s11, s9
	s_cselect_b32 s18, s16, s15
.LBB32_6:
	s_cmp_eq_u32 s10, s18
	s_waitcnt lgkmcnt(0)
	s_mul_hi_u32 s11, s10, s12
	s_cselect_b64 s[16:17], -1, 0
	s_add_i32 s11, s11, s10
	s_lshr_b32 s11, s11, s13
	s_mul_i32 s15, s11, s14
	s_cmp_eq_u32 s15, s10
	s_mul_hi_u32 s15, s18, s12
	s_cselect_b64 s[20:21], -1, 0
	s_add_i32 s15, s15, s18
	s_lshr_b32 s15, s15, s13
	s_cmp_eq_u32 s11, s15
	s_mul_i32 s15, s15, s14
	s_cselect_b64 s[22:23], -1, 0
	s_cmp_lg_u32 s15, s18
	s_cselect_b64 s[18:19], -1, 0
	s_and_b64 s[18:19], s[22:23], s[18:19]
	s_or_b64 s[16:17], s[16:17], s[20:21]
	s_or_b64 s[16:17], s[16:17], s[18:19]
	s_and_b64 vcc, exec, s[16:17]
	s_cbranch_vccnz .LBB32_23
; %bb.7:
	s_load_dwordx8 s[20:27], s[4:5], 0x20
	s_load_dword s15, s[4:5], 0x40
	s_waitcnt lgkmcnt(0)
	s_mul_hi_u32 s16, s10, s20
	s_add_i32 s16, s16, s10
	s_lshr_b32 s20, s16, s21
	s_mul_i32 s16, s20, s22
	s_sub_i32 s16, s10, s16
	s_mul_hi_u32 s17, s16, s23
	s_add_i32 s17, s16, s17
	s_lshr_b32 s21, s17, s24
	s_mul_i32 s17, s21, s25
	s_sub_i32 s16, s16, s17
	;; [unrolled: 5-line block ×3, first 2 shown]
	s_mul_hi_u32 s16, s15, s12
	s_add_i32 s15, s15, s16
	s_lshr_b32 s23, s15, s13
	s_lshl_b32 s24, s17, 2
	s_add_i32 s23, s23, s7
	s_cmp_lt_i32 s23, s0
	s_cselect_b64 s[16:17], -1, 0
	s_add_i32 s24, s24, s8
	s_cmp_lt_i32 s24, s2
	s_cselect_b64 s[18:19], -1, 0
	s_and_b64 s[16:17], s[16:17], s[18:19]
	s_andn2_b64 vcc, exec, s[16:17]
	s_cbranch_vccnz .LBB32_23
; %bb.8:
	s_load_dwordx4 s[16:19], s[4:5], 0x0
	s_mov_b32 s4, 0
	s_lshl_b32 s26, s9, 4
	s_mov_b32 s27, s4
	s_lshl_b64 s[26:27], s[26:27], 2
	s_waitcnt lgkmcnt(0)
	s_add_u32 s15, s18, s26
	s_mul_i32 s20, s20, s0
	s_addc_u32 s22, s19, s27
	s_mul_i32 s21, s21, s2
	s_add_i32 s0, s23, s20
	s_mul_i32 s0, s0, s1
	s_add_i32 s1, s24, s21
	s_add_i32 s1, s1, s0
	v_lshl_or_b32 v1, s1, 6, v0
	v_ashrrev_i32_e32 v2, 31, v1
	v_lshlrev_b64 v[1:2], 2, v[1:2]
	v_mov_b32_e32 v3, s17
	v_add_co_u32_e32 v1, vcc, s16, v1
	v_addc_co_u32_e32 v2, vcc, v3, v2, vcc
	global_load_dword v3, v[1:2], off
	s_add_i32 s0, s7, s6
	v_cvt_f32_u32_e32 v4, s9
	s_lshl_b32 s0, s0, 2
	s_add_i32 s0, s0, s8
	s_ashr_i32 s1, s0, 31
	s_lshl_b64 s[0:1], s[0:1], 3
	v_rcp_iflag_f32_e32 v4, v4
	s_add_u32 s0, s18, s0
	s_addc_u32 s1, s19, s1
	s_load_dwordx2 s[0:1], s[0:1], 0x0
	v_mul_f32_e32 v4, 0x4f7ffffe, v4
	v_cvt_u32_f32_e32 v4, v4
	s_add_i32 s25, s6, -1
	v_lshl_or_b32 v0, s8, 6, v0
	s_waitcnt lgkmcnt(0)
	v_mov_b32_e32 v6, s1
	v_mov_b32_e32 v7, s0
	s_mov_b32 s2, 0x3fb8aa3b
	s_mov_b32 s6, 0xc2ce8ed0
	;; [unrolled: 1-line block ×4, first 2 shown]
	v_mov_b32_e32 v5, 0x7f800000
	s_mul_hi_i32 s5, s25, s3
	s_cmp_lg_u64 s[4:5], 0
	s_mul_i32 s20, s25, s3
	s_cbranch_scc0 .LBB32_19
.LBB32_9:
	s_add_u32 s0, s9, 0
	s_addc_u32 s1, 0, 0
	s_xor_b64 s[0:1], s[0:1], 0
	v_cvt_f32_u32_e32 v8, s0
	v_cvt_f32_u32_e32 v9, s1
	s_sub_u32 s21, 0, s0
	s_subb_u32 s26, 0, s1
	v_mac_f32_e32 v8, 0x4f800000, v9
	v_rcp_f32_e32 v8, v8
	v_mul_f32_e32 v8, 0x5f7ffffc, v8
	v_mul_f32_e32 v9, 0x2f800000, v8
	v_trunc_f32_e32 v9, v9
	v_mac_f32_e32 v8, 0xcf800000, v9
	v_cvt_u32_f32_e32 v9, v9
	v_cvt_u32_f32_e32 v8, v8
	v_readfirstlane_b32 s27, v9
	v_readfirstlane_b32 s16, v8
	s_mul_i32 s17, s21, s27
	s_mul_hi_u32 s29, s21, s16
	s_mul_i32 s28, s26, s16
	s_add_i32 s17, s29, s17
	s_mul_i32 s30, s21, s16
	s_add_i32 s17, s17, s28
	s_mul_i32 s29, s16, s17
	s_mul_hi_u32 s31, s16, s30
	s_mul_hi_u32 s28, s16, s17
	s_add_u32 s29, s31, s29
	s_addc_u32 s28, 0, s28
	s_mul_hi_u32 s33, s27, s30
	s_mul_i32 s30, s27, s30
	s_add_u32 s29, s29, s30
	s_mul_hi_u32 s31, s27, s17
	s_addc_u32 s28, s28, s33
	s_addc_u32 s29, s31, 0
	s_mul_i32 s17, s27, s17
	s_add_u32 s17, s28, s17
	s_addc_u32 s28, 0, s29
	s_add_u32 s29, s16, s17
	s_cselect_b64 s[16:17], -1, 0
	s_cmp_lg_u64 s[16:17], 0
	s_addc_u32 s27, s27, s28
	s_mul_i32 s16, s21, s27
	s_mul_hi_u32 s17, s21, s29
	s_add_i32 s16, s17, s16
	s_mul_i32 s26, s26, s29
	s_add_i32 s16, s16, s26
	s_mul_i32 s21, s21, s29
	s_mul_hi_u32 s26, s27, s21
	s_mul_i32 s28, s27, s21
	s_mul_i32 s31, s29, s16
	s_mul_hi_u32 s21, s29, s21
	s_mul_hi_u32 s30, s29, s16
	s_add_u32 s21, s21, s31
	s_addc_u32 s30, 0, s30
	s_add_u32 s21, s21, s28
	s_mul_hi_u32 s17, s27, s16
	s_addc_u32 s21, s30, s26
	s_addc_u32 s17, s17, 0
	s_mul_i32 s16, s27, s16
	s_add_u32 s16, s21, s16
	s_addc_u32 s21, 0, s17
	s_add_u32 s28, s29, s16
	s_cselect_b64 s[16:17], -1, 0
	s_cmp_lg_u64 s[16:17], 0
	s_addc_u32 s21, s27, s21
	s_ashr_i32 s16, s5, 31
	s_add_u32 s26, s20, s16
	s_mov_b32 s17, s16
	s_addc_u32 s27, s5, s16
	s_xor_b64 s[26:27], s[26:27], s[16:17]
	s_mul_i32 s29, s26, s21
	s_mul_hi_u32 s30, s26, s28
	s_mul_hi_u32 s5, s26, s21
	s_add_u32 s29, s30, s29
	s_addc_u32 s5, 0, s5
	s_mul_hi_u32 s31, s27, s28
	s_mul_i32 s28, s27, s28
	s_add_u32 s28, s29, s28
	s_mul_hi_u32 s30, s27, s21
	s_addc_u32 s5, s5, s31
	s_addc_u32 s28, s30, 0
	s_mul_i32 s21, s27, s21
	s_add_u32 s5, s5, s21
	s_addc_u32 s21, 0, s28
	s_mul_i32 s28, s0, s21
	s_mul_hi_u32 s29, s0, s5
	s_add_i32 s28, s29, s28
	s_mul_i32 s29, s1, s5
	s_add_i32 s33, s28, s29
	s_sub_i32 s30, s27, s33
	s_mul_i32 s28, s0, s5
	s_sub_u32 s26, s26, s28
	s_cselect_b64 s[28:29], -1, 0
	s_cmp_lg_u64 s[28:29], 0
	s_subb_u32 s34, s30, s1
	s_sub_u32 s35, s26, s0
	s_cselect_b64 s[30:31], -1, 0
	s_cmp_lg_u64 s[30:31], 0
	s_subb_u32 s30, s34, 0
	s_cmp_ge_u32 s30, s1
	s_cselect_b32 s31, -1, 0
	s_cmp_ge_u32 s35, s0
	s_cselect_b32 s34, -1, 0
	s_cmp_eq_u32 s30, s1
	s_cselect_b32 s30, s34, s31
	s_add_u32 s31, s5, 1
	s_addc_u32 s34, s21, 0
	s_add_u32 s35, s5, 2
	s_addc_u32 s36, s21, 0
	s_cmp_lg_u32 s30, 0
	s_cselect_b32 s30, s35, s31
	s_cselect_b32 s31, s36, s34
	s_cmp_lg_u64 s[28:29], 0
	s_subb_u32 s27, s27, s33
	s_cmp_ge_u32 s27, s1
	s_cselect_b32 s28, -1, 0
	s_cmp_ge_u32 s26, s0
	s_cselect_b32 s0, -1, 0
	s_cmp_eq_u32 s27, s1
	s_cselect_b32 s0, s0, s28
	s_cmp_lg_u32 s0, 0
	s_cselect_b32 s1, s31, s21
	s_cselect_b32 s0, s30, s5
	s_xor_b64 s[16:17], s[16:17], 0
	s_xor_b64 s[0:1], s[0:1], s[16:17]
	s_sub_u32 s16, s0, s16
	s_cbranch_execnz .LBB32_11
.LBB32_10:
	s_sub_i32 s0, 0, s9
	v_readfirstlane_b32 s1, v4
	s_mul_i32 s0, s0, s1
	s_mul_hi_u32 s0, s1, s0
	s_add_i32 s1, s1, s0
	s_mul_hi_u32 s0, s20, s1
	s_mul_i32 s5, s0, s9
	s_sub_i32 s5, s20, s5
	s_add_i32 s1, s0, 1
	s_sub_i32 s16, s5, s9
	s_cmp_ge_u32 s5, s9
	s_cselect_b32 s0, s1, s0
	s_cselect_b32 s5, s16, s5
	s_add_i32 s1, s0, 1
	s_cmp_ge_u32 s5, s9
	s_cselect_b32 s16, s1, s0
.LBB32_11:
	s_cmp_lg_u32 s10, s16
	s_mov_b64 s[20:21], -1
                                        ; implicit-def: $sgpr0_sgpr1
                                        ; implicit-def: $vgpr10
                                        ; implicit-def: $vgpr8
                                        ; implicit-def: $vgpr9
                                        ; implicit-def: $sgpr5
                                        ; implicit-def: $sgpr17
	s_cbranch_scc1 .LBB32_14
; %bb.12:
	s_andn2_b64 vcc, exec, s[20:21]
	s_cbranch_vccz .LBB32_17
.LBB32_13:
	s_andn2_b64 vcc, exec, s[0:1]
	s_cbranch_vccnz .LBB32_18
	s_branch .LBB32_22
.LBB32_14:
	s_add_i32 s26, s25, s7
	s_add_i32 s0, s26, s9
	s_lshl_b32 s0, s0, 2
	s_add_i32 s0, s0, s8
	s_mov_b32 s1, s4
	s_lshl_b64 s[0:1], s[0:1], 3
	s_add_u32 s20, s18, s0
	s_mul_hi_u32 s0, s16, s12
	s_addc_u32 s21, s19, s1
	s_add_i32 s0, s0, s16
	s_lshr_b32 s5, s0, s13
	s_mul_i32 s0, s5, s14
	s_cmp_eq_u32 s0, s16
	s_cselect_b64 s[0:1], -1, 0
	s_cmp_lt_u32 s5, s11
	s_cselect_b64 s[28:29], -1, 0
	s_or_b64 s[28:29], s[28:29], s[0:1]
	s_mov_b64 s[0:1], -1
	s_and_b64 vcc, exec, s[28:29]
	s_mov_b32 s5, s25
	s_mov_b32 s17, s10
	s_cbranch_vccnz .LBB32_16
; %bb.15:
	s_add_i32 s5, s25, -1
	s_mov_b64 s[0:1], 0
	s_mov_b32 s17, s16
.LBB32_16:
	v_lshl_add_u32 v8, s26, 8, v0
	v_ashrrev_i32_e32 v9, 31, v8
	v_lshlrev_b64 v[8:9], 2, v[8:9]
	v_mov_b32_e32 v10, s22
	v_add_co_u32_e32 v8, vcc, s15, v8
	v_addc_co_u32_e32 v9, vcc, v10, v9, vcc
	global_load_dword v10, v[8:9], off
	s_load_dwordx2 s[20:21], s[20:21], 0x0
	v_max_f32_e32 v8, v7, v7
	s_waitcnt lgkmcnt(0)
	v_max_f32_e64 v9, s20, s20
	v_max_f32_e32 v8, v8, v9
	v_sub_f32_e32 v9, v7, v8
	v_sub_f32_e32 v11, s20, v8
	v_mul_f32_e32 v12, 0x3fb8aa3b, v9
	v_mul_f32_e32 v13, 0x3fb8aa3b, v11
	v_fma_f32 v14, v9, s2, -v12
	v_rndne_f32_e32 v15, v12
	v_fma_f32 v16, v11, s2, -v13
	v_rndne_f32_e32 v17, v13
	v_fmac_f32_e32 v14, 0x32a5705f, v9
	v_sub_f32_e32 v12, v12, v15
	v_fmac_f32_e32 v16, 0x32a5705f, v11
	v_sub_f32_e32 v13, v13, v17
	v_add_f32_e32 v12, v12, v14
	v_cvt_i32_f32_e32 v15, v15
	v_add_f32_e32 v13, v13, v16
	v_exp_f32_e32 v12, v12
	v_cvt_i32_f32_e32 v17, v17
	v_exp_f32_e32 v13, v13
	v_cmp_ngt_f32_e32 vcc, s6, v9
	v_ldexp_f32 v12, v12, v15
	v_cndmask_b32_e32 v12, 0, v12, vcc
	v_ldexp_f32 v13, v13, v17
	v_cmp_ngt_f32_e32 vcc, s6, v11
	v_cndmask_b32_e32 v13, 0, v13, vcc
	v_cmp_nlt_f32_e32 vcc, s23, v9
	v_cndmask_b32_e32 v12, v5, v12, vcc
	v_cmp_nlt_f32_e32 vcc, s23, v11
	v_cndmask_b32_e32 v13, v5, v13, vcc
	v_cmp_le_f32_e32 vcc, s24, v9
	v_cndmask_b32_e32 v12, 0, v12, vcc
	v_cmp_le_f32_e32 vcc, s24, v11
	v_cndmask_b32_e32 v11, 0, v13, vcc
	v_mul_f32_e32 v9, s21, v11
	v_fmac_f32_e32 v9, v6, v12
	s_waitcnt vmcnt(0)
	v_mul_f32_e32 v10, v10, v11
	v_fmac_f32_e32 v10, v3, v12
	s_cbranch_execnz .LBB32_13
.LBB32_17:
	s_add_i32 s5, s25, -1
	s_mov_b32 s17, s10
	v_mov_b32_e32 v9, v6
	v_mov_b32_e32 v8, v7
	s_waitcnt vmcnt(0)
	v_mov_b32_e32 v10, v3
	s_cbranch_execz .LBB32_22
.LBB32_18:
	s_mov_b32 s10, s17
	s_mov_b32 s25, s5
	v_mov_b32_e32 v6, v9
	v_mov_b32_e32 v7, v8
	s_waitcnt vmcnt(0)
	v_mov_b32_e32 v3, v10
	s_mul_hi_i32 s5, s25, s3
	s_cmp_lg_u64 s[4:5], 0
	s_mul_i32 s20, s25, s3
	s_cbranch_scc1 .LBB32_9
.LBB32_19:
                                        ; implicit-def: $sgpr16_sgpr17
	s_branch .LBB32_10
.LBB32_20:
                                        ; implicit-def: $sgpr10_sgpr11
	s_load_dwordx4 s[12:15], s[4:5], 0x44
	s_branch .LBB32_2
.LBB32_21:
                                        ; implicit-def: $sgpr18_sgpr19
	s_branch .LBB32_5
.LBB32_22:
	v_div_scale_f32 v0, s[0:1], v9, v9, v10
	s_waitcnt vmcnt(0)
	v_div_scale_f32 v3, vcc, v10, v9, v10
	v_rcp_f32_e32 v4, v0
	v_fma_f32 v5, -v0, v4, 1.0
	v_fmac_f32_e32 v4, v5, v4
	v_mul_f32_e32 v5, v3, v4
	v_fma_f32 v6, -v0, v5, v3
	v_fmac_f32_e32 v5, v6, v4
	v_fma_f32 v0, -v0, v5, v3
	v_div_fmas_f32 v0, v0, v4, v5
	v_div_fixup_f32 v0, v0, v9, v10
	global_store_dword v[1:2], v0, off
.LBB32_23:
	s_endpgm
	.section	.rodata,"a",@progbits
	.p2align	6, 0x0
	.amdhsa_kernel _ZL33flash_attn_stream_k_fixup_generalILi64ELi1ELi4EEvPfPK15HIP_vector_typeIfLj2EEiiiiS1_IjLj3EES5_S5_S5_
		.amdhsa_group_segment_fixed_size 0
		.amdhsa_private_segment_fixed_size 0
		.amdhsa_kernarg_size 336
		.amdhsa_user_sgpr_count 6
		.amdhsa_user_sgpr_private_segment_buffer 1
		.amdhsa_user_sgpr_dispatch_ptr 0
		.amdhsa_user_sgpr_queue_ptr 0
		.amdhsa_user_sgpr_kernarg_segment_ptr 1
		.amdhsa_user_sgpr_dispatch_id 0
		.amdhsa_user_sgpr_flat_scratch_init 0
		.amdhsa_user_sgpr_private_segment_size 0
		.amdhsa_uses_dynamic_stack 0
		.amdhsa_system_sgpr_private_segment_wavefront_offset 0
		.amdhsa_system_sgpr_workgroup_id_x 1
		.amdhsa_system_sgpr_workgroup_id_y 1
		.amdhsa_system_sgpr_workgroup_id_z 1
		.amdhsa_system_sgpr_workgroup_info 0
		.amdhsa_system_vgpr_workitem_id 0
		.amdhsa_next_free_vgpr 18
		.amdhsa_next_free_sgpr 37
		.amdhsa_reserve_vcc 1
		.amdhsa_reserve_flat_scratch 0
		.amdhsa_float_round_mode_32 0
		.amdhsa_float_round_mode_16_64 0
		.amdhsa_float_denorm_mode_32 3
		.amdhsa_float_denorm_mode_16_64 3
		.amdhsa_dx10_clamp 1
		.amdhsa_ieee_mode 1
		.amdhsa_fp16_overflow 0
		.amdhsa_exception_fp_ieee_invalid_op 0
		.amdhsa_exception_fp_denorm_src 0
		.amdhsa_exception_fp_ieee_div_zero 0
		.amdhsa_exception_fp_ieee_overflow 0
		.amdhsa_exception_fp_ieee_underflow 0
		.amdhsa_exception_fp_ieee_inexact 0
		.amdhsa_exception_int_div_zero 0
	.end_amdhsa_kernel
	.section	.text._ZL33flash_attn_stream_k_fixup_generalILi64ELi1ELi4EEvPfPK15HIP_vector_typeIfLj2EEiiiiS1_IjLj3EES5_S5_S5_,"axG",@progbits,_ZL33flash_attn_stream_k_fixup_generalILi64ELi1ELi4EEvPfPK15HIP_vector_typeIfLj2EEiiiiS1_IjLj3EES5_S5_S5_,comdat
.Lfunc_end32:
	.size	_ZL33flash_attn_stream_k_fixup_generalILi64ELi1ELi4EEvPfPK15HIP_vector_typeIfLj2EEiiiiS1_IjLj3EES5_S5_S5_, .Lfunc_end32-_ZL33flash_attn_stream_k_fixup_generalILi64ELi1ELi4EEvPfPK15HIP_vector_typeIfLj2EEiiiiS1_IjLj3EES5_S5_S5_
                                        ; -- End function
	.set _ZL33flash_attn_stream_k_fixup_generalILi64ELi1ELi4EEvPfPK15HIP_vector_typeIfLj2EEiiiiS1_IjLj3EES5_S5_S5_.num_vgpr, 18
	.set _ZL33flash_attn_stream_k_fixup_generalILi64ELi1ELi4EEvPfPK15HIP_vector_typeIfLj2EEiiiiS1_IjLj3EES5_S5_S5_.num_agpr, 0
	.set _ZL33flash_attn_stream_k_fixup_generalILi64ELi1ELi4EEvPfPK15HIP_vector_typeIfLj2EEiiiiS1_IjLj3EES5_S5_S5_.numbered_sgpr, 37
	.set _ZL33flash_attn_stream_k_fixup_generalILi64ELi1ELi4EEvPfPK15HIP_vector_typeIfLj2EEiiiiS1_IjLj3EES5_S5_S5_.num_named_barrier, 0
	.set _ZL33flash_attn_stream_k_fixup_generalILi64ELi1ELi4EEvPfPK15HIP_vector_typeIfLj2EEiiiiS1_IjLj3EES5_S5_S5_.private_seg_size, 0
	.set _ZL33flash_attn_stream_k_fixup_generalILi64ELi1ELi4EEvPfPK15HIP_vector_typeIfLj2EEiiiiS1_IjLj3EES5_S5_S5_.uses_vcc, 1
	.set _ZL33flash_attn_stream_k_fixup_generalILi64ELi1ELi4EEvPfPK15HIP_vector_typeIfLj2EEiiiiS1_IjLj3EES5_S5_S5_.uses_flat_scratch, 0
	.set _ZL33flash_attn_stream_k_fixup_generalILi64ELi1ELi4EEvPfPK15HIP_vector_typeIfLj2EEiiiiS1_IjLj3EES5_S5_S5_.has_dyn_sized_stack, 0
	.set _ZL33flash_attn_stream_k_fixup_generalILi64ELi1ELi4EEvPfPK15HIP_vector_typeIfLj2EEiiiiS1_IjLj3EES5_S5_S5_.has_recursion, 0
	.set _ZL33flash_attn_stream_k_fixup_generalILi64ELi1ELi4EEvPfPK15HIP_vector_typeIfLj2EEiiiiS1_IjLj3EES5_S5_S5_.has_indirect_call, 0
	.section	.AMDGPU.csdata,"",@progbits
; Kernel info:
; codeLenInByte = 2920
; TotalNumSgprs: 41
; NumVgprs: 18
; ScratchSize: 0
; MemoryBound: 0
; FloatMode: 240
; IeeeMode: 1
; LDSByteSize: 0 bytes/workgroup (compile time only)
; SGPRBlocks: 5
; VGPRBlocks: 4
; NumSGPRsForWavesPerEU: 41
; NumVGPRsForWavesPerEU: 18
; Occupancy: 10
; WaveLimiterHint : 0
; COMPUTE_PGM_RSRC2:SCRATCH_EN: 0
; COMPUTE_PGM_RSRC2:USER_SGPR: 6
; COMPUTE_PGM_RSRC2:TRAP_HANDLER: 0
; COMPUTE_PGM_RSRC2:TGID_X_EN: 1
; COMPUTE_PGM_RSRC2:TGID_Y_EN: 1
; COMPUTE_PGM_RSRC2:TGID_Z_EN: 1
; COMPUTE_PGM_RSRC2:TIDIG_COMP_CNT: 0
	.section	.text._ZL15flash_attn_tileILi64ELi64ELi32ELi2ELb0EEvPKcS1_S1_S1_S1_PKiPfP15HIP_vector_typeIfLj2EEffffjfiS5_IjLj3EEiiiiiiiiiiiliiliiiiil,"axG",@progbits,_ZL15flash_attn_tileILi64ELi64ELi32ELi2ELb0EEvPKcS1_S1_S1_S1_PKiPfP15HIP_vector_typeIfLj2EEffffjfiS5_IjLj3EEiiiiiiiiiiiliiliiiiil,comdat
	.globl	_ZL15flash_attn_tileILi64ELi64ELi32ELi2ELb0EEvPKcS1_S1_S1_S1_PKiPfP15HIP_vector_typeIfLj2EEffffjfiS5_IjLj3EEiiiiiiiiiiiliiliiiiil ; -- Begin function _ZL15flash_attn_tileILi64ELi64ELi32ELi2ELb0EEvPKcS1_S1_S1_S1_PKiPfP15HIP_vector_typeIfLj2EEffffjfiS5_IjLj3EEiiiiiiiiiiiliiliiiiil
	.p2align	8
	.type	_ZL15flash_attn_tileILi64ELi64ELi32ELi2ELb0EEvPKcS1_S1_S1_S1_PKiPfP15HIP_vector_typeIfLj2EEffffjfiS5_IjLj3EEiiiiiiiiiiiliiliiiiil,@function
_ZL15flash_attn_tileILi64ELi64ELi32ELi2ELb0EEvPKcS1_S1_S1_S1_PKiPfP15HIP_vector_typeIfLj2EEffffjfiS5_IjLj3EEiiiiiiiiiiiliiliiiiil: ; @_ZL15flash_attn_tileILi64ELi64ELi32ELi2ELb0EEvPKcS1_S1_S1_S1_PKiPfP15HIP_vector_typeIfLj2EEffffjfiS5_IjLj3EEiiiiiiiiiiiliiliiiiil
; %bb.0:
	s_mov_b64 s[46:47], s[2:3]
	s_mov_b64 s[44:45], s[0:1]
	s_load_dwordx4 s[0:3], s[4:5], 0x5c
	s_load_dwordx2 s[30:31], s[4:5], 0x80
	s_add_u32 s44, s44, s9
	s_addc_u32 s45, s45, 0
	v_mov_b32_e32 v55, v0
	s_waitcnt lgkmcnt(0)
	s_lshr_b32 s9, s3, 31
	s_add_i32 s9, s3, s9
	s_ashr_i32 s9, s9, 1
	v_cvt_f32_u32_e32 v0, s9
	s_sub_i32 s10, 0, s9
	s_load_dwordx2 s[36:37], s[4:5], 0xb8
	s_mov_b64 s[34:35], 0
	v_rcp_iflag_f32_e32 v0, v0
	v_mul_f32_e32 v0, 0x4f7ffffe, v0
	v_cvt_u32_f32_e32 v0, v0
	v_readfirstlane_b32 s11, v0
	s_mul_i32 s10, s10, s11
	s_mul_hi_u32 s10, s11, s10
	s_add_i32 s11, s11, s10
	s_mul_hi_u32 s10, s8, s11
	s_mul_i32 s11, s10, s9
	s_sub_i32 s11, s8, s11
	s_add_i32 s12, s10, 1
	s_sub_i32 s13, s11, s9
	s_cmp_ge_u32 s11, s9
	s_cselect_b32 s10, s12, s10
	s_cselect_b32 s11, s13, s11
	s_add_i32 s12, s10, 1
	s_cmp_ge_u32 s11, s9
	s_cselect_b32 s33, s12, s10
	s_abs_i32 s9, s31
	v_cvt_f32_u32_e32 v0, s9
	s_lshl_b32 s8, s8, 1
	s_mul_i32 s12, s33, s3
	s_sub_i32 s13, 0, s9
	v_rcp_iflag_f32_e32 v0, v0
	s_sub_i32 s28, s8, s12
	s_abs_i32 s11, s3
	s_xor_b32 s10, s3, s31
	v_mul_f32_e32 v0, 0x4f7ffffe, v0
	v_cvt_u32_f32_e32 v0, v0
	s_ashr_i32 s10, s10, 31
	v_readfirstlane_b32 s8, v0
	s_mul_i32 s13, s13, s8
	s_mul_hi_u32 s12, s8, s13
	s_add_i32 s8, s8, s12
	s_mul_hi_u32 s8, s11, s8
	s_mul_i32 s12, s8, s9
	s_sub_i32 s11, s11, s12
	s_add_i32 s13, s8, 1
	s_sub_i32 s12, s11, s9
	s_cmp_ge_u32 s11, s9
	s_cselect_b32 s8, s13, s8
	s_cselect_b32 s11, s12, s11
	s_add_i32 s12, s8, 1
	s_cmp_ge_u32 s11, s9
	s_cselect_b32 s8, s12, s8
	s_xor_b32 s8, s8, s10
	s_sub_i32 s31, s8, s10
	s_abs_i32 s29, s31
	v_cvt_f32_u32_e32 v0, s29
	s_load_dwordx16 s[8:23], s[4:5], 0x0
	v_rcp_iflag_f32_e32 v0, v0
	s_waitcnt lgkmcnt(0)
	s_cmp_eq_u64 s[14:15], 0
	v_mul_f32_e32 v0, 0x4f7ffffe, v0
	v_cvt_u32_f32_e32 v0, v0
	v_readfirstlane_b32 s38, v0
	s_cbranch_scc1 .LBB33_2
; %bb.1:
	s_abs_i32 s26, s36
	v_cvt_f32_u32_e32 v0, s26
	s_sub_i32 s35, 0, s26
	s_abs_i32 s34, s33
	s_ashr_i32 s27, s33, 31
	v_rcp_iflag_f32_e32 v0, v0
	s_load_dwordx2 s[24:25], s[4:5], 0xc8
	v_mul_f32_e32 v0, 0x4f7ffffe, v0
	v_cvt_u32_f32_e32 v0, v0
	v_readfirstlane_b32 s36, v0
	s_mul_i32 s35, s35, s36
	s_mul_hi_u32 s35, s36, s35
	s_add_i32 s36, s36, s35
	s_mul_hi_u32 s35, s34, s36
	s_mul_i32 s35, s35, s26
	s_sub_i32 s34, s34, s35
	s_sub_i32 s35, s34, s26
	s_cmp_ge_u32 s34, s26
	s_cselect_b32 s34, s35, s34
	s_sub_i32 s35, s34, s26
	s_cmp_ge_u32 s34, s26
	s_cselect_b32 s26, s35, s34
	s_xor_b32 s26, s26, s27
	s_sub_i32 s26, s26, s27
	s_ashr_i32 s27, s26, 31
	s_waitcnt lgkmcnt(0)
	s_mul_hi_u32 s34, s24, s26
	s_mul_i32 s27, s24, s27
	s_mul_i32 s25, s25, s26
	s_add_i32 s27, s34, s27
	s_add_i32 s27, s27, s25
	s_mul_i32 s24, s24, s26
	s_add_u32 s34, s14, s24
	s_addc_u32 s35, s15, s27
.LBB33_2:
	s_lshl_b32 s14, s6, 5
	v_lshlrev_b32_e32 v59, 2, v1
	s_load_dwordx4 s[24:27], s[4:5], 0x70
	v_add_u32_e32 v60, s14, v59
	v_mul_hi_u32 v0, v60, s0
	v_lshlrev_b32_e32 v19, 3, v1
	v_or_b32_e32 v26, 2, v19
	s_waitcnt lgkmcnt(0)
	s_mul_i32 s15, s33, s26
	v_add_u32_e32 v0, v60, v0
	s_ashr_i32 s27, s15, 31
	v_lshrrev_b32_e32 v0, s1, v0
	s_mul_i32 s26, s28, s25
	s_add_u32 s8, s8, s15
	v_mul_lo_u32 v0, v0, s2
	s_addc_u32 s9, s9, s27
	s_ashr_i32 s27, s26, 31
	s_add_u32 s15, s8, s26
	s_addc_u32 s26, s9, s27
	s_ashr_i32 s41, s24, 31
	s_mov_b32 s40, s24
	s_lshr_b64 s[8:9], s[40:41], 2
	v_sub_u32_e32 v2, v60, v0
	v_mad_u64_u32 v[3:4], s[42:43], s8, v2, 0
	s_lshr_b32 s9, s41, 2
	v_lshrrev_b32_e32 v57, 1, v26
	v_mov_b32_e32 v0, v4
	v_mad_u64_u32 v[4:5], s[40:41], s9, v2, v[0:1]
	v_mov_b32_e32 v0, s26
	v_add_u32_e32 v58, s14, v57
	v_lshlrev_b64 v[3:4], 2, v[3:4]
	s_ashr_i32 s27, s25, 31
	v_add_co_u32_e32 v5, vcc, s15, v3
	v_addc_co_u32_e32 v0, vcc, v0, v4, vcc
	v_lshlrev_b32_e32 v25, 3, v55
	s_and_b32 s24, s25, -4
	v_mul_hi_u32 v7, v58, s0
	v_add_co_u32_e32 v5, vcc, v5, v25
	s_add_u32 s24, s15, s24
	v_addc_co_u32_e32 v6, vcc, 0, v0, vcc
	s_addc_u32 s25, s26, s27
	v_mov_b32_e32 v0, s25
	v_add_co_u32_e32 v3, vcc, s24, v3
	v_addc_co_u32_e32 v0, vcc, v0, v4, vcc
	v_add_u32_e32 v4, v58, v7
	v_lshrrev_b32_e32 v4, s1, v4
	v_mul_lo_u32 v7, v4, s2
	v_or_b32_e32 v27, 3, v19
	v_lshrrev_b32_e32 v54, 1, v27
	v_add_u32_e32 v56, s14, v54
	v_sub_u32_e32 v9, v58, v7
	v_mad_u64_u32 v[7:8], s[40:41], s8, v9, 0
	v_mul_hi_u32 v10, v56, s0
	v_add_co_u32_e32 v3, vcc, v3, v25
	v_addc_co_u32_e32 v4, vcc, 0, v0, vcc
	v_mov_b32_e32 v0, v8
	v_mad_u64_u32 v[8:9], s[40:41], s9, v9, v[0:1]
	v_add_u32_e32 v0, v56, v10
	v_lshrrev_b32_e32 v0, s1, v0
	v_mul_lo_u32 v0, v0, s2
	v_lshlrev_b64 v[7:8], 2, v[7:8]
	v_mov_b32_e32 v11, s26
	v_add_co_u32_e32 v13, vcc, s15, v7
	v_sub_u32_e32 v12, v56, v0
	v_mad_u64_u32 v[9:10], s[40:41], s8, v12, 0
	v_addc_co_u32_e32 v14, vcc, v11, v8, vcc
	v_mov_b32_e32 v0, v10
	v_mad_u64_u32 v[7:8], s[40:41], s9, v12, v[0:1]
	v_or_b32_e32 v28, 4, v19
	v_lshrrev_b32_e32 v52, 1, v28
	v_mov_b32_e32 v10, v7
	v_add_co_u32_e32 v11, vcc, v13, v25
	v_lshlrev_b64 v[7:8], 2, v[9:10]
	v_add_u32_e32 v53, s14, v52
	v_addc_co_u32_e32 v12, vcc, 0, v14, vcc
	v_mul_hi_u32 v9, v53, s0
	v_mov_b32_e32 v0, s25
	v_add_co_u32_e32 v7, vcc, s24, v7
	v_addc_co_u32_e32 v0, vcc, v0, v8, vcc
	v_add_co_u32_e32 v7, vcc, v7, v25
	v_addc_co_u32_e32 v8, vcc, 0, v0, vcc
	v_add_u32_e32 v0, v53, v9
	v_lshrrev_b32_e32 v0, s1, v0
	v_mul_lo_u32 v0, v0, s2
	v_or_b32_e32 v29, 5, v19
	global_load_dwordx2 v[9:10], v[5:6], off
	global_load_dwordx2 v[13:14], v[3:4], off
	;; [unrolled: 1-line block ×4, first 2 shown]
	v_lshrrev_b32_e32 v50, 1, v29
	v_sub_u32_e32 v5, v53, v0
	v_mad_u64_u32 v[3:4], s[40:41], s8, v5, 0
	v_add_u32_e32 v51, s14, v50
	v_mul_hi_u32 v6, v51, s0
	v_mov_b32_e32 v0, v4
	v_mad_u64_u32 v[4:5], s[40:41], s9, v5, v[0:1]
	v_add_u32_e32 v0, v51, v6
	v_lshrrev_b32_e32 v0, s1, v0
	v_mul_lo_u32 v0, v0, s2
	v_lshlrev_b64 v[3:4], 2, v[3:4]
	v_mov_b32_e32 v7, s26
	v_add_co_u32_e32 v11, vcc, s15, v3
	v_sub_u32_e32 v8, v51, v0
	v_mad_u64_u32 v[5:6], s[40:41], s8, v8, 0
	v_addc_co_u32_e32 v7, vcc, v7, v4, vcc
	v_mov_b32_e32 v0, v6
	v_mad_u64_u32 v[3:4], s[40:41], s9, v8, v[0:1]
	v_add_co_u32_e32 v6, vcc, v11, v25
	v_or_b32_e32 v30, 6, v19
	v_addc_co_u32_e32 v7, vcc, 0, v7, vcc
	v_lshrrev_b32_e32 v48, 1, v30
	global_load_dwordx2 v[7:8], v[6:7], off
	v_mov_b32_e32 v6, v3
	v_add_u32_e32 v49, s14, v48
	v_lshlrev_b64 v[3:4], 2, v[5:6]
	v_mul_hi_u32 v5, v49, s0
	v_mov_b32_e32 v0, s25
	v_add_co_u32_e32 v3, vcc, s24, v3
	v_addc_co_u32_e32 v0, vcc, v0, v4, vcc
	v_add_u32_e32 v4, v49, v5
	v_lshrrev_b32_e32 v4, s1, v4
	v_mul_lo_u32 v5, v4, s2
	v_or_b32_e32 v31, 7, v19
	v_lshrrev_b32_e32 v46, 1, v31
	v_add_u32_e32 v47, s14, v46
	v_sub_u32_e32 v11, v49, v5
	v_mad_u64_u32 v[5:6], s[40:41], s8, v11, 0
	v_mul_hi_u32 v19, v47, s0
	v_add_co_u32_e32 v3, vcc, v3, v25
	v_addc_co_u32_e32 v4, vcc, 0, v0, vcc
	v_mov_b32_e32 v0, v6
	v_mad_u64_u32 v[11:12], s[40:41], s9, v11, v[0:1]
	v_add_u32_e32 v0, v47, v19
	v_lshrrev_b32_e32 v0, s1, v0
	v_mul_lo_u32 v0, v0, s2
	v_mov_b32_e32 v6, v11
	v_mov_b32_e32 v19, s26
	v_lshlrev_b64 v[5:6], 2, v[5:6]
	v_sub_u32_e32 v20, v47, v0
	v_mad_u64_u32 v[11:12], s[26:27], s8, v20, 0
	v_add_co_u32_e32 v21, vcc, s15, v5
	v_mov_b32_e32 v0, v12
	v_addc_co_u32_e32 v22, vcc, v19, v6, vcc
	v_mad_u64_u32 v[5:6], s[8:9], s9, v20, v[0:1]
	v_add_co_u32_e32 v19, vcc, v21, v25
	v_mov_b32_e32 v12, v5
	v_addc_co_u32_e32 v20, vcc, 0, v22, vcc
	global_load_dwordx2 v[21:22], v[3:4], off
	global_load_dwordx2 v[23:24], v[19:20], off
	v_lshlrev_b64 v[3:4], 2, v[11:12]
	v_mov_b32_e32 v0, s25
	v_add_co_u32_e32 v3, vcc, s24, v3
	v_addc_co_u32_e32 v0, vcc, v0, v4, vcc
	v_add_co_u32_e32 v3, vcc, v3, v25
	v_addc_co_u32_e32 v4, vcc, 0, v0, vcc
	global_load_dwordx2 v[3:4], v[3:4], off
	s_load_dword s8, s[4:5], 0x40
	v_mov_b32_e32 v0, 0x4400
	v_lshl_or_b32 v0, v55, 2, v0
	v_lshlrev_b32_e32 v1, 10, v1
	v_add_u32_e32 v5, v0, v1
	s_waitcnt vmcnt(7) lgkmcnt(0)
	v_fma_mixlo_f16 v6, s8, v9, 0
	v_fma_mixlo_f16 v9, s8, v10, 0
	v_lshlrev_b32_e32 v9, 16, v9
	s_waitcnt vmcnt(6)
	v_fma_mixlo_f16 v10, s8, v14, 0
	v_or_b32_sdwa v6, v9, v6 dst_sel:DWORD dst_unused:UNUSED_PAD src0_sel:DWORD src1_sel:WORD_0
	v_fma_mixlo_f16 v9, s8, v13, 0
	v_lshlrev_b32_e32 v10, 16, v10
	v_or_b32_sdwa v9, v10, v9 dst_sel:DWORD dst_unused:UNUSED_PAD src0_sel:DWORD src1_sel:WORD_0
	ds_write2_b32 v5, v6, v9 offset1:32
	s_waitcnt vmcnt(5)
	v_fma_mixlo_f16 v9, s8, v16, 0
	v_fma_mixlo_f16 v6, s8, v15, 0
	v_lshlrev_b32_e32 v9, 16, v9
	v_lshl_add_u32 v5, v26, 7, v0
	v_or_b32_sdwa v6, v9, v6 dst_sel:DWORD dst_unused:UNUSED_PAD src0_sel:DWORD src1_sel:WORD_0
	s_waitcnt vmcnt(4)
	v_fma_mixlo_f16 v9, s8, v18, 0
	ds_write_b32 v5, v6
	v_fma_mixlo_f16 v6, s8, v17, 0
	v_lshlrev_b32_e32 v9, 16, v9
	v_lshl_add_u32 v5, v27, 7, v0
	v_or_b32_sdwa v6, v9, v6 dst_sel:DWORD dst_unused:UNUSED_PAD src0_sel:DWORD src1_sel:WORD_0
	ds_write_b32 v5, v6
	s_waitcnt vmcnt(3)
	v_fma_mixlo_f16 v6, s8, v7, 0
	v_fma_mixlo_f16 v7, s8, v8, 0
	v_lshlrev_b32_e32 v7, 16, v7
	v_lshl_add_u32 v5, v28, 7, v0
	v_or_b32_sdwa v6, v7, v6 dst_sel:DWORD dst_unused:UNUSED_PAD src0_sel:DWORD src1_sel:WORD_0
	ds_write_b32 v5, v6
	v_lshl_add_u32 v5, v29, 7, v0
	s_cmp_eq_u64 s[18:19], 0
	s_waitcnt vmcnt(2)
	v_fma_mixlo_f16 v7, s8, v22, 0
	v_fma_mixlo_f16 v6, s8, v21, 0
	v_lshlrev_b32_e32 v7, 16, v7
	v_or_b32_sdwa v6, v7, v6 dst_sel:DWORD dst_unused:UNUSED_PAD src0_sel:DWORD src1_sel:WORD_0
	s_waitcnt vmcnt(1)
	v_fma_mixlo_f16 v7, s8, v24, 0
	ds_write_b32 v5, v6
	v_fma_mixlo_f16 v6, s8, v23, 0
	v_lshlrev_b32_e32 v7, 16, v7
	v_lshl_add_u32 v5, v30, 7, v0
	v_or_b32_sdwa v6, v7, v6 dst_sel:DWORD dst_unused:UNUSED_PAD src0_sel:DWORD src1_sel:WORD_0
	v_lshl_add_u32 v0, v31, 7, v0
	ds_write_b32 v5, v6
	s_waitcnt vmcnt(0)
	v_fma_mixlo_f16 v4, s8, v4, 0
	v_fma_mixlo_f16 v3, s8, v3, 0
	v_lshlrev_b32_e32 v4, 16, v4
	v_or_b32_sdwa v3, v4, v3 dst_sel:DWORD dst_unused:UNUSED_PAD src0_sel:DWORD src1_sel:WORD_0
	ds_write_b32 v0, v3
	s_waitcnt lgkmcnt(0)
	s_barrier
	s_cbranch_scc1 .LBB33_4
; %bb.3:
	s_load_dword s8, s[4:5], 0xd0
	s_mov_b32 s9, 0
	s_waitcnt lgkmcnt(0)
	s_mul_i32 s8, s8, s33
	s_add_i32 s8, s8, s6
	s_lshl_b64 s[8:9], s[8:9], 2
	s_add_u32 s8, s18, s8
	s_addc_u32 s9, s19, s9
	s_load_dword s30, s[8:9], 0x0
.LBB33_4:
	s_lshl_b32 s6, s7, 6
	s_waitcnt lgkmcnt(0)
	s_cmp_lt_i32 s6, s30
	v_mbcnt_lo_u32_b32 v3, -1, 0
	s_cbranch_scc1 .LBB33_7
; %bb.5:
	v_mbcnt_hi_u32_b32 v64, -1, v3
	v_and_b32_e32 v0, 0x60, v64
	v_add_u32_e32 v65, 32, v0
	v_xor_b32_e32 v69, 16, v64
	v_xor_b32_e32 v70, 8, v64
	;; [unrolled: 1-line block ×5, first 2 shown]
	s_cbranch_execz .LBB33_8
; %bb.6:
	v_mov_b32_e32 v99, 0
	v_mov_b32_e32 v63, 0
	;; [unrolled: 1-line block ×24, first 2 shown]
	s_branch .LBB33_11
.LBB33_7:
                                        ; implicit-def: $vgpr64
                                        ; implicit-def: $vgpr65
                                        ; implicit-def: $vgpr69
                                        ; implicit-def: $vgpr70
                                        ; implicit-def: $vgpr67
                                        ; implicit-def: $vgpr68
                                        ; implicit-def: $vgpr66
.LBB33_8:
	buffer_store_dword v58, off, s[44:47], 0 offset:68 ; 4-byte Folded Spill
	buffer_store_dword v57, off, s[44:47], 0 offset:64 ; 4-byte Folded Spill
	;; [unrolled: 1-line block ×12, first 2 shown]
	s_load_dwordx2 s[18:19], s[4:5], 0x8c
	s_load_dwordx4 s[24:27], s[4:5], 0x98
	s_sub_i32 s8, 0, s29
	s_mul_i32 s8, s8, s38
	s_mul_hi_u32 s8, s38, s8
	v_add_u32_e32 v8, 1, v60
	s_add_i32 s38, s38, s8
	s_waitcnt lgkmcnt(0)
	s_ashr_i32 s8, s26, 2
	s_ashr_i32 s26, s37, 1
	v_mul_hi_u32 v10, s0, v8
	v_mul_lo_u32 v2, v2, s26
	s_ashr_i32 s9, s18, 2
	s_ashr_i32 s18, s33, 31
	s_mul_hi_u32 s37, s24, s33
	s_mul_i32 s41, s24, s18
	v_add_u32_e32 v10, v8, v10
	s_abs_i32 s15, s28
	s_add_i32 s37, s37, s41
	s_mul_i32 s25, s25, s33
	v_lshrrev_b32_e32 v10, s1, v10
	buffer_store_dword v2, off, s[44:47], 0 ; 4-byte Folded Spill
	v_add_u32_e32 v2, 2, v60
	s_mul_hi_u32 s36, s15, s38
	s_ashr_i32 s40, s28, 31
	s_ashr_i32 s31, s31, 31
	s_add_i32 s37, s37, s25
	s_mul_i32 s24, s24, s33
	v_mul_lo_u32 v10, v10, s2
	v_mul_hi_u32 v11, s0, v2
	s_add_u32 s10, s10, s24
	s_mul_i32 s25, s36, s29
	s_addc_u32 s11, s11, s37
	s_sub_i32 s15, s15, s25
	s_xor_b32 s24, s40, s31
	s_add_i32 s25, s36, 1
	s_sub_i32 s31, s15, s29
	s_cmp_ge_u32 s15, s29
	v_sub_u32_e32 v8, v8, v10
	v_add_u32_e32 v10, 3, v60
	v_add_u32_e32 v11, v2, v11
	s_cselect_b32 s25, s25, s36
	v_mul_hi_u32 v13, s0, v10
	v_lshrrev_b32_e32 v11, s1, v11
	s_cselect_b32 s15, s31, s15
	s_add_i32 s31, s25, 1
	v_mul_lo_u32 v11, v11, s2
	s_cmp_ge_u32 s15, s29
	s_load_dwordx2 s[38:39], s[4:5], 0xa8
	s_cselect_b32 s15, s31, s25
	s_xor_b32 s15, s15, s24
	v_add_u32_e32 v13, v10, v13
	s_sub_i32 s15, s15, s24
	v_lshrrev_b32_e32 v13, s1, v13
	v_mul_lo_u32 v8, v8, s26
	v_sub_u32_e32 v2, v2, v11
	s_mul_i32 s19, s15, s19
	v_lshrrev_b32_e32 v0, 3, v55
	v_mul_lo_u32 v13, v13, s2
	v_mul_lo_u32 v2, v2, s26
	s_ashr_i32 s24, s19, 31
	v_add_u32_e32 v0, v0, v59
	s_add_u32 s10, s10, s19
	s_waitcnt lgkmcnt(0)
	s_mul_hi_u32 s19, s38, s33
	s_mul_i32 s18, s38, s18
	v_mul_lo_u32 v4, s9, v0
	s_addc_u32 s11, s11, s24
	s_add_i32 s18, s19, s18
	s_mul_i32 s19, s39, s33
	buffer_store_dword v8, off, s[44:47], 0 offset:4 ; 4-byte Folded Spill
	v_mul_lo_u32 v8, s8, v0
	s_add_i32 s18, s18, s19
	s_mul_i32 s19, s38, s33
	buffer_store_dword v2, off, s[44:47], 0 offset:8 ; 4-byte Folded Spill
	v_sub_u32_e32 v2, v10, v13
	s_add_u32 s12, s12, s19
	s_mul_i32 s15, s15, s27
	v_lshlrev_b32_e32 v71, 2, v55
	v_mul_lo_u32 v2, v2, s26
	s_addc_u32 s13, s13, s18
	s_ashr_i32 s18, s15, 31
	v_and_b32_e32 v12, 28, v71
	v_ashrrev_i32_e32 v5, 31, v4
	s_add_u32 s12, s12, s15
	v_lshlrev_b32_e32 v9, 2, v12
	s_movk_i32 s15, 0x90
	v_lshl_add_u32 v6, s9, 5, v4
	v_lshl_add_u32 v10, s8, 5, v8
	v_lshlrev_b64 v[4:5], 2, v[4:5]
	s_addc_u32 s13, s13, s18
	v_mad_u32_u24 v72, v0, s15, v9
	v_ashrrev_i32_e32 v7, 31, v6
	v_lshl_or_b32 v80, v0, 7, v9
	v_ashrrev_i32_e32 v9, 31, v8
	v_ashrrev_i32_e32 v11, 31, v10
	v_mbcnt_hi_u32_b32 v64, -1, v3
	buffer_store_dword v59, off, s[44:47], 0 offset:72 ; 4-byte Folded Spill
	buffer_store_dword v60, off, s[44:47], 0 offset:76 ; 4-byte Folded Spill
	;; [unrolled: 1-line block ×3, first 2 shown]
	v_add_u32_e32 v79, 0x2400, v1
	v_lshlrev_b32_e32 v2, 4, v55
	s_add_u32 s0, s4, 0xd0
	buffer_store_dword v4, off, s[44:47], 0 offset:16 ; 4-byte Folded Spill
	s_nop 0
	buffer_store_dword v5, off, s[44:47], 0 offset:20 ; 4-byte Folded Spill
	v_lshlrev_b64 v[89:90], 2, v[6:7]
	v_and_b32_e32 v0, 0x60, v64
	v_lshlrev_b64 v[61:62], 2, v[8:9]
	v_lshlrev_b64 v[47:48], 2, v[10:11]
	v_mov_b32_e32 v92, 0
	v_add_u32_e32 v73, 0x4400, v1
	v_mul_u32_u24_e32 v74, 0x90, v55
	s_addc_u32 s1, s5, 0
	v_mov_b32_e32 v1, 0xfeffffff
	v_lshlrev_b32_e32 v81, 2, v12
	v_add_u32_e32 v65, 32, v0
	v_xor_b32_e32 v69, 16, v64
	v_xor_b32_e32 v70, 8, v64
	;; [unrolled: 1-line block ×5, first 2 shown]
	v_mov_b32_e32 v82, s35
	s_mov_b32 s15, 0x3fb8aa3b
	s_mov_b32 s18, 0xc2ce8ed0
	;; [unrolled: 1-line block ×3, first 2 shown]
	v_mov_b32_e32 v83, 0x7f800000
	s_mov_b32 s24, 0x10001
	v_add_u32_e32 v84, v79, v2
	v_add_u32_e32 v46, 0x800, v71
	;; [unrolled: 1-line block ×5, first 2 shown]
	v_mov_b32_e32 v93, 0
	v_mov_b32_e32 v94, 0
	;; [unrolled: 1-line block ×22, first 2 shown]
.LBB33_9:                               ; =>This Inner Loop Header: Depth=1
	v_mov_b32_e32 v111, v3
	v_mov_b32_e32 v113, v2
	buffer_load_dword v2, off, s[44:47], 0 offset:16 ; 4-byte Folded Reload
	buffer_load_dword v3, off, s[44:47], 0 offset:20 ; 4-byte Folded Reload
	s_mul_hi_i32 s27, s6, s9
	s_mul_i32 s26, s6, s9
	s_lshl_b64 s[26:27], s[26:27], 2
	s_add_u32 s25, s10, s26
	s_addc_u32 s26, s11, s27
	v_mov_b32_e32 v114, v1
	v_mov_b32_e32 v109, v4
	;; [unrolled: 1-line block ×3, first 2 shown]
	v_add_u32_e32 v5, 0x1200, v72
	v_mov_b32_e32 v115, 0
	v_mov_b32_e32 v100, v20
	;; [unrolled: 1-line block ×18, first 2 shown]
	s_mul_hi_i32 s27, s6, s8
	s_waitcnt vmcnt(1)
	v_add_co_u32_e32 v1, vcc, s25, v2
	v_mov_b32_e32 v2, s26
	s_waitcnt vmcnt(0)
	v_addc_co_u32_e32 v2, vcc, v2, v3, vcc
	v_add_co_u32_e32 v1, vcc, v1, v81
	v_addc_co_u32_e32 v2, vcc, 0, v2, vcc
	global_load_dwordx4 v[1:4], v[1:2], off
	s_waitcnt vmcnt(0)
	ds_write_b128 v72, v[1:4]
	v_add_co_u32_e32 v1, vcc, s25, v89
	v_mov_b32_e32 v2, s26
	v_addc_co_u32_e32 v2, vcc, v2, v90, vcc
	v_add_co_u32_e32 v1, vcc, v1, v81
	v_addc_co_u32_e32 v2, vcc, 0, v2, vcc
	global_load_dwordx4 v[1:4], v[1:2], off
	v_cmp_lt_i32_e32 vcc, v69, v65
	s_mul_i32 s26, s6, s8
	s_lshl_b64 s[26:27], s[26:27], 2
	s_add_u32 s25, s12, s26
	s_addc_u32 s26, s13, s27
	s_waitcnt vmcnt(0)
	ds_write_b128 v5, v[1:4]
	s_waitcnt lgkmcnt(0)
	s_barrier
	ds_read_b128 v[37:40], v74
	ds_read_b128 v[1:4], v74 offset:4608
	ds_read_b128 v[33:36], v73
	ds_read_b128 v[29:32], v73 offset:128
	ds_read_b128 v[25:28], v73 offset:256
	;; [unrolled: 1-line block ×7, first 2 shown]
	s_waitcnt lgkmcnt(7)
	;;#ASMSTART
	v_dot2_f32_f16 v115, v37, v33, v115
	;;#ASMEND
	;;#ASMSTART
	v_dot2_f32_f16 v115, v38, v34, v115
	;;#ASMEND
	;;#ASMSTART
	v_dot2_f32_f16 v115, v39, v35, v115
	;;#ASMEND
	;;#ASMSTART
	v_dot2_f32_f16 v115, v40, v36, v115
	;;#ASMEND
	s_waitcnt lgkmcnt(6)
	;;#ASMSTART
	v_dot2_f32_f16 v116, v37, v29, v116
	;;#ASMEND
	;;#ASMSTART
	v_dot2_f32_f16 v116, v38, v30, v116
	;;#ASMEND
	;;#ASMSTART
	v_dot2_f32_f16 v116, v39, v31, v116
	;;#ASMEND
	;;#ASMSTART
	v_dot2_f32_f16 v116, v40, v32, v116
	;;#ASMEND
	;; [unrolled: 13-line block ×7, first 2 shown]
	s_waitcnt lgkmcnt(0)
	;;#ASMSTART
	v_dot2_f32_f16 v122, v37, v5, v122
	;;#ASMEND
	;;#ASMSTART
	v_dot2_f32_f16 v122, v38, v6, v122
	;;#ASMEND
	;;#ASMSTART
	v_dot2_f32_f16 v122, v39, v7, v122
	;;#ASMEND
	v_mov_b32_e32 v37, 0
	;;#ASMSTART
	v_dot2_f32_f16 v122, v40, v8, v122
	;;#ASMEND
	;;#ASMSTART
	v_dot2_f32_f16 v37, v1, v33, v37
	;;#ASMEND
	;;#ASMSTART
	v_dot2_f32_f16 v37, v2, v34, v37
	;;#ASMEND
	;;#ASMSTART
	v_dot2_f32_f16 v37, v3, v35, v37
	;;#ASMEND
	v_mov_b32_e32 v33, 0
	;;#ASMSTART
	v_dot2_f32_f16 v37, v4, v36, v37
	;;#ASMEND
	;; [unrolled: 13-line block ×8, first 2 shown]
	;;#ASMSTART
	v_dot2_f32_f16 v9, v1, v5, v9
	;;#ASMEND
	;;#ASMSTART
	v_dot2_f32_f16 v9, v2, v6, v9
	;;#ASMEND
	;; [unrolled: 3-line block ×4, first 2 shown]
	ds_read_b128 v[1:4], v74 offset:16
	ds_read_b128 v[5:8], v74 offset:4624
	;; [unrolled: 1-line block ×4, first 2 shown]
	v_mov_b32_e32 v10, v55
	ds_read_b128 v[53:56], v73 offset:272
	ds_read_b128 v[57:60], v73 offset:400
	;; [unrolled: 1-line block ×6, first 2 shown]
	s_waitcnt lgkmcnt(7)
	;;#ASMSTART
	v_dot2_f32_f16 v115, v1, v123, v115
	;;#ASMEND
	;;#ASMSTART
	v_dot2_f32_f16 v115, v2, v124, v115
	;;#ASMEND
	;;#ASMSTART
	v_dot2_f32_f16 v115, v3, v125, v115
	;;#ASMEND
	;;#ASMSTART
	v_dot2_f32_f16 v115, v4, v126, v115
	;;#ASMEND
	s_waitcnt lgkmcnt(6)
	;;#ASMSTART
	v_dot2_f32_f16 v116, v1, v49, v116
	;;#ASMEND
	;;#ASMSTART
	v_dot2_f32_f16 v116, v2, v50, v116
	;;#ASMEND
	;;#ASMSTART
	v_dot2_f32_f16 v116, v3, v51, v116
	;;#ASMEND
	;;#ASMSTART
	v_dot2_f32_f16 v116, v4, v52, v116
	;;#ASMEND
	;; [unrolled: 13-line block ×8, first 2 shown]
	;;#ASMSTART
	v_dot2_f32_f16 v37, v5, v123, v37
	;;#ASMEND
	;;#ASMSTART
	v_dot2_f32_f16 v37, v6, v124, v37
	;;#ASMEND
	;; [unrolled: 3-line block ×32, first 2 shown]
	ds_read_b128 v[1:4], v74 offset:32
	ds_read_b128 v[5:8], v74 offset:4640
	;; [unrolled: 1-line block ×10, first 2 shown]
	s_waitcnt lgkmcnt(7)
	;;#ASMSTART
	v_dot2_f32_f16 v115, v1, v38, v115
	;;#ASMEND
	;;#ASMSTART
	v_dot2_f32_f16 v115, v2, v39, v115
	;;#ASMEND
	;;#ASMSTART
	v_dot2_f32_f16 v115, v3, v40, v115
	;;#ASMEND
	;;#ASMSTART
	v_dot2_f32_f16 v115, v4, v41, v115
	;;#ASMEND
	s_waitcnt lgkmcnt(6)
	;;#ASMSTART
	v_dot2_f32_f16 v116, v1, v42, v116
	;;#ASMEND
	;;#ASMSTART
	v_dot2_f32_f16 v116, v2, v43, v116
	;;#ASMEND
	;;#ASMSTART
	v_dot2_f32_f16 v116, v3, v44, v116
	;;#ASMEND
	;;#ASMSTART
	v_dot2_f32_f16 v116, v4, v45, v116
	;;#ASMEND
	;; [unrolled: 13-line block ×8, first 2 shown]
	;;#ASMSTART
	v_dot2_f32_f16 v37, v5, v38, v37
	;;#ASMEND
	;;#ASMSTART
	v_dot2_f32_f16 v37, v6, v39, v37
	;;#ASMEND
	;;#ASMSTART
	v_dot2_f32_f16 v37, v7, v40, v37
	;;#ASMEND
	;;#ASMSTART
	v_dot2_f32_f16 v37, v8, v41, v37
	;;#ASMEND
	;;#ASMSTART
	v_dot2_f32_f16 v33, v5, v42, v33
	;;#ASMEND
	;;#ASMSTART
	v_dot2_f32_f16 v33, v6, v43, v33
	;;#ASMEND
	;;#ASMSTART
	v_dot2_f32_f16 v33, v7, v44, v33
	;;#ASMEND
	;;#ASMSTART
	v_dot2_f32_f16 v33, v8, v45, v33
	;;#ASMEND
	;;#ASMSTART
	v_dot2_f32_f16 v29, v5, v49, v29
	;;#ASMEND
	;;#ASMSTART
	v_dot2_f32_f16 v29, v6, v50, v29
	;;#ASMEND
	;;#ASMSTART
	v_dot2_f32_f16 v29, v7, v51, v29
	;;#ASMEND
	;;#ASMSTART
	v_dot2_f32_f16 v29, v8, v52, v29
	;;#ASMEND
	;;#ASMSTART
	v_dot2_f32_f16 v25, v5, v53, v25
	;;#ASMEND
	;;#ASMSTART
	v_dot2_f32_f16 v25, v6, v54, v25
	;;#ASMEND
	;;#ASMSTART
	v_dot2_f32_f16 v25, v7, v55, v25
	;;#ASMEND
	;;#ASMSTART
	v_dot2_f32_f16 v25, v8, v56, v25
	;;#ASMEND
	;;#ASMSTART
	v_dot2_f32_f16 v21, v5, v57, v21
	;;#ASMEND
	;;#ASMSTART
	v_dot2_f32_f16 v21, v6, v58, v21
	;;#ASMEND
	;;#ASMSTART
	v_dot2_f32_f16 v21, v7, v59, v21
	;;#ASMEND
	;;#ASMSTART
	v_dot2_f32_f16 v21, v8, v60, v21
	;;#ASMEND
	;;#ASMSTART
	v_dot2_f32_f16 v17, v5, v75, v17
	;;#ASMEND
	;;#ASMSTART
	v_dot2_f32_f16 v17, v6, v76, v17
	;;#ASMEND
	;;#ASMSTART
	v_dot2_f32_f16 v17, v7, v77, v17
	;;#ASMEND
	;;#ASMSTART
	v_dot2_f32_f16 v17, v8, v78, v17
	;;#ASMEND
	;;#ASMSTART
	v_dot2_f32_f16 v13, v5, v85, v13
	;;#ASMEND
	;;#ASMSTART
	v_dot2_f32_f16 v13, v6, v86, v13
	;;#ASMEND
	;;#ASMSTART
	v_dot2_f32_f16 v13, v7, v87, v13
	;;#ASMEND
	;;#ASMSTART
	v_dot2_f32_f16 v13, v8, v88, v13
	;;#ASMEND
	;;#ASMSTART
	v_dot2_f32_f16 v9, v5, v123, v9
	;;#ASMEND
	;;#ASMSTART
	v_dot2_f32_f16 v9, v6, v124, v9
	;;#ASMEND
	;;#ASMSTART
	v_dot2_f32_f16 v9, v7, v125, v9
	;;#ASMEND
	;;#ASMSTART
	v_dot2_f32_f16 v9, v8, v126, v9
	;;#ASMEND
	ds_read_b128 v[1:4], v74 offset:48
	ds_read_b128 v[5:8], v74 offset:4656
	;; [unrolled: 1-line block ×10, first 2 shown]
	s_waitcnt lgkmcnt(7)
	;;#ASMSTART
	v_dot2_f32_f16 v115, v1, v38, v115
	;;#ASMEND
	;;#ASMSTART
	v_dot2_f32_f16 v115, v2, v39, v115
	;;#ASMEND
	;;#ASMSTART
	v_dot2_f32_f16 v115, v3, v40, v115
	;;#ASMEND
	;;#ASMSTART
	v_dot2_f32_f16 v115, v4, v41, v115
	;;#ASMEND
	s_waitcnt lgkmcnt(6)
	;;#ASMSTART
	v_dot2_f32_f16 v116, v1, v42, v116
	;;#ASMEND
	;;#ASMSTART
	v_dot2_f32_f16 v116, v2, v43, v116
	;;#ASMEND
	;;#ASMSTART
	v_dot2_f32_f16 v116, v3, v44, v116
	;;#ASMEND
	;;#ASMSTART
	v_dot2_f32_f16 v116, v4, v45, v116
	;;#ASMEND
	;; [unrolled: 13-line block ×8, first 2 shown]
	;;#ASMSTART
	v_dot2_f32_f16 v37, v5, v38, v37
	;;#ASMEND
	;;#ASMSTART
	v_dot2_f32_f16 v37, v6, v39, v37
	;;#ASMEND
	;; [unrolled: 3-line block ×32, first 2 shown]
	ds_read_b128 v[1:4], v74 offset:64
	ds_read_b128 v[5:8], v74 offset:4672
	;; [unrolled: 1-line block ×10, first 2 shown]
	s_waitcnt lgkmcnt(7)
	;;#ASMSTART
	v_dot2_f32_f16 v115, v1, v38, v115
	;;#ASMEND
	;;#ASMSTART
	v_dot2_f32_f16 v115, v2, v39, v115
	;;#ASMEND
	;;#ASMSTART
	v_dot2_f32_f16 v115, v3, v40, v115
	;;#ASMEND
	;;#ASMSTART
	v_dot2_f32_f16 v115, v4, v41, v115
	;;#ASMEND
	s_waitcnt lgkmcnt(6)
	;;#ASMSTART
	v_dot2_f32_f16 v116, v1, v42, v116
	;;#ASMEND
	;;#ASMSTART
	v_dot2_f32_f16 v116, v2, v43, v116
	;;#ASMEND
	;;#ASMSTART
	v_dot2_f32_f16 v116, v3, v44, v116
	;;#ASMEND
	;;#ASMSTART
	v_dot2_f32_f16 v116, v4, v45, v116
	;;#ASMEND
	;; [unrolled: 13-line block ×8, first 2 shown]
	;;#ASMSTART
	v_dot2_f32_f16 v37, v5, v38, v37
	;;#ASMEND
	;;#ASMSTART
	v_dot2_f32_f16 v37, v6, v39, v37
	;;#ASMEND
	;; [unrolled: 3-line block ×32, first 2 shown]
	ds_read_b128 v[1:4], v74 offset:80
	ds_read_b128 v[5:8], v74 offset:4688
	;; [unrolled: 1-line block ×10, first 2 shown]
	s_waitcnt lgkmcnt(7)
	;;#ASMSTART
	v_dot2_f32_f16 v115, v1, v38, v115
	;;#ASMEND
	;;#ASMSTART
	v_dot2_f32_f16 v115, v2, v39, v115
	;;#ASMEND
	;;#ASMSTART
	v_dot2_f32_f16 v115, v3, v40, v115
	;;#ASMEND
	;;#ASMSTART
	v_dot2_f32_f16 v115, v4, v41, v115
	;;#ASMEND
	s_waitcnt lgkmcnt(6)
	;;#ASMSTART
	v_dot2_f32_f16 v116, v1, v42, v116
	;;#ASMEND
	;;#ASMSTART
	v_dot2_f32_f16 v116, v2, v43, v116
	;;#ASMEND
	;;#ASMSTART
	v_dot2_f32_f16 v116, v3, v44, v116
	;;#ASMEND
	;;#ASMSTART
	v_dot2_f32_f16 v116, v4, v45, v116
	;;#ASMEND
	;; [unrolled: 13-line block ×8, first 2 shown]
	;;#ASMSTART
	v_dot2_f32_f16 v37, v5, v38, v37
	;;#ASMEND
	;;#ASMSTART
	v_dot2_f32_f16 v37, v6, v39, v37
	;;#ASMEND
	;; [unrolled: 3-line block ×32, first 2 shown]
	ds_read_b128 v[1:4], v74 offset:96
	ds_read_b128 v[5:8], v74 offset:4704
	;; [unrolled: 1-line block ×10, first 2 shown]
	s_waitcnt lgkmcnt(7)
	;;#ASMSTART
	v_dot2_f32_f16 v115, v1, v38, v115
	;;#ASMEND
	;;#ASMSTART
	v_dot2_f32_f16 v115, v2, v39, v115
	;;#ASMEND
	;;#ASMSTART
	v_dot2_f32_f16 v115, v3, v40, v115
	;;#ASMEND
	;;#ASMSTART
	v_dot2_f32_f16 v115, v4, v41, v115
	;;#ASMEND
	s_waitcnt lgkmcnt(6)
	;;#ASMSTART
	v_dot2_f32_f16 v116, v1, v42, v116
	;;#ASMEND
	;;#ASMSTART
	v_dot2_f32_f16 v116, v2, v43, v116
	;;#ASMEND
	;;#ASMSTART
	v_dot2_f32_f16 v116, v3, v44, v116
	;;#ASMEND
	;;#ASMSTART
	v_dot2_f32_f16 v116, v4, v45, v116
	;;#ASMEND
	;; [unrolled: 13-line block ×8, first 2 shown]
	;;#ASMSTART
	v_dot2_f32_f16 v37, v5, v38, v37
	;;#ASMEND
	;;#ASMSTART
	v_dot2_f32_f16 v37, v6, v39, v37
	;;#ASMEND
	;;#ASMSTART
	v_dot2_f32_f16 v37, v7, v40, v37
	;;#ASMEND
	;;#ASMSTART
	v_dot2_f32_f16 v37, v8, v41, v37
	;;#ASMEND
	;;#ASMSTART
	v_dot2_f32_f16 v33, v5, v42, v33
	;;#ASMEND
	;;#ASMSTART
	v_dot2_f32_f16 v33, v6, v43, v33
	;;#ASMEND
	;;#ASMSTART
	v_dot2_f32_f16 v33, v7, v44, v33
	;;#ASMEND
	;;#ASMSTART
	v_dot2_f32_f16 v33, v8, v45, v33
	;;#ASMEND
	;;#ASMSTART
	v_dot2_f32_f16 v29, v5, v49, v29
	;;#ASMEND
	;;#ASMSTART
	v_dot2_f32_f16 v29, v6, v50, v29
	;;#ASMEND
	;;#ASMSTART
	v_dot2_f32_f16 v29, v7, v51, v29
	;;#ASMEND
	;;#ASMSTART
	v_dot2_f32_f16 v29, v8, v52, v29
	;;#ASMEND
	;;#ASMSTART
	v_dot2_f32_f16 v25, v5, v53, v25
	;;#ASMEND
	;;#ASMSTART
	v_dot2_f32_f16 v25, v6, v54, v25
	;;#ASMEND
	;;#ASMSTART
	v_dot2_f32_f16 v25, v7, v55, v25
	;;#ASMEND
	;;#ASMSTART
	v_dot2_f32_f16 v25, v8, v56, v25
	;;#ASMEND
	;;#ASMSTART
	v_dot2_f32_f16 v21, v5, v57, v21
	;;#ASMEND
	;;#ASMSTART
	v_dot2_f32_f16 v21, v6, v58, v21
	;;#ASMEND
	;;#ASMSTART
	v_dot2_f32_f16 v21, v7, v59, v21
	;;#ASMEND
	;;#ASMSTART
	v_dot2_f32_f16 v21, v8, v60, v21
	;;#ASMEND
	;;#ASMSTART
	v_dot2_f32_f16 v17, v5, v75, v17
	;;#ASMEND
	;;#ASMSTART
	v_dot2_f32_f16 v17, v6, v76, v17
	;;#ASMEND
	;;#ASMSTART
	v_dot2_f32_f16 v17, v7, v77, v17
	;;#ASMEND
	;;#ASMSTART
	v_dot2_f32_f16 v17, v8, v78, v17
	;;#ASMEND
	;;#ASMSTART
	v_dot2_f32_f16 v13, v5, v85, v13
	;;#ASMEND
	;;#ASMSTART
	v_dot2_f32_f16 v13, v6, v86, v13
	;;#ASMEND
	;;#ASMSTART
	v_dot2_f32_f16 v13, v7, v87, v13
	;;#ASMEND
	;;#ASMSTART
	v_dot2_f32_f16 v13, v8, v88, v13
	;;#ASMEND
	;;#ASMSTART
	v_dot2_f32_f16 v9, v5, v123, v9
	;;#ASMEND
	;;#ASMSTART
	v_dot2_f32_f16 v9, v6, v124, v9
	;;#ASMEND
	;;#ASMSTART
	v_dot2_f32_f16 v9, v7, v125, v9
	;;#ASMEND
	;;#ASMSTART
	v_dot2_f32_f16 v9, v8, v126, v9
	;;#ASMEND
	ds_read_b128 v[1:4], v74 offset:112
	ds_read_b128 v[5:8], v74 offset:4720
	;; [unrolled: 1-line block ×10, first 2 shown]
	s_waitcnt lgkmcnt(7)
	;;#ASMSTART
	v_dot2_f32_f16 v115, v1, v38, v115
	;;#ASMEND
	;;#ASMSTART
	v_dot2_f32_f16 v115, v2, v39, v115
	;;#ASMEND
	;;#ASMSTART
	v_dot2_f32_f16 v115, v3, v40, v115
	;;#ASMEND
	;;#ASMSTART
	v_dot2_f32_f16 v115, v4, v41, v115
	;;#ASMEND
	s_waitcnt lgkmcnt(6)
	;;#ASMSTART
	v_dot2_f32_f16 v116, v1, v42, v116
	;;#ASMEND
	;;#ASMSTART
	v_dot2_f32_f16 v116, v2, v43, v116
	;;#ASMEND
	;;#ASMSTART
	v_dot2_f32_f16 v116, v3, v44, v116
	;;#ASMEND
	;;#ASMSTART
	v_dot2_f32_f16 v116, v4, v45, v116
	;;#ASMEND
	;; [unrolled: 13-line block ×8, first 2 shown]
	;;#ASMSTART
	v_dot2_f32_f16 v37, v5, v38, v37
	;;#ASMEND
	;;#ASMSTART
	v_dot2_f32_f16 v37, v6, v39, v37
	;;#ASMEND
	;; [unrolled: 3-line block ×26, first 2 shown]
	v_cndmask_b32_e32 v1, v64, v69, vcc
	v_cmp_lt_i32_e32 vcc, v70, v65
	;;#ASMSTART
	v_dot2_f32_f16 v13, v7, v87, v13
	;;#ASMEND
	v_lshlrev_b32_e32 v11, 2, v1
	v_cndmask_b32_e32 v1, v64, v70, vcc
	v_cmp_lt_i32_e32 vcc, v67, v65
	;;#ASMSTART
	v_dot2_f32_f16 v13, v8, v88, v13
	;;#ASMEND
	;;#ASMSTART
	v_dot2_f32_f16 v9, v5, v123, v9
	;;#ASMEND
	v_lshlrev_b32_e32 v14, 2, v1
	v_cndmask_b32_e32 v1, v64, v67, vcc
	v_cmp_lt_i32_e32 vcc, v68, v65
	;;#ASMSTART
	v_dot2_f32_f16 v9, v6, v124, v9
	;;#ASMEND
	v_lshlrev_b32_e32 v15, 2, v1
	v_cndmask_b32_e32 v1, v64, v68, vcc
	v_cmp_lt_i32_e32 vcc, v66, v65
	;;#ASMSTART
	v_dot2_f32_f16 v9, v7, v125, v9
	;;#ASMEND
	v_lshlrev_b32_e32 v16, 2, v1
	v_cndmask_b32_e32 v1, v64, v66, vcc
	;;#ASMSTART
	v_dot2_f32_f16 v9, v8, v126, v9
	;;#ASMEND
	v_lshlrev_b32_e32 v22, 2, v1
	buffer_load_dword v1, off, s[44:47], 0  ; 4-byte Folded Reload
	v_mov_b32_e32 v55, v10
	v_add_u32_e32 v7, s6, v55
	s_waitcnt vmcnt(0)
	v_add_u32_e32 v1, v7, v1
	v_ashrrev_i32_e32 v2, 31, v1
	v_lshlrev_b64 v[1:2], 1, v[1:2]
	v_add_co_u32_e32 v1, vcc, s34, v1
	v_addc_co_u32_e32 v2, vcc, v82, v2, vcc
	global_load_ushort v3, v[1:2], off
	s_waitcnt vmcnt(0)
	v_cvt_f32_f16_e32 v3, v3
	global_load_ushort v1, v[1:2], off offset:64
	v_add_f32_e32 v31, v116, v3
	v_add_f32_e32 v28, v115, v3
	v_add_f32_e32 v3, 0x40051340, v31
	v_add_f32_e32 v4, 0x40051340, v28
	s_waitcnt vmcnt(0)
	v_cvt_f32_f16_e32 v2, v1
	v_add_f32_e32 v32, v33, v2
	v_add_f32_e32 v30, v37, v2
	;; [unrolled: 1-line block ×3, first 2 shown]
	v_max3_f32 v2, v113, v3, v2
	ds_bpermute_b32 v3, v11, v2
	v_add_f32_e32 v1, 0x40051340, v30
	v_max3_f32 v1, v114, v4, v1
	ds_bpermute_b32 v4, v11, v1
	s_waitcnt lgkmcnt(1)
	v_max_f32_e32 v3, v3, v3
	v_max_f32_e32 v2, v2, v3
	ds_bpermute_b32 v3, v14, v2
	s_waitcnt lgkmcnt(1)
	v_max_f32_e32 v4, v4, v4
	v_max_f32_e32 v1, v1, v4
	;; [unrolled: 4-line block ×9, first 2 shown]
	buffer_load_dword v3, off, s[44:47], 0 offset:4 ; 4-byte Folded Reload
	s_waitcnt lgkmcnt(0)
	v_max_f32_e32 v4, v4, v4
	v_max_f32_e32 v1, v1, v4
	s_waitcnt vmcnt(0)
	v_add_u32_e32 v3, v7, v3
	v_ashrrev_i32_e32 v4, 31, v3
	v_lshlrev_b64 v[3:4], 1, v[3:4]
	v_add_co_u32_e32 v3, vcc, s34, v3
	v_addc_co_u32_e32 v4, vcc, v82, v4, vcc
	global_load_ushort v5, v[3:4], off
	s_waitcnt vmcnt(0)
	v_cvt_f32_f16_e32 v5, v5
	global_load_ushort v3, v[3:4], off offset:64
	v_add_f32_e32 v27, v118, v5
	v_add_f32_e32 v33, v117, v5
	;; [unrolled: 1-line block ×4, first 2 shown]
	s_waitcnt vmcnt(0)
	v_cvt_f32_f16_e32 v4, v3
	v_add_f32_e32 v23, v25, v4
	v_add_f32_e32 v34, v29, v4
	v_add_f32_e32 v4, 0x40051340, v23
	v_max3_f32 v4, v109, v5, v4
	ds_bpermute_b32 v5, v11, v4
	v_add_f32_e32 v3, 0x40051340, v34
	v_max3_f32 v3, v111, v6, v3
	ds_bpermute_b32 v6, v11, v3
	s_waitcnt lgkmcnt(1)
	v_max_f32_e32 v5, v5, v5
	v_max_f32_e32 v4, v4, v5
	ds_bpermute_b32 v5, v14, v4
	s_waitcnt lgkmcnt(1)
	v_max_f32_e32 v6, v6, v6
	v_max_f32_e32 v3, v3, v6
	;; [unrolled: 4-line block ×9, first 2 shown]
	buffer_load_dword v5, off, s[44:47], 0 offset:8 ; 4-byte Folded Reload
	s_waitcnt lgkmcnt(0)
	v_max_f32_e32 v6, v6, v6
	v_max_f32_e32 v3, v3, v6
	v_sub_f32_e32 v23, v23, v4
	s_waitcnt vmcnt(0)
	v_add_u32_e32 v5, v7, v5
	v_ashrrev_i32_e32 v6, 31, v5
	v_lshlrev_b64 v[5:6], 1, v[5:6]
	v_add_co_u32_e32 v5, vcc, s34, v5
	v_addc_co_u32_e32 v6, vcc, v82, v6, vcc
	global_load_ushort v8, v[5:6], off
	s_waitcnt vmcnt(0)
	v_cvt_f32_f16_e32 v8, v8
	global_load_ushort v5, v[5:6], off offset:64
	v_add_f32_e32 v25, v120, v8
	v_add_f32_e32 v24, v119, v8
	;; [unrolled: 1-line block ×4, first 2 shown]
	s_waitcnt vmcnt(0)
	v_cvt_f32_f16_e32 v6, v5
	v_add_f32_e32 v19, v17, v6
	v_add_f32_e32 v18, v21, v6
	;; [unrolled: 1-line block ×3, first 2 shown]
	v_max3_f32 v6, v105, v8, v6
	ds_bpermute_b32 v8, v11, v6
	v_add_f32_e32 v5, 0x40051340, v18
	v_max3_f32 v5, v107, v10, v5
	ds_bpermute_b32 v10, v11, v5
	s_waitcnt lgkmcnt(1)
	v_max_f32_e32 v8, v8, v8
	v_max_f32_e32 v6, v6, v8
	ds_bpermute_b32 v8, v14, v6
	s_waitcnt lgkmcnt(1)
	v_max_f32_e32 v10, v10, v10
	v_max_f32_e32 v5, v5, v10
	;; [unrolled: 4-line block ×9, first 2 shown]
	buffer_load_dword v8, off, s[44:47], 0 offset:12 ; 4-byte Folded Reload
	s_waitcnt lgkmcnt(0)
	v_max_f32_e32 v10, v10, v10
	v_max_f32_e32 v5, v5, v10
	v_sub_f32_e32 v24, v24, v5
	v_sub_f32_e32 v18, v18, v5
	;; [unrolled: 1-line block ×4, first 2 shown]
	s_waitcnt vmcnt(0)
	v_add_u32_e32 v7, v7, v8
	v_ashrrev_i32_e32 v8, 31, v7
	v_lshlrev_b64 v[7:8], 1, v[7:8]
	v_add_co_u32_e32 v7, vcc, s34, v7
	v_addc_co_u32_e32 v8, vcc, v82, v8, vcc
	global_load_ushort v10, v[7:8], off
	s_waitcnt vmcnt(0)
	v_cvt_f32_f16_e32 v10, v10
	global_load_ushort v7, v[7:8], off offset:64
	s_waitcnt vmcnt(0)
	s_barrier
	v_add_f32_e32 v26, v121, v10
	v_add_f32_e32 v12, 0x40051340, v26
	v_cvt_f32_f16_e32 v8, v7
	v_add_f32_e32 v20, v13, v8
	v_add_f32_e32 v7, 0x40051340, v20
	v_max3_f32 v7, v103, v12, v7
	ds_bpermute_b32 v12, v11, v7
	s_waitcnt lgkmcnt(0)
	v_max_f32_e32 v12, v12, v12
	v_max_f32_e32 v7, v7, v12
	ds_bpermute_b32 v12, v14, v7
	s_waitcnt lgkmcnt(0)
	v_max_f32_e32 v12, v12, v12
	v_max_f32_e32 v7, v7, v12
	;; [unrolled: 4-line block ×5, first 2 shown]
	v_add_f32_e32 v12, v122, v10
	v_add_f32_e32 v10, v9, v8
	;; [unrolled: 1-line block ×4, first 2 shown]
	v_max3_f32 v8, v101, v13, v8
	ds_bpermute_b32 v9, v11, v8
	v_sub_f32_e32 v13, v114, v1
	v_sub_f32_e32 v26, v26, v7
	;; [unrolled: 1-line block ×3, first 2 shown]
	s_waitcnt lgkmcnt(0)
	v_max_f32_e32 v9, v9, v9
	v_max_f32_e32 v8, v8, v9
	ds_bpermute_b32 v9, v14, v8
	s_waitcnt lgkmcnt(0)
	v_max_f32_e32 v9, v9, v9
	v_max_f32_e32 v8, v8, v9
	ds_bpermute_b32 v9, v15, v8
	;; [unrolled: 4-line block ×4, first 2 shown]
	s_waitcnt lgkmcnt(0)
	v_max_f32_e32 v9, v9, v9
	v_max_f32_e32 v8, v8, v9
	v_sub_f32_e32 v9, v28, v1
	v_mul_f32_e32 v11, 0x3fb8aa3b, v9
	v_fma_f32 v14, v9, s15, -v11
	v_rndne_f32_e32 v15, v11
	v_fmac_f32_e32 v14, 0x32a5705f, v9
	v_sub_f32_e32 v11, v11, v15
	v_add_f32_e32 v11, v11, v14
	v_exp_f32_e32 v11, v11
	v_cvt_i32_f32_e32 v14, v15
	v_cmp_ngt_f32_e32 vcc, s18, v9
	v_sub_f32_e32 v12, v12, v8
	v_sub_f32_e32 v10, v10, v8
	v_ldexp_f32 v11, v11, v14
	v_sub_f32_e32 v14, v30, v1
	v_mul_f32_e32 v15, 0x3fb8aa3b, v14
	v_fma_f32 v16, v14, s15, -v15
	v_rndne_f32_e32 v17, v15
	v_fmac_f32_e32 v16, 0x32a5705f, v14
	v_sub_f32_e32 v15, v15, v17
	v_add_f32_e32 v15, v15, v16
	v_exp_f32_e32 v15, v15
	v_cvt_i32_f32_e32 v16, v17
	v_cndmask_b32_e32 v11, 0, v11, vcc
	v_cmp_nlt_f32_e32 vcc, s19, v9
	v_cndmask_b32_e32 v11, v83, v11, vcc
	v_ldexp_f32 v15, v15, v16
	v_cmp_ngt_f32_e32 vcc, s18, v14
	v_cndmask_b32_e32 v15, 0, v15, vcc
	v_cmp_nlt_f32_e32 vcc, s19, v14
	v_cndmask_b32_e32 v15, v83, v15, vcc
	v_cvt_f16_f32_e32 v9, v11
	v_add_f32_e32 v14, v11, v15
	v_cvt_f16_f32_e32 v11, v15
	v_mul_f32_e32 v15, 0x3fb8aa3b, v13
	v_fma_f32 v16, v13, s15, -v15
	v_rndne_f32_e32 v17, v15
	v_fmac_f32_e32 v16, 0x32a5705f, v13
	v_sub_f32_e32 v15, v15, v17
	v_add_f32_e32 v15, v15, v16
	v_exp_f32_e32 v15, v15
	v_cvt_i32_f32_e32 v16, v17
	v_cmp_ngt_f32_e32 vcc, s18, v13
	v_ldexp_f32 v15, v15, v16
	v_cndmask_b32_e32 v15, 0, v15, vcc
	v_cmp_nlt_f32_e32 vcc, s19, v13
	v_cndmask_b32_e32 v13, v83, v15, vcc
	v_sub_f32_e32 v15, v31, v2
	v_mul_f32_e32 v17, 0x3fb8aa3b, v15
	v_fma_f32 v21, v15, s15, -v17
	v_rndne_f32_e32 v22, v17
	v_fmac_f32_e32 v21, 0x32a5705f, v15
	v_sub_f32_e32 v17, v17, v22
	v_add_f32_e32 v17, v17, v21
	v_exp_f32_e32 v17, v17
	v_cvt_i32_f32_e32 v21, v22
	v_cmp_ngt_f32_e32 vcc, s18, v15
	v_sub_f32_e32 v16, v113, v2
	v_fmac_f32_e32 v14, v112, v13
	v_ldexp_f32 v17, v17, v21
	v_cndmask_b32_e32 v17, 0, v17, vcc
	v_cmp_nlt_f32_e32 vcc, s19, v15
	v_cndmask_b32_e32 v15, v83, v17, vcc
	v_sub_f32_e32 v17, v32, v2
	v_mul_f32_e32 v21, 0x3fb8aa3b, v17
	v_fma_f32 v22, v17, s15, -v21
	v_rndne_f32_e32 v29, v21
	v_fmac_f32_e32 v22, 0x32a5705f, v17
	v_sub_f32_e32 v21, v21, v29
	v_add_f32_e32 v21, v21, v22
	v_exp_f32_e32 v21, v21
	v_cvt_i32_f32_e32 v22, v29
	v_cmp_ngt_f32_e32 vcc, s18, v17
	v_cvt_f16_f32_e32 v28, v15
	v_cvt_f16_f32_e32 v13, v13
	v_ldexp_f32 v21, v21, v22
	v_cndmask_b32_e32 v21, 0, v21, vcc
	v_cmp_nlt_f32_e32 vcc, s19, v17
	v_cndmask_b32_e32 v17, v83, v21, vcc
	v_add_f32_e32 v15, v15, v17
	v_cvt_f16_f32_e32 v29, v17
	v_mul_f32_e32 v17, 0x3fb8aa3b, v16
	v_fma_f32 v21, v16, s15, -v17
	v_rndne_f32_e32 v22, v17
	v_fmac_f32_e32 v21, 0x32a5705f, v16
	v_sub_f32_e32 v17, v17, v22
	v_add_f32_e32 v17, v17, v21
	v_exp_f32_e32 v17, v17
	v_cvt_i32_f32_e32 v21, v22
	v_cmp_ngt_f32_e32 vcc, s18, v16
	v_mul_u32_u24_e32 v13, 0x10001, v13
	v_pk_mul_f16 v13, v99, v13
	v_ldexp_f32 v17, v17, v21
	v_cndmask_b32_e32 v17, 0, v17, vcc
	v_cmp_nlt_f32_e32 vcc, s19, v16
	v_cndmask_b32_e32 v16, v83, v17, vcc
	v_fmac_f32_e32 v15, v110, v16
	v_cvt_f16_f32_e32 v16, v16
	v_sub_f32_e32 v17, v111, v3
	v_mul_u32_u24_e32 v16, 0x10001, v16
	v_pk_mul_f16 v21, v98, v16
	v_sub_f32_e32 v16, v33, v3
	v_mul_f32_e32 v22, 0x3fb8aa3b, v16
	v_fma_f32 v30, v16, s15, -v22
	v_rndne_f32_e32 v31, v22
	v_fmac_f32_e32 v30, 0x32a5705f, v16
	v_sub_f32_e32 v22, v22, v31
	v_add_f32_e32 v22, v22, v30
	v_exp_f32_e32 v22, v22
	v_cvt_i32_f32_e32 v30, v31
	v_cmp_ngt_f32_e32 vcc, s18, v16
	v_ldexp_f32 v22, v22, v30
	v_cndmask_b32_e32 v22, 0, v22, vcc
	v_cmp_nlt_f32_e32 vcc, s19, v16
	v_cndmask_b32_e32 v16, v83, v22, vcc
	v_sub_f32_e32 v22, v34, v3
	v_mul_f32_e32 v31, 0x3fb8aa3b, v22
	v_fma_f32 v32, v22, s15, -v31
	v_rndne_f32_e32 v33, v31
	v_fmac_f32_e32 v32, 0x32a5705f, v22
	v_sub_f32_e32 v31, v31, v33
	v_add_f32_e32 v31, v31, v32
	v_exp_f32_e32 v31, v31
	v_cvt_i32_f32_e32 v32, v33
	v_cmp_ngt_f32_e32 vcc, s18, v22
	v_cvt_f16_f32_e32 v30, v16
	v_ldexp_f32 v31, v31, v32
	v_cndmask_b32_e32 v31, 0, v31, vcc
	v_cmp_nlt_f32_e32 vcc, s19, v22
	v_cndmask_b32_e32 v22, v83, v31, vcc
	v_add_f32_e32 v16, v16, v22
	v_cvt_f16_f32_e32 v31, v22
	v_mul_f32_e32 v22, 0x3fb8aa3b, v17
	v_fma_f32 v32, v17, s15, -v22
	v_rndne_f32_e32 v33, v22
	v_fmac_f32_e32 v32, 0x32a5705f, v17
	v_sub_f32_e32 v22, v22, v33
	v_add_f32_e32 v22, v22, v32
	v_exp_f32_e32 v22, v22
	v_cvt_i32_f32_e32 v32, v33
	v_cmp_ngt_f32_e32 vcc, s18, v17
	v_ldexp_f32 v22, v22, v32
	v_cndmask_b32_e32 v22, 0, v22, vcc
	v_cmp_nlt_f32_e32 vcc, s19, v17
	v_cndmask_b32_e32 v17, v83, v22, vcc
	v_fmac_f32_e32 v16, v108, v17
	v_cvt_f16_f32_e32 v17, v17
	v_sub_f32_e32 v32, v109, v4
	v_mul_u32_u24_e32 v17, 0x10001, v17
	v_pk_mul_f16 v22, v97, v17
	v_sub_f32_e32 v17, v27, v4
	v_mul_f32_e32 v27, 0x3fb8aa3b, v17
	v_fma_f32 v33, v17, s15, -v27
	v_rndne_f32_e32 v34, v27
	v_fmac_f32_e32 v33, 0x32a5705f, v17
	v_sub_f32_e32 v27, v27, v34
	v_add_f32_e32 v27, v27, v33
	v_exp_f32_e32 v27, v27
	v_cvt_i32_f32_e32 v33, v34
	v_cmp_ngt_f32_e32 vcc, s18, v17
	v_ldexp_f32 v27, v27, v33
	v_cndmask_b32_e32 v27, 0, v27, vcc
	v_cmp_nlt_f32_e32 vcc, s19, v17
	v_cndmask_b32_e32 v17, v83, v27, vcc
	v_mul_f32_e32 v27, 0x3fb8aa3b, v23
	v_fma_f32 v34, v23, s15, -v27
	v_rndne_f32_e32 v35, v27
	v_fmac_f32_e32 v34, 0x32a5705f, v23
	v_sub_f32_e32 v27, v27, v35
	v_add_f32_e32 v27, v27, v34
	v_exp_f32_e32 v27, v27
	v_cvt_i32_f32_e32 v34, v35
	v_cmp_ngt_f32_e32 vcc, s18, v23
	v_cvt_f16_f32_e32 v33, v17
	v_ldexp_f32 v27, v27, v34
	v_cndmask_b32_e32 v27, 0, v27, vcc
	v_cmp_nlt_f32_e32 vcc, s19, v23
	v_cndmask_b32_e32 v23, v83, v27, vcc
	v_add_f32_e32 v17, v17, v23
	v_cvt_f16_f32_e32 v36, v23
	v_mul_f32_e32 v23, 0x3fb8aa3b, v32
	v_fma_f32 v27, v32, s15, -v23
	v_rndne_f32_e32 v34, v23
	v_fmac_f32_e32 v27, 0x32a5705f, v32
	v_sub_f32_e32 v23, v23, v34
	v_add_f32_e32 v23, v23, v27
	v_exp_f32_e32 v23, v23
	v_cvt_i32_f32_e32 v27, v34
	v_cmp_ngt_f32_e32 vcc, s18, v32
	v_pack_b32_f16 v33, v30, v33
	v_pack_b32_f16 v30, v11, v29
	v_ldexp_f32 v23, v23, v27
	v_cndmask_b32_e32 v23, 0, v23, vcc
	v_cmp_nlt_f32_e32 vcc, s19, v32
	v_mul_f32_e32 v32, 0x3fb8aa3b, v24
	v_fma_f32 v34, v24, s15, -v32
	v_rndne_f32_e32 v35, v32
	v_fmac_f32_e32 v34, 0x32a5705f, v24
	v_sub_f32_e32 v32, v32, v35
	v_add_f32_e32 v32, v32, v34
	v_exp_f32_e32 v32, v32
	v_cvt_i32_f32_e32 v34, v35
	v_cndmask_b32_e32 v23, v83, v23, vcc
	v_cmp_ngt_f32_e32 vcc, s18, v24
	v_sub_f32_e32 v27, v107, v5
	v_ldexp_f32 v32, v32, v34
	v_mul_f32_e32 v34, 0x3fb8aa3b, v18
	v_fma_f32 v35, v18, s15, -v34
	v_rndne_f32_e32 v37, v34
	v_fmac_f32_e32 v35, 0x32a5705f, v18
	v_sub_f32_e32 v34, v34, v37
	v_add_f32_e32 v34, v34, v35
	v_exp_f32_e32 v34, v34
	v_cvt_i32_f32_e32 v35, v37
	v_cndmask_b32_e32 v32, 0, v32, vcc
	v_cmp_nlt_f32_e32 vcc, s19, v24
	v_cndmask_b32_e32 v24, v83, v32, vcc
	v_ldexp_f32 v34, v34, v35
	v_cmp_ngt_f32_e32 vcc, s18, v18
	v_cndmask_b32_e32 v34, 0, v34, vcc
	v_cmp_nlt_f32_e32 vcc, s19, v18
	v_cndmask_b32_e32 v34, v83, v34, vcc
	v_cvt_f16_f32_e32 v32, v24
	v_add_f32_e32 v18, v24, v34
	v_mul_f32_e32 v24, 0x3fb8aa3b, v27
	v_cvt_f16_f32_e32 v37, v34
	v_fma_f32 v34, v27, s15, -v24
	v_rndne_f32_e32 v35, v24
	v_fmac_f32_e32 v34, 0x32a5705f, v27
	v_sub_f32_e32 v24, v24, v35
	v_add_f32_e32 v24, v24, v34
	v_exp_f32_e32 v24, v24
	v_cvt_i32_f32_e32 v34, v35
	v_cmp_ngt_f32_e32 vcc, s18, v27
	v_pack_b32_f16 v31, v31, v36
	v_fmac_f32_e32 v17, v106, v23
	v_ldexp_f32 v24, v24, v34
	v_mul_f32_e32 v34, 0x3fb8aa3b, v25
	v_fma_f32 v35, v25, s15, -v34
	v_rndne_f32_e32 v38, v34
	v_fmac_f32_e32 v35, 0x32a5705f, v25
	v_sub_f32_e32 v34, v34, v38
	v_add_f32_e32 v34, v34, v35
	v_exp_f32_e32 v34, v34
	v_cvt_i32_f32_e32 v35, v38
	v_cndmask_b32_e32 v24, 0, v24, vcc
	v_cmp_nlt_f32_e32 vcc, s19, v27
	v_cndmask_b32_e32 v24, v83, v24, vcc
	v_ldexp_f32 v34, v34, v35
	v_mul_f32_e32 v35, 0x3fb8aa3b, v19
	v_fma_f32 v38, v19, s15, -v35
	v_rndne_f32_e32 v39, v35
	v_fmac_f32_e32 v38, 0x32a5705f, v19
	v_sub_f32_e32 v35, v35, v39
	v_add_f32_e32 v35, v35, v38
	v_exp_f32_e32 v35, v35
	v_cvt_i32_f32_e32 v38, v39
	v_cmp_ngt_f32_e32 vcc, s18, v25
	v_cndmask_b32_e32 v34, 0, v34, vcc
	v_cmp_nlt_f32_e32 vcc, s19, v25
	v_cndmask_b32_e32 v25, v83, v34, vcc
	v_ldexp_f32 v35, v35, v38
	v_cmp_ngt_f32_e32 vcc, s18, v19
	v_cndmask_b32_e32 v35, 0, v35, vcc
	v_cmp_nlt_f32_e32 vcc, s19, v19
	v_sub_f32_e32 v27, v105, v6
	v_cndmask_b32_e32 v35, v83, v35, vcc
	v_cvt_f16_f32_e32 v34, v25
	v_add_f32_e32 v19, v25, v35
	v_mul_f32_e32 v25, 0x3fb8aa3b, v27
	v_cvt_f16_f32_e32 v38, v35
	v_fma_f32 v35, v27, s15, -v25
	v_rndne_f32_e32 v39, v25
	v_fmac_f32_e32 v35, 0x32a5705f, v27
	v_sub_f32_e32 v25, v25, v39
	v_add_f32_e32 v25, v25, v35
	v_exp_f32_e32 v25, v25
	v_cvt_i32_f32_e32 v35, v39
	v_cmp_ngt_f32_e32 vcc, s18, v27
	v_pack_b32_f16 v34, v32, v34
	v_pack_b32_f16 v32, v9, v28
	v_ldexp_f32 v25, v25, v35
	v_mul_f32_e32 v35, 0x3fb8aa3b, v26
	v_fma_f32 v39, v26, s15, -v35
	v_rndne_f32_e32 v40, v35
	v_fmac_f32_e32 v39, 0x32a5705f, v26
	v_sub_f32_e32 v35, v35, v40
	v_add_f32_e32 v35, v35, v39
	v_exp_f32_e32 v35, v35
	v_cvt_i32_f32_e32 v39, v40
	v_cndmask_b32_e32 v25, 0, v25, vcc
	v_cmp_nlt_f32_e32 vcc, s19, v27
	v_cndmask_b32_e32 v25, v83, v25, vcc
	v_ldexp_f32 v35, v35, v39
	v_mul_f32_e32 v39, 0x3fb8aa3b, v20
	v_fma_f32 v40, v20, s15, -v39
	v_rndne_f32_e32 v41, v39
	v_fmac_f32_e32 v40, 0x32a5705f, v20
	v_sub_f32_e32 v39, v39, v41
	v_add_f32_e32 v39, v39, v40
	v_exp_f32_e32 v39, v39
	v_cvt_i32_f32_e32 v40, v41
	v_cmp_ngt_f32_e32 vcc, s18, v26
	v_cndmask_b32_e32 v35, 0, v35, vcc
	v_cmp_nlt_f32_e32 vcc, s19, v26
	v_cndmask_b32_e32 v26, v83, v35, vcc
	v_ldexp_f32 v39, v39, v40
	v_cmp_ngt_f32_e32 vcc, s18, v20
	v_cndmask_b32_e32 v39, 0, v39, vcc
	v_cmp_nlt_f32_e32 vcc, s19, v20
	v_sub_f32_e32 v27, v103, v7
	v_cndmask_b32_e32 v39, v83, v39, vcc
	v_cvt_f16_f32_e32 v35, v26
	v_add_f32_e32 v20, v26, v39
	v_mul_f32_e32 v26, 0x3fb8aa3b, v27
	v_fma_f32 v40, v27, s15, -v26
	v_rndne_f32_e32 v41, v26
	v_fmac_f32_e32 v40, 0x32a5705f, v27
	v_sub_f32_e32 v26, v26, v41
	v_add_f32_e32 v26, v26, v40
	v_exp_f32_e32 v26, v26
	v_cvt_i32_f32_e32 v40, v41
	v_cmp_ngt_f32_e32 vcc, s18, v27
	v_cvt_f16_f32_e32 v39, v39
	v_cvt_f16_f32_e32 v23, v23
	v_ldexp_f32 v26, v26, v40
	v_mul_f32_e32 v40, 0x3fb8aa3b, v12
	v_fma_f32 v41, v12, s15, -v40
	v_rndne_f32_e32 v42, v40
	v_fmac_f32_e32 v41, 0x32a5705f, v12
	v_sub_f32_e32 v40, v40, v42
	v_add_f32_e32 v40, v40, v41
	v_exp_f32_e32 v40, v40
	v_cvt_i32_f32_e32 v41, v42
	v_cndmask_b32_e32 v26, 0, v26, vcc
	v_cmp_nlt_f32_e32 vcc, s19, v27
	v_cndmask_b32_e32 v26, v83, v26, vcc
	v_ldexp_f32 v40, v40, v41
	v_mul_f32_e32 v41, 0x3fb8aa3b, v10
	v_fma_f32 v42, v10, s15, -v41
	v_rndne_f32_e32 v43, v41
	v_fmac_f32_e32 v42, 0x32a5705f, v10
	v_sub_f32_e32 v41, v41, v43
	v_add_f32_e32 v41, v41, v42
	v_exp_f32_e32 v41, v41
	v_cvt_i32_f32_e32 v42, v43
	v_cmp_ngt_f32_e32 vcc, s18, v12
	v_cndmask_b32_e32 v40, 0, v40, vcc
	v_cmp_nlt_f32_e32 vcc, s19, v12
	v_cndmask_b32_e32 v12, v83, v40, vcc
	v_ldexp_f32 v41, v41, v42
	v_cmp_ngt_f32_e32 vcc, s18, v10
	v_sub_f32_e32 v27, v101, v8
	v_cndmask_b32_e32 v41, 0, v41, vcc
	v_cmp_nlt_f32_e32 vcc, s19, v10
	v_cndmask_b32_e32 v10, v83, v41, vcc
	v_mul_f32_e32 v41, 0x3fb8aa3b, v27
	v_fma_f32 v42, v27, s15, -v41
	v_rndne_f32_e32 v43, v41
	v_fmac_f32_e32 v42, 0x32a5705f, v27
	v_sub_f32_e32 v41, v41, v43
	v_add_f32_e32 v41, v41, v42
	v_exp_f32_e32 v41, v41
	v_cvt_i32_f32_e32 v42, v43
	v_cvt_f16_f32_e32 v40, v12
	v_add_f32_e32 v12, v12, v10
	v_cvt_f16_f32_e32 v10, v10
	v_ldexp_f32 v41, v41, v42
	v_cmp_ngt_f32_e32 vcc, s18, v27
	v_cndmask_b32_e32 v41, 0, v41, vcc
	v_cmp_nlt_f32_e32 vcc, s19, v27
	v_cndmask_b32_e32 v27, v83, v41, vcc
	v_mov_b32_e32 v41, v63
	v_mov_b32_e32 v63, v12
	v_cvt_f16_f32_e32 v12, v27
	v_pack_b32_f16 v35, v35, v40
	ds_write_b128 v84, v[32:35]
	v_pack_b32_f16 v33, v39, v10
	v_add_co_u32_e32 v9, vcc, s25, v61
	v_mov_b32_e32 v10, s26
	v_addc_co_u32_e32 v10, vcc, v10, v62, vcc
	v_add_co_u32_e32 v9, vcc, v9, v81
	v_mul_u32_u24_e32 v12, 0x10001, v12
	v_addc_co_u32_e32 v10, vcc, 0, v10, vcc
	v_fmac_f32_e32 v63, v41, v27
	v_pk_mul_f16 v27, v92, v12
	v_add_co_u32_e32 v11, vcc, s25, v47
	v_mov_b32_e32 v12, s26
	v_addc_co_u32_e32 v12, vcc, v12, v48, vcc
	v_add_co_u32_e32 v28, vcc, v11, v81
	v_addc_co_u32_e32 v29, vcc, 0, v12, vcc
	global_load_dwordx4 v[9:12], v[9:10], off
	v_pack_b32_f16 v32, v37, v38
	ds_write_b128 v84, v[30:33] offset:512
	v_fmac_f32_e32 v18, v104, v24
	v_cvt_f16_f32_e32 v24, v24
	v_fmac_f32_e32 v19, v102, v25
	v_cvt_f16_f32_e32 v25, v25
	v_mul_u32_u24_e32 v23, 0x10001, v23
	v_mul_u32_u24_e32 v24, 0x10001, v24
	v_fmac_f32_e32 v20, v100, v26
	v_mul_u32_u24_e32 v25, 0x10001, v25
	v_cvt_f16_f32_e32 v26, v26
	v_pk_mul_f16 v23, v96, v23
	v_pk_mul_f16 v24, v95, v24
	;; [unrolled: 1-line block ×3, first 2 shown]
	v_mul_u32_u24_e32 v26, 0x10001, v26
	v_pk_mul_f16 v26, v93, v26
	s_waitcnt vmcnt(0)
	ds_write_b128 v80, v[9:12]
	global_load_dwordx4 v[9:12], v[28:29], off
	v_add_u32_e32 v28, 0x1000, v80
	s_waitcnt vmcnt(0)
	ds_write_b128 v28, v[9:12]
	s_waitcnt lgkmcnt(0)
	s_barrier
	ds_read2_b32 v[40:41], v71 offset1:32
	ds_read_b128 v[9:12], v79
	ds_read_b128 v[28:31], v79 offset:16
	ds_read_b128 v[32:35], v79 offset:32
	;; [unrolled: 1-line block ×3, first 2 shown]
	s_waitcnt lgkmcnt(3)
	v_mul_u32_u24_sdwa v42, v9, s24 dst_sel:DWORD dst_unused:UNUSED_PAD src0_sel:WORD_0 src1_sel:DWORD
	v_mul_u32_u24_sdwa v9, v9, s24 dst_sel:DWORD dst_unused:UNUSED_PAD src0_sel:WORD_1 src1_sel:DWORD
	v_mul_u32_u24_sdwa v43, v10, s24 dst_sel:DWORD dst_unused:UNUSED_PAD src0_sel:WORD_0 src1_sel:DWORD
	v_mul_u32_u24_sdwa v10, v10, s24 dst_sel:DWORD dst_unused:UNUSED_PAD src0_sel:WORD_1 src1_sel:DWORD
	;; [unrolled: 2-line block ×4, first 2 shown]
	v_pk_fma_f16 v13, v40, v42, v13
	v_pk_fma_f16 v9, v40, v9, v21
	;; [unrolled: 1-line block ×7, first 2 shown]
	s_waitcnt lgkmcnt(2)
	v_mul_u32_u24_sdwa v24, v28, s24 dst_sel:DWORD dst_unused:UNUSED_PAD src0_sel:WORD_0 src1_sel:DWORD
	v_mul_u32_u24_sdwa v25, v28, s24 dst_sel:DWORD dst_unused:UNUSED_PAD src0_sel:WORD_1 src1_sel:DWORD
	v_mul_u32_u24_sdwa v27, v29, s24 dst_sel:DWORD dst_unused:UNUSED_PAD src0_sel:WORD_1 src1_sel:DWORD
	v_pk_fma_f16 v13, v41, v24, v13
	v_pk_fma_f16 v24, v41, v25, v9
	;; [unrolled: 1-line block ×3, first 2 shown]
	ds_read2_b32 v[9:10], v71 offset0:64 offset1:96
	v_pk_fma_f16 v23, v40, v45, v26
	v_mul_u32_u24_sdwa v26, v29, s24 dst_sel:DWORD dst_unused:UNUSED_PAD src0_sel:WORD_0 src1_sel:DWORD
	v_mul_u32_u24_sdwa v28, v30, s24 dst_sel:DWORD dst_unused:UNUSED_PAD src0_sel:WORD_0 src1_sel:DWORD
	v_mul_u32_u24_sdwa v29, v30, s24 dst_sel:DWORD dst_unused:UNUSED_PAD src0_sel:WORD_1 src1_sel:DWORD
	v_mul_u32_u24_sdwa v30, v31, s24 dst_sel:DWORD dst_unused:UNUSED_PAD src0_sel:WORD_0 src1_sel:DWORD
	v_mul_u32_u24_sdwa v31, v31, s24 dst_sel:DWORD dst_unused:UNUSED_PAD src0_sel:WORD_1 src1_sel:DWORD
	v_pk_fma_f16 v21, v41, v26, v21
	v_pk_fma_f16 v22, v41, v28, v22
	;; [unrolled: 1-line block ×5, first 2 shown]
	s_waitcnt lgkmcnt(2)
	v_mul_u32_u24_sdwa v26, v32, s24 dst_sel:DWORD dst_unused:UNUSED_PAD src0_sel:WORD_0 src1_sel:DWORD
	v_mul_u32_u24_sdwa v27, v32, s24 dst_sel:DWORD dst_unused:UNUSED_PAD src0_sel:WORD_1 src1_sel:DWORD
	v_mul_u32_u24_sdwa v28, v33, s24 dst_sel:DWORD dst_unused:UNUSED_PAD src0_sel:WORD_0 src1_sel:DWORD
	v_mul_u32_u24_sdwa v29, v33, s24 dst_sel:DWORD dst_unused:UNUSED_PAD src0_sel:WORD_1 src1_sel:DWORD
	;; [unrolled: 2-line block ×4, first 2 shown]
	s_waitcnt lgkmcnt(0)
	v_pk_fma_f16 v13, v9, v26, v13
	v_pk_fma_f16 v24, v9, v27, v24
	;; [unrolled: 1-line block ×8, first 2 shown]
	v_mul_u32_u24_sdwa v12, v36, s24 dst_sel:DWORD dst_unused:UNUSED_PAD src0_sel:WORD_0 src1_sel:DWORD
	v_mul_u32_u24_sdwa v26, v36, s24 dst_sel:DWORD dst_unused:UNUSED_PAD src0_sel:WORD_1 src1_sel:DWORD
	v_mul_u32_u24_sdwa v27, v37, s24 dst_sel:DWORD dst_unused:UNUSED_PAD src0_sel:WORD_0 src1_sel:DWORD
	v_mul_u32_u24_sdwa v28, v37, s24 dst_sel:DWORD dst_unused:UNUSED_PAD src0_sel:WORD_1 src1_sel:DWORD
	;; [unrolled: 2-line block ×4, first 2 shown]
	v_pk_fma_f16 v12, v10, v12, v13
	v_pk_fma_f16 v13, v10, v26, v24
	;; [unrolled: 1-line block ×8, first 2 shown]
	ds_read2_b32 v[9:10], v71 offset0:128 offset1:160
	ds_read_b128 v[21:24], v79 offset:64
	v_add_u32_e32 v34, 0x400, v71
	s_waitcnt lgkmcnt(0)
	v_mul_u32_u24_sdwa v30, v21, s24 dst_sel:DWORD dst_unused:UNUSED_PAD src0_sel:WORD_0 src1_sel:DWORD
	v_mul_u32_u24_sdwa v21, v21, s24 dst_sel:DWORD dst_unused:UNUSED_PAD src0_sel:WORD_1 src1_sel:DWORD
	v_mul_u32_u24_sdwa v31, v22, s24 dst_sel:DWORD dst_unused:UNUSED_PAD src0_sel:WORD_0 src1_sel:DWORD
	v_mul_u32_u24_sdwa v22, v22, s24 dst_sel:DWORD dst_unused:UNUSED_PAD src0_sel:WORD_1 src1_sel:DWORD
	;; [unrolled: 2-line block ×4, first 2 shown]
	v_pk_fma_f16 v12, v9, v30, v12
	v_pk_fma_f16 v13, v9, v21, v13
	;; [unrolled: 1-line block ×8, first 2 shown]
	ds_read_b128 v[21:24], v79 offset:80
	s_waitcnt lgkmcnt(0)
	v_mul_u32_u24_sdwa v29, v21, s24 dst_sel:DWORD dst_unused:UNUSED_PAD src0_sel:WORD_0 src1_sel:DWORD
	v_mul_u32_u24_sdwa v21, v21, s24 dst_sel:DWORD dst_unused:UNUSED_PAD src0_sel:WORD_1 src1_sel:DWORD
	v_mul_u32_u24_sdwa v30, v22, s24 dst_sel:DWORD dst_unused:UNUSED_PAD src0_sel:WORD_0 src1_sel:DWORD
	v_mul_u32_u24_sdwa v22, v22, s24 dst_sel:DWORD dst_unused:UNUSED_PAD src0_sel:WORD_1 src1_sel:DWORD
	;; [unrolled: 2-line block ×4, first 2 shown]
	v_pk_fma_f16 v29, v10, v29, v12
	v_pk_fma_f16 v13, v10, v21, v13
	;; [unrolled: 1-line block ×8, first 2 shown]
	ds_read2_b32 v[21:22], v71 offset0:192 offset1:224
	ds_read_b128 v[9:12], v79 offset:96
	s_waitcnt lgkmcnt(0)
	v_mul_u32_u24_sdwa v30, v9, s24 dst_sel:DWORD dst_unused:UNUSED_PAD src0_sel:WORD_0 src1_sel:DWORD
	v_mul_u32_u24_sdwa v9, v9, s24 dst_sel:DWORD dst_unused:UNUSED_PAD src0_sel:WORD_1 src1_sel:DWORD
	v_mul_u32_u24_sdwa v31, v10, s24 dst_sel:DWORD dst_unused:UNUSED_PAD src0_sel:WORD_0 src1_sel:DWORD
	v_mul_u32_u24_sdwa v10, v10, s24 dst_sel:DWORD dst_unused:UNUSED_PAD src0_sel:WORD_1 src1_sel:DWORD
	;; [unrolled: 2-line block ×4, first 2 shown]
	v_pk_fma_f16 v29, v21, v30, v29
	v_pk_fma_f16 v13, v21, v9, v13
	;; [unrolled: 1-line block ×8, first 2 shown]
	ds_read_b128 v[9:12], v79 offset:112
	s_waitcnt lgkmcnt(0)
	v_mul_u32_u24_sdwa v24, v9, s24 dst_sel:DWORD dst_unused:UNUSED_PAD src0_sel:WORD_0 src1_sel:DWORD
	v_mul_u32_u24_sdwa v9, v9, s24 dst_sel:DWORD dst_unused:UNUSED_PAD src0_sel:WORD_1 src1_sel:DWORD
	v_mul_u32_u24_sdwa v30, v10, s24 dst_sel:DWORD dst_unused:UNUSED_PAD src0_sel:WORD_0 src1_sel:DWORD
	v_mul_u32_u24_sdwa v10, v10, s24 dst_sel:DWORD dst_unused:UNUSED_PAD src0_sel:WORD_1 src1_sel:DWORD
	;; [unrolled: 2-line block ×4, first 2 shown]
	v_pk_fma_f16 v24, v22, v24, v29
	v_pk_fma_f16 v13, v22, v9, v13
	;; [unrolled: 1-line block ×8, first 2 shown]
	ds_read2_b32 v[21:22], v34 offset1:32
	ds_read_b128 v[9:12], v79 offset:128
	s_waitcnt lgkmcnt(0)
	v_mul_u32_u24_sdwa v30, v9, s24 dst_sel:DWORD dst_unused:UNUSED_PAD src0_sel:WORD_0 src1_sel:DWORD
	v_mul_u32_u24_sdwa v9, v9, s24 dst_sel:DWORD dst_unused:UNUSED_PAD src0_sel:WORD_1 src1_sel:DWORD
	v_mul_u32_u24_sdwa v31, v10, s24 dst_sel:DWORD dst_unused:UNUSED_PAD src0_sel:WORD_0 src1_sel:DWORD
	v_mul_u32_u24_sdwa v10, v10, s24 dst_sel:DWORD dst_unused:UNUSED_PAD src0_sel:WORD_1 src1_sel:DWORD
	v_mul_u32_u24_sdwa v32, v11, s24 dst_sel:DWORD dst_unused:UNUSED_PAD src0_sel:WORD_0 src1_sel:DWORD
	v_mul_u32_u24_sdwa v11, v11, s24 dst_sel:DWORD dst_unused:UNUSED_PAD src0_sel:WORD_1 src1_sel:DWORD
	v_mul_u32_u24_sdwa v33, v12, s24 dst_sel:DWORD dst_unused:UNUSED_PAD src0_sel:WORD_0 src1_sel:DWORD
	v_mul_u32_u24_sdwa v12, v12, s24 dst_sel:DWORD dst_unused:UNUSED_PAD src0_sel:WORD_1 src1_sel:DWORD
	v_pk_fma_f16 v24, v21, v30, v24
	v_pk_fma_f16 v13, v21, v9, v13
	v_pk_fma_f16 v26, v21, v31, v26
	v_pk_fma_f16 v25, v21, v10, v25
	v_pk_fma_f16 v27, v21, v32, v27
	v_pk_fma_f16 v23, v21, v11, v23
	v_pk_fma_f16 v28, v21, v33, v28
	v_pk_fma_f16 v21, v21, v12, v29
	ds_read_b128 v[9:12], v79 offset:144
	s_waitcnt lgkmcnt(0)
	v_mul_u32_u24_sdwa v29, v9, s24 dst_sel:DWORD dst_unused:UNUSED_PAD src0_sel:WORD_0 src1_sel:DWORD
	v_mul_u32_u24_sdwa v9, v9, s24 dst_sel:DWORD dst_unused:UNUSED_PAD src0_sel:WORD_1 src1_sel:DWORD
	v_mul_u32_u24_sdwa v30, v10, s24 dst_sel:DWORD dst_unused:UNUSED_PAD src0_sel:WORD_0 src1_sel:DWORD
	v_mul_u32_u24_sdwa v10, v10, s24 dst_sel:DWORD dst_unused:UNUSED_PAD src0_sel:WORD_1 src1_sel:DWORD
	v_mul_u32_u24_sdwa v31, v11, s24 dst_sel:DWORD dst_unused:UNUSED_PAD src0_sel:WORD_0 src1_sel:DWORD
	v_mul_u32_u24_sdwa v11, v11, s24 dst_sel:DWORD dst_unused:UNUSED_PAD src0_sel:WORD_1 src1_sel:DWORD
	v_mul_u32_u24_sdwa v32, v12, s24 dst_sel:DWORD dst_unused:UNUSED_PAD src0_sel:WORD_0 src1_sel:DWORD
	v_mul_u32_u24_sdwa v12, v12, s24 dst_sel:DWORD dst_unused:UNUSED_PAD src0_sel:WORD_1 src1_sel:DWORD
	v_pk_fma_f16 v24, v22, v29, v24
	v_pk_fma_f16 v13, v22, v9, v13
	v_pk_fma_f16 v26, v22, v30, v26
	v_pk_fma_f16 v25, v22, v10, v25
	v_pk_fma_f16 v27, v22, v31, v27
	v_pk_fma_f16 v23, v22, v11, v23
	v_pk_fma_f16 v28, v22, v32, v28
	v_pk_fma_f16 v29, v22, v12, v21
	ds_read2_b32 v[21:22], v34 offset0:64 offset1:96
	ds_read_b128 v[9:12], v79 offset:160
	s_waitcnt lgkmcnt(0)
	v_mul_u32_u24_sdwa v30, v9, s24 dst_sel:DWORD dst_unused:UNUSED_PAD src0_sel:WORD_0 src1_sel:DWORD
	v_mul_u32_u24_sdwa v9, v9, s24 dst_sel:DWORD dst_unused:UNUSED_PAD src0_sel:WORD_1 src1_sel:DWORD
	v_mul_u32_u24_sdwa v31, v10, s24 dst_sel:DWORD dst_unused:UNUSED_PAD src0_sel:WORD_0 src1_sel:DWORD
	v_mul_u32_u24_sdwa v10, v10, s24 dst_sel:DWORD dst_unused:UNUSED_PAD src0_sel:WORD_1 src1_sel:DWORD
	v_mul_u32_u24_sdwa v32, v11, s24 dst_sel:DWORD dst_unused:UNUSED_PAD src0_sel:WORD_0 src1_sel:DWORD
	v_mul_u32_u24_sdwa v11, v11, s24 dst_sel:DWORD dst_unused:UNUSED_PAD src0_sel:WORD_1 src1_sel:DWORD
	v_mul_u32_u24_sdwa v33, v12, s24 dst_sel:DWORD dst_unused:UNUSED_PAD src0_sel:WORD_0 src1_sel:DWORD
	v_mul_u32_u24_sdwa v12, v12, s24 dst_sel:DWORD dst_unused:UNUSED_PAD src0_sel:WORD_1 src1_sel:DWORD
	v_pk_fma_f16 v24, v21, v30, v24
	v_pk_fma_f16 v13, v21, v9, v13
	v_pk_fma_f16 v26, v21, v31, v26
	v_pk_fma_f16 v25, v21, v10, v25
	v_pk_fma_f16 v27, v21, v32, v27
	v_pk_fma_f16 v23, v21, v11, v23
	v_pk_fma_f16 v28, v21, v33, v28
	v_pk_fma_f16 v21, v21, v12, v29
	ds_read_b128 v[9:12], v79 offset:176
	s_waitcnt lgkmcnt(0)
	v_mul_u32_u24_sdwa v29, v9, s24 dst_sel:DWORD dst_unused:UNUSED_PAD src0_sel:WORD_0 src1_sel:DWORD
	v_mul_u32_u24_sdwa v9, v9, s24 dst_sel:DWORD dst_unused:UNUSED_PAD src0_sel:WORD_1 src1_sel:DWORD
	v_mul_u32_u24_sdwa v30, v10, s24 dst_sel:DWORD dst_unused:UNUSED_PAD src0_sel:WORD_0 src1_sel:DWORD
	v_mul_u32_u24_sdwa v10, v10, s24 dst_sel:DWORD dst_unused:UNUSED_PAD src0_sel:WORD_1 src1_sel:DWORD
	v_mul_u32_u24_sdwa v31, v11, s24 dst_sel:DWORD dst_unused:UNUSED_PAD src0_sel:WORD_0 src1_sel:DWORD
	v_mul_u32_u24_sdwa v11, v11, s24 dst_sel:DWORD dst_unused:UNUSED_PAD src0_sel:WORD_1 src1_sel:DWORD
	v_mul_u32_u24_sdwa v32, v12, s24 dst_sel:DWORD dst_unused:UNUSED_PAD src0_sel:WORD_0 src1_sel:DWORD
	v_mul_u32_u24_sdwa v12, v12, s24 dst_sel:DWORD dst_unused:UNUSED_PAD src0_sel:WORD_1 src1_sel:DWORD
	v_pk_fma_f16 v24, v22, v29, v24
	v_pk_fma_f16 v13, v22, v9, v13
	v_pk_fma_f16 v26, v22, v30, v26
	v_pk_fma_f16 v25, v22, v10, v25
	v_pk_fma_f16 v27, v22, v31, v27
	v_pk_fma_f16 v23, v22, v11, v23
	v_pk_fma_f16 v28, v22, v32, v28
	v_pk_fma_f16 v29, v22, v12, v21
	ds_read2_b32 v[21:22], v34 offset0:128 offset1:160
	;; [unrolled: 37-line block ×3, first 2 shown]
	ds_read_b128 v[9:12], v79 offset:224
	v_add_u32_e32 v34, 0xc00, v71
	s_waitcnt lgkmcnt(0)
	v_mul_u32_u24_sdwa v30, v9, s24 dst_sel:DWORD dst_unused:UNUSED_PAD src0_sel:WORD_0 src1_sel:DWORD
	v_mul_u32_u24_sdwa v9, v9, s24 dst_sel:DWORD dst_unused:UNUSED_PAD src0_sel:WORD_1 src1_sel:DWORD
	v_mul_u32_u24_sdwa v31, v10, s24 dst_sel:DWORD dst_unused:UNUSED_PAD src0_sel:WORD_0 src1_sel:DWORD
	v_mul_u32_u24_sdwa v10, v10, s24 dst_sel:DWORD dst_unused:UNUSED_PAD src0_sel:WORD_1 src1_sel:DWORD
	;; [unrolled: 2-line block ×4, first 2 shown]
	v_pk_fma_f16 v24, v21, v30, v24
	v_pk_fma_f16 v13, v21, v9, v13
	;; [unrolled: 1-line block ×8, first 2 shown]
	ds_read_b128 v[9:12], v79 offset:240
	s_waitcnt lgkmcnt(0)
	v_mul_u32_u24_sdwa v29, v9, s24 dst_sel:DWORD dst_unused:UNUSED_PAD src0_sel:WORD_0 src1_sel:DWORD
	v_mul_u32_u24_sdwa v9, v9, s24 dst_sel:DWORD dst_unused:UNUSED_PAD src0_sel:WORD_1 src1_sel:DWORD
	v_mul_u32_u24_sdwa v30, v10, s24 dst_sel:DWORD dst_unused:UNUSED_PAD src0_sel:WORD_0 src1_sel:DWORD
	v_mul_u32_u24_sdwa v10, v10, s24 dst_sel:DWORD dst_unused:UNUSED_PAD src0_sel:WORD_1 src1_sel:DWORD
	;; [unrolled: 2-line block ×4, first 2 shown]
	v_pk_fma_f16 v24, v22, v29, v24
	v_pk_fma_f16 v13, v22, v9, v13
	;; [unrolled: 1-line block ×8, first 2 shown]
	ds_read2_b32 v[21:22], v46 offset1:32
	ds_read_b128 v[9:12], v79 offset:256
	s_waitcnt lgkmcnt(0)
	v_mul_u32_u24_sdwa v30, v9, s24 dst_sel:DWORD dst_unused:UNUSED_PAD src0_sel:WORD_0 src1_sel:DWORD
	v_mul_u32_u24_sdwa v9, v9, s24 dst_sel:DWORD dst_unused:UNUSED_PAD src0_sel:WORD_1 src1_sel:DWORD
	v_mul_u32_u24_sdwa v31, v10, s24 dst_sel:DWORD dst_unused:UNUSED_PAD src0_sel:WORD_0 src1_sel:DWORD
	v_mul_u32_u24_sdwa v10, v10, s24 dst_sel:DWORD dst_unused:UNUSED_PAD src0_sel:WORD_1 src1_sel:DWORD
	v_mul_u32_u24_sdwa v32, v11, s24 dst_sel:DWORD dst_unused:UNUSED_PAD src0_sel:WORD_0 src1_sel:DWORD
	v_mul_u32_u24_sdwa v11, v11, s24 dst_sel:DWORD dst_unused:UNUSED_PAD src0_sel:WORD_1 src1_sel:DWORD
	v_mul_u32_u24_sdwa v33, v12, s24 dst_sel:DWORD dst_unused:UNUSED_PAD src0_sel:WORD_0 src1_sel:DWORD
	v_mul_u32_u24_sdwa v12, v12, s24 dst_sel:DWORD dst_unused:UNUSED_PAD src0_sel:WORD_1 src1_sel:DWORD
	v_pk_fma_f16 v24, v21, v30, v24
	v_pk_fma_f16 v13, v21, v9, v13
	v_pk_fma_f16 v26, v21, v31, v26
	v_pk_fma_f16 v25, v21, v10, v25
	v_pk_fma_f16 v27, v21, v32, v27
	v_pk_fma_f16 v23, v21, v11, v23
	v_pk_fma_f16 v28, v21, v33, v28
	v_pk_fma_f16 v21, v21, v12, v29
	ds_read_b128 v[9:12], v79 offset:272
	s_waitcnt lgkmcnt(0)
	v_mul_u32_u24_sdwa v29, v9, s24 dst_sel:DWORD dst_unused:UNUSED_PAD src0_sel:WORD_0 src1_sel:DWORD
	v_mul_u32_u24_sdwa v9, v9, s24 dst_sel:DWORD dst_unused:UNUSED_PAD src0_sel:WORD_1 src1_sel:DWORD
	v_mul_u32_u24_sdwa v30, v10, s24 dst_sel:DWORD dst_unused:UNUSED_PAD src0_sel:WORD_0 src1_sel:DWORD
	v_mul_u32_u24_sdwa v10, v10, s24 dst_sel:DWORD dst_unused:UNUSED_PAD src0_sel:WORD_1 src1_sel:DWORD
	v_mul_u32_u24_sdwa v31, v11, s24 dst_sel:DWORD dst_unused:UNUSED_PAD src0_sel:WORD_0 src1_sel:DWORD
	v_mul_u32_u24_sdwa v11, v11, s24 dst_sel:DWORD dst_unused:UNUSED_PAD src0_sel:WORD_1 src1_sel:DWORD
	v_mul_u32_u24_sdwa v32, v12, s24 dst_sel:DWORD dst_unused:UNUSED_PAD src0_sel:WORD_0 src1_sel:DWORD
	v_mul_u32_u24_sdwa v12, v12, s24 dst_sel:DWORD dst_unused:UNUSED_PAD src0_sel:WORD_1 src1_sel:DWORD
	v_pk_fma_f16 v24, v22, v29, v24
	v_pk_fma_f16 v13, v22, v9, v13
	v_pk_fma_f16 v26, v22, v30, v26
	v_pk_fma_f16 v25, v22, v10, v25
	v_pk_fma_f16 v27, v22, v31, v27
	v_pk_fma_f16 v23, v22, v11, v23
	v_pk_fma_f16 v28, v22, v32, v28
	v_pk_fma_f16 v29, v22, v12, v21
	ds_read2_b32 v[21:22], v46 offset0:64 offset1:96
	ds_read_b128 v[9:12], v79 offset:288
	s_waitcnt lgkmcnt(0)
	v_mul_u32_u24_sdwa v30, v9, s24 dst_sel:DWORD dst_unused:UNUSED_PAD src0_sel:WORD_0 src1_sel:DWORD
	v_mul_u32_u24_sdwa v9, v9, s24 dst_sel:DWORD dst_unused:UNUSED_PAD src0_sel:WORD_1 src1_sel:DWORD
	v_mul_u32_u24_sdwa v31, v10, s24 dst_sel:DWORD dst_unused:UNUSED_PAD src0_sel:WORD_0 src1_sel:DWORD
	v_mul_u32_u24_sdwa v10, v10, s24 dst_sel:DWORD dst_unused:UNUSED_PAD src0_sel:WORD_1 src1_sel:DWORD
	v_mul_u32_u24_sdwa v32, v11, s24 dst_sel:DWORD dst_unused:UNUSED_PAD src0_sel:WORD_0 src1_sel:DWORD
	v_mul_u32_u24_sdwa v11, v11, s24 dst_sel:DWORD dst_unused:UNUSED_PAD src0_sel:WORD_1 src1_sel:DWORD
	v_mul_u32_u24_sdwa v33, v12, s24 dst_sel:DWORD dst_unused:UNUSED_PAD src0_sel:WORD_0 src1_sel:DWORD
	v_mul_u32_u24_sdwa v12, v12, s24 dst_sel:DWORD dst_unused:UNUSED_PAD src0_sel:WORD_1 src1_sel:DWORD
	v_pk_fma_f16 v24, v21, v30, v24
	v_pk_fma_f16 v13, v21, v9, v13
	v_pk_fma_f16 v26, v21, v31, v26
	v_pk_fma_f16 v25, v21, v10, v25
	v_pk_fma_f16 v27, v21, v32, v27
	v_pk_fma_f16 v23, v21, v11, v23
	v_pk_fma_f16 v28, v21, v33, v28
	v_pk_fma_f16 v21, v21, v12, v29
	ds_read_b128 v[9:12], v79 offset:304
	s_waitcnt lgkmcnt(0)
	v_mul_u32_u24_sdwa v29, v9, s24 dst_sel:DWORD dst_unused:UNUSED_PAD src0_sel:WORD_0 src1_sel:DWORD
	v_mul_u32_u24_sdwa v9, v9, s24 dst_sel:DWORD dst_unused:UNUSED_PAD src0_sel:WORD_1 src1_sel:DWORD
	v_mul_u32_u24_sdwa v30, v10, s24 dst_sel:DWORD dst_unused:UNUSED_PAD src0_sel:WORD_0 src1_sel:DWORD
	v_mul_u32_u24_sdwa v10, v10, s24 dst_sel:DWORD dst_unused:UNUSED_PAD src0_sel:WORD_1 src1_sel:DWORD
	v_mul_u32_u24_sdwa v31, v11, s24 dst_sel:DWORD dst_unused:UNUSED_PAD src0_sel:WORD_0 src1_sel:DWORD
	v_mul_u32_u24_sdwa v11, v11, s24 dst_sel:DWORD dst_unused:UNUSED_PAD src0_sel:WORD_1 src1_sel:DWORD
	v_mul_u32_u24_sdwa v32, v12, s24 dst_sel:DWORD dst_unused:UNUSED_PAD src0_sel:WORD_0 src1_sel:DWORD
	v_mul_u32_u24_sdwa v12, v12, s24 dst_sel:DWORD dst_unused:UNUSED_PAD src0_sel:WORD_1 src1_sel:DWORD
	v_pk_fma_f16 v24, v22, v29, v24
	v_pk_fma_f16 v13, v22, v9, v13
	v_pk_fma_f16 v26, v22, v30, v26
	v_pk_fma_f16 v25, v22, v10, v25
	v_pk_fma_f16 v27, v22, v31, v27
	v_pk_fma_f16 v23, v22, v11, v23
	v_pk_fma_f16 v28, v22, v32, v28
	v_pk_fma_f16 v29, v22, v12, v21
	ds_read2_b32 v[21:22], v46 offset0:128 offset1:160
	;; [unrolled: 37-line block ×3, first 2 shown]
	ds_read_b128 v[9:12], v79 offset:352
	s_waitcnt lgkmcnt(0)
	v_mul_u32_u24_sdwa v30, v9, s24 dst_sel:DWORD dst_unused:UNUSED_PAD src0_sel:WORD_0 src1_sel:DWORD
	v_mul_u32_u24_sdwa v9, v9, s24 dst_sel:DWORD dst_unused:UNUSED_PAD src0_sel:WORD_1 src1_sel:DWORD
	v_mul_u32_u24_sdwa v31, v10, s24 dst_sel:DWORD dst_unused:UNUSED_PAD src0_sel:WORD_0 src1_sel:DWORD
	v_mul_u32_u24_sdwa v10, v10, s24 dst_sel:DWORD dst_unused:UNUSED_PAD src0_sel:WORD_1 src1_sel:DWORD
	;; [unrolled: 2-line block ×4, first 2 shown]
	v_pk_fma_f16 v24, v21, v30, v24
	v_pk_fma_f16 v13, v21, v9, v13
	v_pk_fma_f16 v26, v21, v31, v26
	v_pk_fma_f16 v25, v21, v10, v25
	v_pk_fma_f16 v27, v21, v32, v27
	v_pk_fma_f16 v23, v21, v11, v23
	v_pk_fma_f16 v28, v21, v33, v28
	v_pk_fma_f16 v21, v21, v12, v29
	ds_read_b128 v[9:12], v79 offset:368
	s_waitcnt lgkmcnt(0)
	v_mul_u32_u24_sdwa v29, v9, s24 dst_sel:DWORD dst_unused:UNUSED_PAD src0_sel:WORD_0 src1_sel:DWORD
	v_mul_u32_u24_sdwa v9, v9, s24 dst_sel:DWORD dst_unused:UNUSED_PAD src0_sel:WORD_1 src1_sel:DWORD
	v_mul_u32_u24_sdwa v30, v10, s24 dst_sel:DWORD dst_unused:UNUSED_PAD src0_sel:WORD_0 src1_sel:DWORD
	v_mul_u32_u24_sdwa v10, v10, s24 dst_sel:DWORD dst_unused:UNUSED_PAD src0_sel:WORD_1 src1_sel:DWORD
	;; [unrolled: 2-line block ×4, first 2 shown]
	v_pk_fma_f16 v24, v22, v29, v24
	v_pk_fma_f16 v13, v22, v9, v13
	;; [unrolled: 1-line block ×8, first 2 shown]
	ds_read2_b32 v[21:22], v34 offset1:32
	ds_read_b128 v[9:12], v79 offset:384
	s_waitcnt lgkmcnt(0)
	v_mul_u32_u24_sdwa v30, v9, s24 dst_sel:DWORD dst_unused:UNUSED_PAD src0_sel:WORD_0 src1_sel:DWORD
	v_mul_u32_u24_sdwa v9, v9, s24 dst_sel:DWORD dst_unused:UNUSED_PAD src0_sel:WORD_1 src1_sel:DWORD
	v_mul_u32_u24_sdwa v31, v10, s24 dst_sel:DWORD dst_unused:UNUSED_PAD src0_sel:WORD_0 src1_sel:DWORD
	v_mul_u32_u24_sdwa v10, v10, s24 dst_sel:DWORD dst_unused:UNUSED_PAD src0_sel:WORD_1 src1_sel:DWORD
	v_mul_u32_u24_sdwa v32, v11, s24 dst_sel:DWORD dst_unused:UNUSED_PAD src0_sel:WORD_0 src1_sel:DWORD
	v_mul_u32_u24_sdwa v11, v11, s24 dst_sel:DWORD dst_unused:UNUSED_PAD src0_sel:WORD_1 src1_sel:DWORD
	v_mul_u32_u24_sdwa v33, v12, s24 dst_sel:DWORD dst_unused:UNUSED_PAD src0_sel:WORD_0 src1_sel:DWORD
	v_mul_u32_u24_sdwa v12, v12, s24 dst_sel:DWORD dst_unused:UNUSED_PAD src0_sel:WORD_1 src1_sel:DWORD
	v_pk_fma_f16 v24, v21, v30, v24
	v_pk_fma_f16 v13, v21, v9, v13
	v_pk_fma_f16 v26, v21, v31, v26
	v_pk_fma_f16 v25, v21, v10, v25
	v_pk_fma_f16 v27, v21, v32, v27
	v_pk_fma_f16 v23, v21, v11, v23
	v_pk_fma_f16 v28, v21, v33, v28
	v_pk_fma_f16 v21, v21, v12, v29
	ds_read_b128 v[9:12], v79 offset:400
	s_waitcnt lgkmcnt(0)
	v_mul_u32_u24_sdwa v29, v9, s24 dst_sel:DWORD dst_unused:UNUSED_PAD src0_sel:WORD_0 src1_sel:DWORD
	v_mul_u32_u24_sdwa v9, v9, s24 dst_sel:DWORD dst_unused:UNUSED_PAD src0_sel:WORD_1 src1_sel:DWORD
	v_mul_u32_u24_sdwa v30, v10, s24 dst_sel:DWORD dst_unused:UNUSED_PAD src0_sel:WORD_0 src1_sel:DWORD
	v_mul_u32_u24_sdwa v10, v10, s24 dst_sel:DWORD dst_unused:UNUSED_PAD src0_sel:WORD_1 src1_sel:DWORD
	v_mul_u32_u24_sdwa v31, v11, s24 dst_sel:DWORD dst_unused:UNUSED_PAD src0_sel:WORD_0 src1_sel:DWORD
	v_mul_u32_u24_sdwa v11, v11, s24 dst_sel:DWORD dst_unused:UNUSED_PAD src0_sel:WORD_1 src1_sel:DWORD
	v_mul_u32_u24_sdwa v32, v12, s24 dst_sel:DWORD dst_unused:UNUSED_PAD src0_sel:WORD_0 src1_sel:DWORD
	v_mul_u32_u24_sdwa v12, v12, s24 dst_sel:DWORD dst_unused:UNUSED_PAD src0_sel:WORD_1 src1_sel:DWORD
	v_pk_fma_f16 v24, v22, v29, v24
	v_pk_fma_f16 v13, v22, v9, v13
	v_pk_fma_f16 v26, v22, v30, v26
	v_pk_fma_f16 v25, v22, v10, v25
	v_pk_fma_f16 v27, v22, v31, v27
	v_pk_fma_f16 v23, v22, v11, v23
	v_pk_fma_f16 v28, v22, v32, v28
	v_pk_fma_f16 v29, v22, v12, v21
	ds_read2_b32 v[21:22], v34 offset0:64 offset1:96
	ds_read_b128 v[9:12], v79 offset:416
	s_waitcnt lgkmcnt(0)
	v_mul_u32_u24_sdwa v30, v9, s24 dst_sel:DWORD dst_unused:UNUSED_PAD src0_sel:WORD_0 src1_sel:DWORD
	v_mul_u32_u24_sdwa v9, v9, s24 dst_sel:DWORD dst_unused:UNUSED_PAD src0_sel:WORD_1 src1_sel:DWORD
	v_mul_u32_u24_sdwa v31, v10, s24 dst_sel:DWORD dst_unused:UNUSED_PAD src0_sel:WORD_0 src1_sel:DWORD
	v_mul_u32_u24_sdwa v10, v10, s24 dst_sel:DWORD dst_unused:UNUSED_PAD src0_sel:WORD_1 src1_sel:DWORD
	v_mul_u32_u24_sdwa v32, v11, s24 dst_sel:DWORD dst_unused:UNUSED_PAD src0_sel:WORD_0 src1_sel:DWORD
	v_mul_u32_u24_sdwa v11, v11, s24 dst_sel:DWORD dst_unused:UNUSED_PAD src0_sel:WORD_1 src1_sel:DWORD
	v_mul_u32_u24_sdwa v33, v12, s24 dst_sel:DWORD dst_unused:UNUSED_PAD src0_sel:WORD_0 src1_sel:DWORD
	v_mul_u32_u24_sdwa v12, v12, s24 dst_sel:DWORD dst_unused:UNUSED_PAD src0_sel:WORD_1 src1_sel:DWORD
	v_pk_fma_f16 v24, v21, v30, v24
	v_pk_fma_f16 v13, v21, v9, v13
	v_pk_fma_f16 v26, v21, v31, v26
	v_pk_fma_f16 v25, v21, v10, v25
	v_pk_fma_f16 v27, v21, v32, v27
	v_pk_fma_f16 v23, v21, v11, v23
	v_pk_fma_f16 v28, v21, v33, v28
	v_pk_fma_f16 v21, v21, v12, v29
	ds_read_b128 v[9:12], v79 offset:432
	s_waitcnt lgkmcnt(0)
	v_mul_u32_u24_sdwa v29, v9, s24 dst_sel:DWORD dst_unused:UNUSED_PAD src0_sel:WORD_0 src1_sel:DWORD
	v_mul_u32_u24_sdwa v9, v9, s24 dst_sel:DWORD dst_unused:UNUSED_PAD src0_sel:WORD_1 src1_sel:DWORD
	v_mul_u32_u24_sdwa v30, v10, s24 dst_sel:DWORD dst_unused:UNUSED_PAD src0_sel:WORD_0 src1_sel:DWORD
	v_mul_u32_u24_sdwa v10, v10, s24 dst_sel:DWORD dst_unused:UNUSED_PAD src0_sel:WORD_1 src1_sel:DWORD
	v_mul_u32_u24_sdwa v31, v11, s24 dst_sel:DWORD dst_unused:UNUSED_PAD src0_sel:WORD_0 src1_sel:DWORD
	v_mul_u32_u24_sdwa v11, v11, s24 dst_sel:DWORD dst_unused:UNUSED_PAD src0_sel:WORD_1 src1_sel:DWORD
	v_mul_u32_u24_sdwa v32, v12, s24 dst_sel:DWORD dst_unused:UNUSED_PAD src0_sel:WORD_0 src1_sel:DWORD
	v_mul_u32_u24_sdwa v12, v12, s24 dst_sel:DWORD dst_unused:UNUSED_PAD src0_sel:WORD_1 src1_sel:DWORD
	v_pk_fma_f16 v24, v22, v29, v24
	v_pk_fma_f16 v13, v22, v9, v13
	v_pk_fma_f16 v26, v22, v30, v26
	v_pk_fma_f16 v25, v22, v10, v25
	v_pk_fma_f16 v27, v22, v31, v27
	v_pk_fma_f16 v23, v22, v11, v23
	v_pk_fma_f16 v28, v22, v32, v28
	v_pk_fma_f16 v29, v22, v12, v21
	ds_read2_b32 v[21:22], v34 offset0:128 offset1:160
	;; [unrolled: 37-line block ×3, first 2 shown]
	ds_read_b128 v[9:12], v79 offset:480
	v_add_u32_e32 v34, 0x1000, v71
	s_waitcnt lgkmcnt(0)
	v_mul_u32_u24_sdwa v30, v9, s24 dst_sel:DWORD dst_unused:UNUSED_PAD src0_sel:WORD_0 src1_sel:DWORD
	v_mul_u32_u24_sdwa v9, v9, s24 dst_sel:DWORD dst_unused:UNUSED_PAD src0_sel:WORD_1 src1_sel:DWORD
	v_mul_u32_u24_sdwa v31, v10, s24 dst_sel:DWORD dst_unused:UNUSED_PAD src0_sel:WORD_0 src1_sel:DWORD
	v_mul_u32_u24_sdwa v10, v10, s24 dst_sel:DWORD dst_unused:UNUSED_PAD src0_sel:WORD_1 src1_sel:DWORD
	;; [unrolled: 2-line block ×4, first 2 shown]
	v_pk_fma_f16 v24, v21, v30, v24
	v_pk_fma_f16 v13, v21, v9, v13
	;; [unrolled: 1-line block ×8, first 2 shown]
	ds_read_b128 v[9:12], v79 offset:496
	s_waitcnt lgkmcnt(0)
	v_mul_u32_u24_sdwa v29, v9, s24 dst_sel:DWORD dst_unused:UNUSED_PAD src0_sel:WORD_0 src1_sel:DWORD
	v_mul_u32_u24_sdwa v9, v9, s24 dst_sel:DWORD dst_unused:UNUSED_PAD src0_sel:WORD_1 src1_sel:DWORD
	v_mul_u32_u24_sdwa v30, v10, s24 dst_sel:DWORD dst_unused:UNUSED_PAD src0_sel:WORD_0 src1_sel:DWORD
	v_mul_u32_u24_sdwa v10, v10, s24 dst_sel:DWORD dst_unused:UNUSED_PAD src0_sel:WORD_1 src1_sel:DWORD
	;; [unrolled: 2-line block ×4, first 2 shown]
	v_pk_fma_f16 v24, v22, v29, v24
	v_pk_fma_f16 v13, v22, v9, v13
	;; [unrolled: 1-line block ×8, first 2 shown]
	ds_read2_b32 v[21:22], v34 offset1:32
	ds_read_b128 v[9:12], v79 offset:512
	s_waitcnt lgkmcnt(0)
	v_mul_u32_u24_sdwa v30, v9, s24 dst_sel:DWORD dst_unused:UNUSED_PAD src0_sel:WORD_0 src1_sel:DWORD
	v_mul_u32_u24_sdwa v9, v9, s24 dst_sel:DWORD dst_unused:UNUSED_PAD src0_sel:WORD_1 src1_sel:DWORD
	v_mul_u32_u24_sdwa v31, v10, s24 dst_sel:DWORD dst_unused:UNUSED_PAD src0_sel:WORD_0 src1_sel:DWORD
	v_mul_u32_u24_sdwa v10, v10, s24 dst_sel:DWORD dst_unused:UNUSED_PAD src0_sel:WORD_1 src1_sel:DWORD
	v_mul_u32_u24_sdwa v32, v11, s24 dst_sel:DWORD dst_unused:UNUSED_PAD src0_sel:WORD_0 src1_sel:DWORD
	v_mul_u32_u24_sdwa v11, v11, s24 dst_sel:DWORD dst_unused:UNUSED_PAD src0_sel:WORD_1 src1_sel:DWORD
	v_mul_u32_u24_sdwa v33, v12, s24 dst_sel:DWORD dst_unused:UNUSED_PAD src0_sel:WORD_0 src1_sel:DWORD
	v_mul_u32_u24_sdwa v12, v12, s24 dst_sel:DWORD dst_unused:UNUSED_PAD src0_sel:WORD_1 src1_sel:DWORD
	v_pk_fma_f16 v24, v21, v30, v24
	v_pk_fma_f16 v13, v21, v9, v13
	v_pk_fma_f16 v26, v21, v31, v26
	v_pk_fma_f16 v25, v21, v10, v25
	v_pk_fma_f16 v27, v21, v32, v27
	v_pk_fma_f16 v23, v21, v11, v23
	v_pk_fma_f16 v28, v21, v33, v28
	v_pk_fma_f16 v21, v21, v12, v29
	ds_read_b128 v[9:12], v79 offset:528
	s_waitcnt lgkmcnt(0)
	v_mul_u32_u24_sdwa v29, v9, s24 dst_sel:DWORD dst_unused:UNUSED_PAD src0_sel:WORD_0 src1_sel:DWORD
	v_mul_u32_u24_sdwa v9, v9, s24 dst_sel:DWORD dst_unused:UNUSED_PAD src0_sel:WORD_1 src1_sel:DWORD
	v_mul_u32_u24_sdwa v30, v10, s24 dst_sel:DWORD dst_unused:UNUSED_PAD src0_sel:WORD_0 src1_sel:DWORD
	v_mul_u32_u24_sdwa v10, v10, s24 dst_sel:DWORD dst_unused:UNUSED_PAD src0_sel:WORD_1 src1_sel:DWORD
	v_mul_u32_u24_sdwa v31, v11, s24 dst_sel:DWORD dst_unused:UNUSED_PAD src0_sel:WORD_0 src1_sel:DWORD
	v_mul_u32_u24_sdwa v11, v11, s24 dst_sel:DWORD dst_unused:UNUSED_PAD src0_sel:WORD_1 src1_sel:DWORD
	v_mul_u32_u24_sdwa v32, v12, s24 dst_sel:DWORD dst_unused:UNUSED_PAD src0_sel:WORD_0 src1_sel:DWORD
	v_mul_u32_u24_sdwa v12, v12, s24 dst_sel:DWORD dst_unused:UNUSED_PAD src0_sel:WORD_1 src1_sel:DWORD
	v_pk_fma_f16 v24, v22, v29, v24
	v_pk_fma_f16 v13, v22, v9, v13
	v_pk_fma_f16 v26, v22, v30, v26
	v_pk_fma_f16 v25, v22, v10, v25
	v_pk_fma_f16 v27, v22, v31, v27
	v_pk_fma_f16 v23, v22, v11, v23
	v_pk_fma_f16 v28, v22, v32, v28
	v_pk_fma_f16 v29, v22, v12, v21
	ds_read2_b32 v[21:22], v34 offset0:64 offset1:96
	ds_read_b128 v[9:12], v79 offset:544
	s_waitcnt lgkmcnt(0)
	v_mul_u32_u24_sdwa v30, v9, s24 dst_sel:DWORD dst_unused:UNUSED_PAD src0_sel:WORD_0 src1_sel:DWORD
	v_mul_u32_u24_sdwa v9, v9, s24 dst_sel:DWORD dst_unused:UNUSED_PAD src0_sel:WORD_1 src1_sel:DWORD
	v_mul_u32_u24_sdwa v31, v10, s24 dst_sel:DWORD dst_unused:UNUSED_PAD src0_sel:WORD_0 src1_sel:DWORD
	v_mul_u32_u24_sdwa v10, v10, s24 dst_sel:DWORD dst_unused:UNUSED_PAD src0_sel:WORD_1 src1_sel:DWORD
	v_mul_u32_u24_sdwa v32, v11, s24 dst_sel:DWORD dst_unused:UNUSED_PAD src0_sel:WORD_0 src1_sel:DWORD
	v_mul_u32_u24_sdwa v11, v11, s24 dst_sel:DWORD dst_unused:UNUSED_PAD src0_sel:WORD_1 src1_sel:DWORD
	v_mul_u32_u24_sdwa v33, v12, s24 dst_sel:DWORD dst_unused:UNUSED_PAD src0_sel:WORD_0 src1_sel:DWORD
	v_mul_u32_u24_sdwa v12, v12, s24 dst_sel:DWORD dst_unused:UNUSED_PAD src0_sel:WORD_1 src1_sel:DWORD
	v_pk_fma_f16 v24, v21, v30, v24
	v_pk_fma_f16 v13, v21, v9, v13
	v_pk_fma_f16 v26, v21, v31, v26
	v_pk_fma_f16 v25, v21, v10, v25
	v_pk_fma_f16 v27, v21, v32, v27
	v_pk_fma_f16 v23, v21, v11, v23
	v_pk_fma_f16 v28, v21, v33, v28
	v_pk_fma_f16 v21, v21, v12, v29
	ds_read_b128 v[9:12], v79 offset:560
	s_waitcnt lgkmcnt(0)
	v_mul_u32_u24_sdwa v29, v9, s24 dst_sel:DWORD dst_unused:UNUSED_PAD src0_sel:WORD_0 src1_sel:DWORD
	v_mul_u32_u24_sdwa v9, v9, s24 dst_sel:DWORD dst_unused:UNUSED_PAD src0_sel:WORD_1 src1_sel:DWORD
	v_mul_u32_u24_sdwa v30, v10, s24 dst_sel:DWORD dst_unused:UNUSED_PAD src0_sel:WORD_0 src1_sel:DWORD
	v_mul_u32_u24_sdwa v10, v10, s24 dst_sel:DWORD dst_unused:UNUSED_PAD src0_sel:WORD_1 src1_sel:DWORD
	v_mul_u32_u24_sdwa v31, v11, s24 dst_sel:DWORD dst_unused:UNUSED_PAD src0_sel:WORD_0 src1_sel:DWORD
	v_mul_u32_u24_sdwa v11, v11, s24 dst_sel:DWORD dst_unused:UNUSED_PAD src0_sel:WORD_1 src1_sel:DWORD
	v_mul_u32_u24_sdwa v32, v12, s24 dst_sel:DWORD dst_unused:UNUSED_PAD src0_sel:WORD_0 src1_sel:DWORD
	v_mul_u32_u24_sdwa v12, v12, s24 dst_sel:DWORD dst_unused:UNUSED_PAD src0_sel:WORD_1 src1_sel:DWORD
	v_pk_fma_f16 v24, v22, v29, v24
	v_pk_fma_f16 v13, v22, v9, v13
	v_pk_fma_f16 v26, v22, v30, v26
	v_pk_fma_f16 v25, v22, v10, v25
	v_pk_fma_f16 v27, v22, v31, v27
	v_pk_fma_f16 v23, v22, v11, v23
	v_pk_fma_f16 v28, v22, v32, v28
	v_pk_fma_f16 v29, v22, v12, v21
	ds_read2_b32 v[21:22], v34 offset0:128 offset1:160
	;; [unrolled: 37-line block ×3, first 2 shown]
	ds_read_b128 v[9:12], v79 offset:608
	s_waitcnt lgkmcnt(0)
	v_mul_u32_u24_sdwa v30, v9, s24 dst_sel:DWORD dst_unused:UNUSED_PAD src0_sel:WORD_0 src1_sel:DWORD
	v_mul_u32_u24_sdwa v9, v9, s24 dst_sel:DWORD dst_unused:UNUSED_PAD src0_sel:WORD_1 src1_sel:DWORD
	v_mul_u32_u24_sdwa v31, v10, s24 dst_sel:DWORD dst_unused:UNUSED_PAD src0_sel:WORD_0 src1_sel:DWORD
	v_mul_u32_u24_sdwa v10, v10, s24 dst_sel:DWORD dst_unused:UNUSED_PAD src0_sel:WORD_1 src1_sel:DWORD
	v_mul_u32_u24_sdwa v32, v11, s24 dst_sel:DWORD dst_unused:UNUSED_PAD src0_sel:WORD_0 src1_sel:DWORD
	v_mul_u32_u24_sdwa v11, v11, s24 dst_sel:DWORD dst_unused:UNUSED_PAD src0_sel:WORD_1 src1_sel:DWORD
	v_mul_u32_u24_sdwa v33, v12, s24 dst_sel:DWORD dst_unused:UNUSED_PAD src0_sel:WORD_0 src1_sel:DWORD
	v_mul_u32_u24_sdwa v12, v12, s24 dst_sel:DWORD dst_unused:UNUSED_PAD src0_sel:WORD_1 src1_sel:DWORD
	v_pk_fma_f16 v24, v21, v30, v24
	v_pk_fma_f16 v13, v21, v9, v13
	;; [unrolled: 1-line block ×8, first 2 shown]
	ds_read_b128 v[9:12], v79 offset:624
	s_waitcnt lgkmcnt(0)
	v_mul_u32_u24_sdwa v29, v9, s24 dst_sel:DWORD dst_unused:UNUSED_PAD src0_sel:WORD_0 src1_sel:DWORD
	v_mul_u32_u24_sdwa v9, v9, s24 dst_sel:DWORD dst_unused:UNUSED_PAD src0_sel:WORD_1 src1_sel:DWORD
	v_mul_u32_u24_sdwa v30, v10, s24 dst_sel:DWORD dst_unused:UNUSED_PAD src0_sel:WORD_0 src1_sel:DWORD
	v_mul_u32_u24_sdwa v10, v10, s24 dst_sel:DWORD dst_unused:UNUSED_PAD src0_sel:WORD_1 src1_sel:DWORD
	;; [unrolled: 2-line block ×4, first 2 shown]
	v_pk_fma_f16 v24, v22, v29, v24
	v_pk_fma_f16 v13, v22, v9, v13
	;; [unrolled: 1-line block ×8, first 2 shown]
	ds_read2_b32 v[21:22], v127 offset1:32
	ds_read_b128 v[9:12], v79 offset:640
	s_waitcnt lgkmcnt(0)
	v_mul_u32_u24_sdwa v30, v9, s24 dst_sel:DWORD dst_unused:UNUSED_PAD src0_sel:WORD_0 src1_sel:DWORD
	v_mul_u32_u24_sdwa v9, v9, s24 dst_sel:DWORD dst_unused:UNUSED_PAD src0_sel:WORD_1 src1_sel:DWORD
	v_mul_u32_u24_sdwa v31, v10, s24 dst_sel:DWORD dst_unused:UNUSED_PAD src0_sel:WORD_0 src1_sel:DWORD
	v_mul_u32_u24_sdwa v10, v10, s24 dst_sel:DWORD dst_unused:UNUSED_PAD src0_sel:WORD_1 src1_sel:DWORD
	v_mul_u32_u24_sdwa v32, v11, s24 dst_sel:DWORD dst_unused:UNUSED_PAD src0_sel:WORD_0 src1_sel:DWORD
	v_mul_u32_u24_sdwa v11, v11, s24 dst_sel:DWORD dst_unused:UNUSED_PAD src0_sel:WORD_1 src1_sel:DWORD
	v_mul_u32_u24_sdwa v33, v12, s24 dst_sel:DWORD dst_unused:UNUSED_PAD src0_sel:WORD_0 src1_sel:DWORD
	v_mul_u32_u24_sdwa v12, v12, s24 dst_sel:DWORD dst_unused:UNUSED_PAD src0_sel:WORD_1 src1_sel:DWORD
	v_pk_fma_f16 v24, v21, v30, v24
	v_pk_fma_f16 v13, v21, v9, v13
	v_pk_fma_f16 v26, v21, v31, v26
	v_pk_fma_f16 v25, v21, v10, v25
	v_pk_fma_f16 v27, v21, v32, v27
	v_pk_fma_f16 v23, v21, v11, v23
	v_pk_fma_f16 v28, v21, v33, v28
	v_pk_fma_f16 v21, v21, v12, v29
	ds_read_b128 v[9:12], v79 offset:656
	s_waitcnt lgkmcnt(0)
	v_mul_u32_u24_sdwa v29, v9, s24 dst_sel:DWORD dst_unused:UNUSED_PAD src0_sel:WORD_0 src1_sel:DWORD
	v_mul_u32_u24_sdwa v9, v9, s24 dst_sel:DWORD dst_unused:UNUSED_PAD src0_sel:WORD_1 src1_sel:DWORD
	v_mul_u32_u24_sdwa v30, v10, s24 dst_sel:DWORD dst_unused:UNUSED_PAD src0_sel:WORD_0 src1_sel:DWORD
	v_mul_u32_u24_sdwa v10, v10, s24 dst_sel:DWORD dst_unused:UNUSED_PAD src0_sel:WORD_1 src1_sel:DWORD
	v_mul_u32_u24_sdwa v31, v11, s24 dst_sel:DWORD dst_unused:UNUSED_PAD src0_sel:WORD_0 src1_sel:DWORD
	v_mul_u32_u24_sdwa v11, v11, s24 dst_sel:DWORD dst_unused:UNUSED_PAD src0_sel:WORD_1 src1_sel:DWORD
	v_mul_u32_u24_sdwa v32, v12, s24 dst_sel:DWORD dst_unused:UNUSED_PAD src0_sel:WORD_0 src1_sel:DWORD
	v_mul_u32_u24_sdwa v12, v12, s24 dst_sel:DWORD dst_unused:UNUSED_PAD src0_sel:WORD_1 src1_sel:DWORD
	v_pk_fma_f16 v24, v22, v29, v24
	v_pk_fma_f16 v13, v22, v9, v13
	v_pk_fma_f16 v26, v22, v30, v26
	v_pk_fma_f16 v25, v22, v10, v25
	v_pk_fma_f16 v27, v22, v31, v27
	v_pk_fma_f16 v23, v22, v11, v23
	v_pk_fma_f16 v28, v22, v32, v28
	v_pk_fma_f16 v29, v22, v12, v21
	ds_read2_b32 v[21:22], v127 offset0:64 offset1:96
	ds_read_b128 v[9:12], v79 offset:672
	s_waitcnt lgkmcnt(0)
	v_mul_u32_u24_sdwa v30, v9, s24 dst_sel:DWORD dst_unused:UNUSED_PAD src0_sel:WORD_0 src1_sel:DWORD
	v_mul_u32_u24_sdwa v9, v9, s24 dst_sel:DWORD dst_unused:UNUSED_PAD src0_sel:WORD_1 src1_sel:DWORD
	v_mul_u32_u24_sdwa v31, v10, s24 dst_sel:DWORD dst_unused:UNUSED_PAD src0_sel:WORD_0 src1_sel:DWORD
	v_mul_u32_u24_sdwa v10, v10, s24 dst_sel:DWORD dst_unused:UNUSED_PAD src0_sel:WORD_1 src1_sel:DWORD
	v_mul_u32_u24_sdwa v32, v11, s24 dst_sel:DWORD dst_unused:UNUSED_PAD src0_sel:WORD_0 src1_sel:DWORD
	v_mul_u32_u24_sdwa v11, v11, s24 dst_sel:DWORD dst_unused:UNUSED_PAD src0_sel:WORD_1 src1_sel:DWORD
	v_mul_u32_u24_sdwa v33, v12, s24 dst_sel:DWORD dst_unused:UNUSED_PAD src0_sel:WORD_0 src1_sel:DWORD
	v_mul_u32_u24_sdwa v12, v12, s24 dst_sel:DWORD dst_unused:UNUSED_PAD src0_sel:WORD_1 src1_sel:DWORD
	v_pk_fma_f16 v24, v21, v30, v24
	v_pk_fma_f16 v13, v21, v9, v13
	v_pk_fma_f16 v26, v21, v31, v26
	v_pk_fma_f16 v25, v21, v10, v25
	v_pk_fma_f16 v27, v21, v32, v27
	v_pk_fma_f16 v23, v21, v11, v23
	v_pk_fma_f16 v28, v21, v33, v28
	v_pk_fma_f16 v21, v21, v12, v29
	ds_read_b128 v[9:12], v79 offset:688
	s_waitcnt lgkmcnt(0)
	v_mul_u32_u24_sdwa v29, v9, s24 dst_sel:DWORD dst_unused:UNUSED_PAD src0_sel:WORD_0 src1_sel:DWORD
	v_mul_u32_u24_sdwa v9, v9, s24 dst_sel:DWORD dst_unused:UNUSED_PAD src0_sel:WORD_1 src1_sel:DWORD
	v_mul_u32_u24_sdwa v30, v10, s24 dst_sel:DWORD dst_unused:UNUSED_PAD src0_sel:WORD_0 src1_sel:DWORD
	v_mul_u32_u24_sdwa v10, v10, s24 dst_sel:DWORD dst_unused:UNUSED_PAD src0_sel:WORD_1 src1_sel:DWORD
	v_mul_u32_u24_sdwa v31, v11, s24 dst_sel:DWORD dst_unused:UNUSED_PAD src0_sel:WORD_0 src1_sel:DWORD
	v_mul_u32_u24_sdwa v11, v11, s24 dst_sel:DWORD dst_unused:UNUSED_PAD src0_sel:WORD_1 src1_sel:DWORD
	v_mul_u32_u24_sdwa v32, v12, s24 dst_sel:DWORD dst_unused:UNUSED_PAD src0_sel:WORD_0 src1_sel:DWORD
	v_mul_u32_u24_sdwa v12, v12, s24 dst_sel:DWORD dst_unused:UNUSED_PAD src0_sel:WORD_1 src1_sel:DWORD
	v_pk_fma_f16 v24, v22, v29, v24
	v_pk_fma_f16 v13, v22, v9, v13
	v_pk_fma_f16 v26, v22, v30, v26
	v_pk_fma_f16 v25, v22, v10, v25
	v_pk_fma_f16 v27, v22, v31, v27
	v_pk_fma_f16 v23, v22, v11, v23
	v_pk_fma_f16 v28, v22, v32, v28
	v_pk_fma_f16 v29, v22, v12, v21
	ds_read2_b32 v[21:22], v127 offset0:128 offset1:160
	;; [unrolled: 37-line block ×3, first 2 shown]
	ds_read_b128 v[9:12], v79 offset:736
	s_waitcnt lgkmcnt(0)
	v_mul_u32_u24_sdwa v30, v9, s24 dst_sel:DWORD dst_unused:UNUSED_PAD src0_sel:WORD_0 src1_sel:DWORD
	v_mul_u32_u24_sdwa v9, v9, s24 dst_sel:DWORD dst_unused:UNUSED_PAD src0_sel:WORD_1 src1_sel:DWORD
	v_mul_u32_u24_sdwa v31, v10, s24 dst_sel:DWORD dst_unused:UNUSED_PAD src0_sel:WORD_0 src1_sel:DWORD
	v_mul_u32_u24_sdwa v10, v10, s24 dst_sel:DWORD dst_unused:UNUSED_PAD src0_sel:WORD_1 src1_sel:DWORD
	;; [unrolled: 2-line block ×4, first 2 shown]
	v_pk_fma_f16 v24, v21, v30, v24
	v_pk_fma_f16 v13, v21, v9, v13
	;; [unrolled: 1-line block ×8, first 2 shown]
	ds_read_b128 v[9:12], v79 offset:752
	s_waitcnt lgkmcnt(0)
	v_mul_u32_u24_sdwa v29, v9, s24 dst_sel:DWORD dst_unused:UNUSED_PAD src0_sel:WORD_0 src1_sel:DWORD
	v_mul_u32_u24_sdwa v9, v9, s24 dst_sel:DWORD dst_unused:UNUSED_PAD src0_sel:WORD_1 src1_sel:DWORD
	v_mul_u32_u24_sdwa v30, v10, s24 dst_sel:DWORD dst_unused:UNUSED_PAD src0_sel:WORD_0 src1_sel:DWORD
	v_mul_u32_u24_sdwa v10, v10, s24 dst_sel:DWORD dst_unused:UNUSED_PAD src0_sel:WORD_1 src1_sel:DWORD
	;; [unrolled: 2-line block ×4, first 2 shown]
	v_pk_fma_f16 v24, v22, v29, v24
	v_pk_fma_f16 v13, v22, v9, v13
	;; [unrolled: 1-line block ×8, first 2 shown]
	ds_read2_b32 v[21:22], v0 offset1:32
	ds_read_b128 v[9:12], v79 offset:768
	s_waitcnt lgkmcnt(0)
	v_mul_u32_u24_sdwa v30, v9, s24 dst_sel:DWORD dst_unused:UNUSED_PAD src0_sel:WORD_0 src1_sel:DWORD
	v_mul_u32_u24_sdwa v9, v9, s24 dst_sel:DWORD dst_unused:UNUSED_PAD src0_sel:WORD_1 src1_sel:DWORD
	v_mul_u32_u24_sdwa v31, v10, s24 dst_sel:DWORD dst_unused:UNUSED_PAD src0_sel:WORD_0 src1_sel:DWORD
	v_mul_u32_u24_sdwa v10, v10, s24 dst_sel:DWORD dst_unused:UNUSED_PAD src0_sel:WORD_1 src1_sel:DWORD
	v_mul_u32_u24_sdwa v32, v11, s24 dst_sel:DWORD dst_unused:UNUSED_PAD src0_sel:WORD_0 src1_sel:DWORD
	v_mul_u32_u24_sdwa v11, v11, s24 dst_sel:DWORD dst_unused:UNUSED_PAD src0_sel:WORD_1 src1_sel:DWORD
	v_mul_u32_u24_sdwa v33, v12, s24 dst_sel:DWORD dst_unused:UNUSED_PAD src0_sel:WORD_0 src1_sel:DWORD
	v_mul_u32_u24_sdwa v12, v12, s24 dst_sel:DWORD dst_unused:UNUSED_PAD src0_sel:WORD_1 src1_sel:DWORD
	v_pk_fma_f16 v24, v21, v30, v24
	v_pk_fma_f16 v13, v21, v9, v13
	v_pk_fma_f16 v26, v21, v31, v26
	v_pk_fma_f16 v25, v21, v10, v25
	v_pk_fma_f16 v27, v21, v32, v27
	v_pk_fma_f16 v23, v21, v11, v23
	v_pk_fma_f16 v28, v21, v33, v28
	v_pk_fma_f16 v21, v21, v12, v29
	ds_read_b128 v[9:12], v79 offset:784
	s_waitcnt lgkmcnt(0)
	v_mul_u32_u24_sdwa v29, v9, s24 dst_sel:DWORD dst_unused:UNUSED_PAD src0_sel:WORD_0 src1_sel:DWORD
	v_mul_u32_u24_sdwa v9, v9, s24 dst_sel:DWORD dst_unused:UNUSED_PAD src0_sel:WORD_1 src1_sel:DWORD
	v_mul_u32_u24_sdwa v30, v10, s24 dst_sel:DWORD dst_unused:UNUSED_PAD src0_sel:WORD_0 src1_sel:DWORD
	v_mul_u32_u24_sdwa v10, v10, s24 dst_sel:DWORD dst_unused:UNUSED_PAD src0_sel:WORD_1 src1_sel:DWORD
	v_mul_u32_u24_sdwa v31, v11, s24 dst_sel:DWORD dst_unused:UNUSED_PAD src0_sel:WORD_0 src1_sel:DWORD
	v_mul_u32_u24_sdwa v11, v11, s24 dst_sel:DWORD dst_unused:UNUSED_PAD src0_sel:WORD_1 src1_sel:DWORD
	v_mul_u32_u24_sdwa v32, v12, s24 dst_sel:DWORD dst_unused:UNUSED_PAD src0_sel:WORD_0 src1_sel:DWORD
	v_mul_u32_u24_sdwa v12, v12, s24 dst_sel:DWORD dst_unused:UNUSED_PAD src0_sel:WORD_1 src1_sel:DWORD
	v_pk_fma_f16 v24, v22, v29, v24
	v_pk_fma_f16 v13, v22, v9, v13
	v_pk_fma_f16 v26, v22, v30, v26
	v_pk_fma_f16 v25, v22, v10, v25
	v_pk_fma_f16 v27, v22, v31, v27
	v_pk_fma_f16 v23, v22, v11, v23
	v_pk_fma_f16 v28, v22, v32, v28
	v_pk_fma_f16 v29, v22, v12, v21
	ds_read2_b32 v[21:22], v0 offset0:64 offset1:96
	ds_read_b128 v[9:12], v79 offset:800
	s_waitcnt lgkmcnt(0)
	v_mul_u32_u24_sdwa v30, v9, s24 dst_sel:DWORD dst_unused:UNUSED_PAD src0_sel:WORD_0 src1_sel:DWORD
	v_mul_u32_u24_sdwa v9, v9, s24 dst_sel:DWORD dst_unused:UNUSED_PAD src0_sel:WORD_1 src1_sel:DWORD
	v_mul_u32_u24_sdwa v31, v10, s24 dst_sel:DWORD dst_unused:UNUSED_PAD src0_sel:WORD_0 src1_sel:DWORD
	v_mul_u32_u24_sdwa v10, v10, s24 dst_sel:DWORD dst_unused:UNUSED_PAD src0_sel:WORD_1 src1_sel:DWORD
	v_mul_u32_u24_sdwa v32, v11, s24 dst_sel:DWORD dst_unused:UNUSED_PAD src0_sel:WORD_0 src1_sel:DWORD
	v_mul_u32_u24_sdwa v11, v11, s24 dst_sel:DWORD dst_unused:UNUSED_PAD src0_sel:WORD_1 src1_sel:DWORD
	v_mul_u32_u24_sdwa v33, v12, s24 dst_sel:DWORD dst_unused:UNUSED_PAD src0_sel:WORD_0 src1_sel:DWORD
	v_mul_u32_u24_sdwa v12, v12, s24 dst_sel:DWORD dst_unused:UNUSED_PAD src0_sel:WORD_1 src1_sel:DWORD
	v_pk_fma_f16 v24, v21, v30, v24
	v_pk_fma_f16 v13, v21, v9, v13
	v_pk_fma_f16 v26, v21, v31, v26
	v_pk_fma_f16 v25, v21, v10, v25
	v_pk_fma_f16 v27, v21, v32, v27
	v_pk_fma_f16 v23, v21, v11, v23
	v_pk_fma_f16 v28, v21, v33, v28
	v_pk_fma_f16 v21, v21, v12, v29
	ds_read_b128 v[9:12], v79 offset:816
	s_waitcnt lgkmcnt(0)
	v_mul_u32_u24_sdwa v29, v9, s24 dst_sel:DWORD dst_unused:UNUSED_PAD src0_sel:WORD_0 src1_sel:DWORD
	v_mul_u32_u24_sdwa v9, v9, s24 dst_sel:DWORD dst_unused:UNUSED_PAD src0_sel:WORD_1 src1_sel:DWORD
	v_mul_u32_u24_sdwa v30, v10, s24 dst_sel:DWORD dst_unused:UNUSED_PAD src0_sel:WORD_0 src1_sel:DWORD
	v_mul_u32_u24_sdwa v10, v10, s24 dst_sel:DWORD dst_unused:UNUSED_PAD src0_sel:WORD_1 src1_sel:DWORD
	v_mul_u32_u24_sdwa v31, v11, s24 dst_sel:DWORD dst_unused:UNUSED_PAD src0_sel:WORD_0 src1_sel:DWORD
	v_mul_u32_u24_sdwa v11, v11, s24 dst_sel:DWORD dst_unused:UNUSED_PAD src0_sel:WORD_1 src1_sel:DWORD
	v_mul_u32_u24_sdwa v32, v12, s24 dst_sel:DWORD dst_unused:UNUSED_PAD src0_sel:WORD_0 src1_sel:DWORD
	v_mul_u32_u24_sdwa v12, v12, s24 dst_sel:DWORD dst_unused:UNUSED_PAD src0_sel:WORD_1 src1_sel:DWORD
	v_pk_fma_f16 v24, v22, v29, v24
	v_pk_fma_f16 v13, v22, v9, v13
	v_pk_fma_f16 v26, v22, v30, v26
	v_pk_fma_f16 v25, v22, v10, v25
	v_pk_fma_f16 v27, v22, v31, v27
	v_pk_fma_f16 v23, v22, v11, v23
	v_pk_fma_f16 v28, v22, v32, v28
	v_pk_fma_f16 v29, v22, v12, v21
	ds_read2_b32 v[21:22], v0 offset0:128 offset1:160
	;; [unrolled: 37-line block ×3, first 2 shown]
	ds_read_b128 v[9:12], v79 offset:864
	s_waitcnt lgkmcnt(0)
	v_mul_u32_u24_sdwa v30, v9, s24 dst_sel:DWORD dst_unused:UNUSED_PAD src0_sel:WORD_0 src1_sel:DWORD
	v_mul_u32_u24_sdwa v9, v9, s24 dst_sel:DWORD dst_unused:UNUSED_PAD src0_sel:WORD_1 src1_sel:DWORD
	v_mul_u32_u24_sdwa v31, v10, s24 dst_sel:DWORD dst_unused:UNUSED_PAD src0_sel:WORD_0 src1_sel:DWORD
	v_mul_u32_u24_sdwa v10, v10, s24 dst_sel:DWORD dst_unused:UNUSED_PAD src0_sel:WORD_1 src1_sel:DWORD
	;; [unrolled: 2-line block ×4, first 2 shown]
	v_pk_fma_f16 v24, v21, v30, v24
	v_pk_fma_f16 v13, v21, v9, v13
	;; [unrolled: 1-line block ×8, first 2 shown]
	ds_read_b128 v[9:12], v79 offset:880
	s_waitcnt lgkmcnt(0)
	v_mul_u32_u24_sdwa v29, v9, s24 dst_sel:DWORD dst_unused:UNUSED_PAD src0_sel:WORD_0 src1_sel:DWORD
	v_mul_u32_u24_sdwa v9, v9, s24 dst_sel:DWORD dst_unused:UNUSED_PAD src0_sel:WORD_1 src1_sel:DWORD
	v_mul_u32_u24_sdwa v30, v10, s24 dst_sel:DWORD dst_unused:UNUSED_PAD src0_sel:WORD_0 src1_sel:DWORD
	v_mul_u32_u24_sdwa v10, v10, s24 dst_sel:DWORD dst_unused:UNUSED_PAD src0_sel:WORD_1 src1_sel:DWORD
	;; [unrolled: 2-line block ×4, first 2 shown]
	v_pk_fma_f16 v24, v22, v29, v24
	v_pk_fma_f16 v13, v22, v9, v13
	;; [unrolled: 1-line block ×8, first 2 shown]
	ds_read2_b32 v[21:22], v91 offset1:32
	ds_read_b128 v[9:12], v79 offset:896
	s_waitcnt lgkmcnt(0)
	v_mul_u32_u24_sdwa v30, v9, s24 dst_sel:DWORD dst_unused:UNUSED_PAD src0_sel:WORD_0 src1_sel:DWORD
	v_mul_u32_u24_sdwa v9, v9, s24 dst_sel:DWORD dst_unused:UNUSED_PAD src0_sel:WORD_1 src1_sel:DWORD
	v_mul_u32_u24_sdwa v31, v10, s24 dst_sel:DWORD dst_unused:UNUSED_PAD src0_sel:WORD_0 src1_sel:DWORD
	v_mul_u32_u24_sdwa v10, v10, s24 dst_sel:DWORD dst_unused:UNUSED_PAD src0_sel:WORD_1 src1_sel:DWORD
	v_mul_u32_u24_sdwa v32, v11, s24 dst_sel:DWORD dst_unused:UNUSED_PAD src0_sel:WORD_0 src1_sel:DWORD
	v_mul_u32_u24_sdwa v11, v11, s24 dst_sel:DWORD dst_unused:UNUSED_PAD src0_sel:WORD_1 src1_sel:DWORD
	v_mul_u32_u24_sdwa v33, v12, s24 dst_sel:DWORD dst_unused:UNUSED_PAD src0_sel:WORD_0 src1_sel:DWORD
	v_mul_u32_u24_sdwa v12, v12, s24 dst_sel:DWORD dst_unused:UNUSED_PAD src0_sel:WORD_1 src1_sel:DWORD
	v_pk_fma_f16 v24, v21, v30, v24
	v_pk_fma_f16 v13, v21, v9, v13
	v_pk_fma_f16 v26, v21, v31, v26
	v_pk_fma_f16 v25, v21, v10, v25
	v_pk_fma_f16 v27, v21, v32, v27
	v_pk_fma_f16 v23, v21, v11, v23
	v_pk_fma_f16 v28, v21, v33, v28
	v_pk_fma_f16 v21, v21, v12, v29
	ds_read_b128 v[9:12], v79 offset:912
	s_waitcnt lgkmcnt(0)
	v_mul_u32_u24_sdwa v29, v9, s24 dst_sel:DWORD dst_unused:UNUSED_PAD src0_sel:WORD_0 src1_sel:DWORD
	v_mul_u32_u24_sdwa v9, v9, s24 dst_sel:DWORD dst_unused:UNUSED_PAD src0_sel:WORD_1 src1_sel:DWORD
	v_mul_u32_u24_sdwa v30, v10, s24 dst_sel:DWORD dst_unused:UNUSED_PAD src0_sel:WORD_0 src1_sel:DWORD
	v_mul_u32_u24_sdwa v10, v10, s24 dst_sel:DWORD dst_unused:UNUSED_PAD src0_sel:WORD_1 src1_sel:DWORD
	v_mul_u32_u24_sdwa v31, v11, s24 dst_sel:DWORD dst_unused:UNUSED_PAD src0_sel:WORD_0 src1_sel:DWORD
	v_mul_u32_u24_sdwa v11, v11, s24 dst_sel:DWORD dst_unused:UNUSED_PAD src0_sel:WORD_1 src1_sel:DWORD
	v_mul_u32_u24_sdwa v32, v12, s24 dst_sel:DWORD dst_unused:UNUSED_PAD src0_sel:WORD_0 src1_sel:DWORD
	v_mul_u32_u24_sdwa v12, v12, s24 dst_sel:DWORD dst_unused:UNUSED_PAD src0_sel:WORD_1 src1_sel:DWORD
	v_pk_fma_f16 v24, v22, v29, v24
	v_pk_fma_f16 v13, v22, v9, v13
	v_pk_fma_f16 v26, v22, v30, v26
	v_pk_fma_f16 v25, v22, v10, v25
	v_pk_fma_f16 v27, v22, v31, v27
	v_pk_fma_f16 v23, v22, v11, v23
	v_pk_fma_f16 v28, v22, v32, v28
	v_pk_fma_f16 v29, v22, v12, v21
	ds_read2_b32 v[21:22], v91 offset0:64 offset1:96
	ds_read_b128 v[9:12], v79 offset:928
	s_waitcnt lgkmcnt(0)
	v_mul_u32_u24_sdwa v30, v9, s24 dst_sel:DWORD dst_unused:UNUSED_PAD src0_sel:WORD_0 src1_sel:DWORD
	v_mul_u32_u24_sdwa v9, v9, s24 dst_sel:DWORD dst_unused:UNUSED_PAD src0_sel:WORD_1 src1_sel:DWORD
	v_mul_u32_u24_sdwa v31, v10, s24 dst_sel:DWORD dst_unused:UNUSED_PAD src0_sel:WORD_0 src1_sel:DWORD
	v_mul_u32_u24_sdwa v10, v10, s24 dst_sel:DWORD dst_unused:UNUSED_PAD src0_sel:WORD_1 src1_sel:DWORD
	v_mul_u32_u24_sdwa v32, v11, s24 dst_sel:DWORD dst_unused:UNUSED_PAD src0_sel:WORD_0 src1_sel:DWORD
	v_mul_u32_u24_sdwa v11, v11, s24 dst_sel:DWORD dst_unused:UNUSED_PAD src0_sel:WORD_1 src1_sel:DWORD
	v_mul_u32_u24_sdwa v33, v12, s24 dst_sel:DWORD dst_unused:UNUSED_PAD src0_sel:WORD_0 src1_sel:DWORD
	v_mul_u32_u24_sdwa v12, v12, s24 dst_sel:DWORD dst_unused:UNUSED_PAD src0_sel:WORD_1 src1_sel:DWORD
	v_pk_fma_f16 v24, v21, v30, v24
	v_pk_fma_f16 v13, v21, v9, v13
	v_pk_fma_f16 v26, v21, v31, v26
	v_pk_fma_f16 v25, v21, v10, v25
	v_pk_fma_f16 v27, v21, v32, v27
	v_pk_fma_f16 v23, v21, v11, v23
	v_pk_fma_f16 v28, v21, v33, v28
	v_pk_fma_f16 v21, v21, v12, v29
	ds_read_b128 v[9:12], v79 offset:944
	s_waitcnt lgkmcnt(0)
	v_mul_u32_u24_sdwa v29, v9, s24 dst_sel:DWORD dst_unused:UNUSED_PAD src0_sel:WORD_0 src1_sel:DWORD
	v_mul_u32_u24_sdwa v9, v9, s24 dst_sel:DWORD dst_unused:UNUSED_PAD src0_sel:WORD_1 src1_sel:DWORD
	v_mul_u32_u24_sdwa v30, v10, s24 dst_sel:DWORD dst_unused:UNUSED_PAD src0_sel:WORD_0 src1_sel:DWORD
	v_mul_u32_u24_sdwa v10, v10, s24 dst_sel:DWORD dst_unused:UNUSED_PAD src0_sel:WORD_1 src1_sel:DWORD
	v_mul_u32_u24_sdwa v31, v11, s24 dst_sel:DWORD dst_unused:UNUSED_PAD src0_sel:WORD_0 src1_sel:DWORD
	v_mul_u32_u24_sdwa v11, v11, s24 dst_sel:DWORD dst_unused:UNUSED_PAD src0_sel:WORD_1 src1_sel:DWORD
	v_mul_u32_u24_sdwa v32, v12, s24 dst_sel:DWORD dst_unused:UNUSED_PAD src0_sel:WORD_0 src1_sel:DWORD
	v_mul_u32_u24_sdwa v12, v12, s24 dst_sel:DWORD dst_unused:UNUSED_PAD src0_sel:WORD_1 src1_sel:DWORD
	v_pk_fma_f16 v24, v22, v29, v24
	v_pk_fma_f16 v13, v22, v9, v13
	v_pk_fma_f16 v26, v22, v30, v26
	v_pk_fma_f16 v25, v22, v10, v25
	v_pk_fma_f16 v27, v22, v31, v27
	v_pk_fma_f16 v23, v22, v11, v23
	v_pk_fma_f16 v28, v22, v32, v28
	v_pk_fma_f16 v29, v22, v12, v21
	ds_read2_b32 v[21:22], v91 offset0:128 offset1:160
	;; [unrolled: 37-line block ×3, first 2 shown]
	ds_read_b128 v[21:24], v79 offset:992
	s_waitcnt lgkmcnt(0)
	v_mul_u32_u24_sdwa v30, v21, s24 dst_sel:DWORD dst_unused:UNUSED_PAD src0_sel:WORD_0 src1_sel:DWORD
	v_mul_u32_u24_sdwa v31, v21, s24 dst_sel:DWORD dst_unused:UNUSED_PAD src0_sel:WORD_1 src1_sel:DWORD
	v_mul_u32_u24_sdwa v32, v22, s24 dst_sel:DWORD dst_unused:UNUSED_PAD src0_sel:WORD_0 src1_sel:DWORD
	v_mul_u32_u24_sdwa v33, v22, s24 dst_sel:DWORD dst_unused:UNUSED_PAD src0_sel:WORD_1 src1_sel:DWORD
	v_mul_u32_u24_sdwa v34, v23, s24 dst_sel:DWORD dst_unused:UNUSED_PAD src0_sel:WORD_0 src1_sel:DWORD
	v_mul_u32_u24_sdwa v35, v23, s24 dst_sel:DWORD dst_unused:UNUSED_PAD src0_sel:WORD_1 src1_sel:DWORD
	v_mul_u32_u24_sdwa v36, v24, s24 dst_sel:DWORD dst_unused:UNUSED_PAD src0_sel:WORD_0 src1_sel:DWORD
	v_mul_u32_u24_sdwa v37, v24, s24 dst_sel:DWORD dst_unused:UNUSED_PAD src0_sel:WORD_1 src1_sel:DWORD
	v_pk_fma_f16 v21, v12, v30, v29
	v_pk_fma_f16 v22, v12, v31, v9
	;; [unrolled: 1-line block ×8, first 2 shown]
	ds_read_b128 v[9:12], v79 offset:1008
	s_waitcnt lgkmcnt(0)
	s_barrier
	s_load_dword s25, s[0:1], 0x4
	v_mul_u32_u24_sdwa v29, v9, s24 dst_sel:DWORD dst_unused:UNUSED_PAD src0_sel:WORD_0 src1_sel:DWORD
	v_mul_u32_u24_sdwa v9, v9, s24 dst_sel:DWORD dst_unused:UNUSED_PAD src0_sel:WORD_1 src1_sel:DWORD
	v_mul_u32_u24_sdwa v30, v10, s24 dst_sel:DWORD dst_unused:UNUSED_PAD src0_sel:WORD_0 src1_sel:DWORD
	v_mul_u32_u24_sdwa v10, v10, s24 dst_sel:DWORD dst_unused:UNUSED_PAD src0_sel:WORD_1 src1_sel:DWORD
	s_waitcnt lgkmcnt(0)
	s_lshl_b32 s25, s25, 6
	v_mul_u32_u24_sdwa v31, v11, s24 dst_sel:DWORD dst_unused:UNUSED_PAD src0_sel:WORD_0 src1_sel:DWORD
	v_mul_u32_u24_sdwa v11, v11, s24 dst_sel:DWORD dst_unused:UNUSED_PAD src0_sel:WORD_1 src1_sel:DWORD
	v_mul_u32_u24_sdwa v32, v12, s24 dst_sel:DWORD dst_unused:UNUSED_PAD src0_sel:WORD_0 src1_sel:DWORD
	v_mul_u32_u24_sdwa v12, v12, s24 dst_sel:DWORD dst_unused:UNUSED_PAD src0_sel:WORD_1 src1_sel:DWORD
	s_add_i32 s6, s25, s6
	v_pk_fma_f16 v99, v13, v29, v21
	v_pk_fma_f16 v98, v13, v9, v22
	;; [unrolled: 1-line block ×8, first 2 shown]
	s_cmp_ge_i32 s6, s30
	s_cbranch_scc0 .LBB33_9
; %bb.10:
	buffer_load_dword v46, off, s[44:47], 0 offset:24 ; 4-byte Folded Reload
	buffer_load_dword v47, off, s[44:47], 0 offset:28 ; 4-byte Folded Reload
	;; [unrolled: 1-line block ×14, first 2 shown]
.LBB33_11:
	v_lshlrev_b32_e32 v33, 1, v55
	v_cmp_lt_i32_e32 vcc, v69, v65
	v_cndmask_b32_e32 v0, v64, v69, vcc
	v_cmp_lt_i32_e32 vcc, v70, v65
	v_lshlrev_b32_e32 v0, 2, v0
	v_cndmask_b32_e32 v9, v64, v70, vcc
	v_lshlrev_b32_e32 v12, 2, v9
	ds_bpermute_b32 v9, v0, v14
	v_cmp_lt_i32_e32 vcc, v67, v65
	v_cndmask_b32_e32 v10, v64, v67, vcc
	v_cmp_lt_i32_e32 vcc, v68, v65
	v_lshlrev_b32_e32 v13, 2, v10
	v_cndmask_b32_e32 v10, v64, v68, vcc
	s_waitcnt lgkmcnt(0)
	v_add_f32_e32 v9, v14, v9
	v_lshlrev_b32_e32 v14, 2, v10
	ds_bpermute_b32 v10, v0, v15
	ds_bpermute_b32 v11, v12, v9
	;; [unrolled: 1-line block ×3, first 2 shown]
	v_cmp_lt_i32_e32 vcc, v66, v65
	v_cndmask_b32_e32 v21, v64, v66, vcc
	s_waitcnt lgkmcnt(2)
	v_add_f32_e32 v10, v15, v10
	s_waitcnt lgkmcnt(1)
	v_add_f32_e32 v9, v9, v11
	ds_bpermute_b32 v15, v12, v10
	ds_bpermute_b32 v11, v13, v9
	s_waitcnt lgkmcnt(2)
	v_add_f32_e32 v16, v16, v22
	ds_bpermute_b32 v22, v12, v16
	v_lshlrev_b32_e32 v21, 2, v21
	s_waitcnt lgkmcnt(2)
	v_add_f32_e32 v10, v10, v15
	s_waitcnt lgkmcnt(1)
	v_add_f32_e32 v9, v9, v11
	ds_bpermute_b32 v15, v13, v10
	ds_bpermute_b32 v11, v14, v9
	s_waitcnt lgkmcnt(2)
	v_add_f32_e32 v16, v16, v22
	ds_bpermute_b32 v22, v13, v16
	ds_bpermute_b32 v23, v0, v17
	s_waitcnt lgkmcnt(3)
	v_add_f32_e32 v10, v10, v15
	s_waitcnt lgkmcnt(2)
	v_add_f32_e32 v9, v9, v11
	ds_bpermute_b32 v15, v14, v10
	ds_bpermute_b32 v11, v21, v9
	s_cmp_lg_u64 s[16:17], 0
	s_cselect_b64 s[0:1], -1, 0
	s_cmp_eq_u32 s7, 0
	s_waitcnt lgkmcnt(1)
	v_add_f32_e32 v10, v10, v15
	v_add_f32_e32 v15, v16, v22
	;; [unrolled: 1-line block ×3, first 2 shown]
	s_waitcnt lgkmcnt(0)
	v_add_f32_e32 v9, v9, v11
	ds_bpermute_b32 v11, v0, v18
	ds_bpermute_b32 v17, v12, v16
	;; [unrolled: 1-line block ×4, first 2 shown]
	s_cselect_b64 s[8:9], -1, 0
	s_waitcnt lgkmcnt(3)
	v_add_f32_e32 v11, v18, v11
	s_waitcnt lgkmcnt(2)
	v_add_f32_e32 v16, v16, v17
	ds_bpermute_b32 v18, v12, v11
	ds_bpermute_b32 v17, v13, v16
	s_waitcnt lgkmcnt(3)
	v_add_f32_e32 v15, v15, v22
	ds_bpermute_b32 v22, v21, v15
	s_waitcnt lgkmcnt(3)
	v_add_f32_e32 v10, v10, v23
	s_waitcnt lgkmcnt(2)
	v_add_f32_e32 v11, v11, v18
	;; [unrolled: 2-line block ×3, first 2 shown]
	ds_bpermute_b32 v18, v13, v11
	ds_bpermute_b32 v17, v14, v16
	s_and_b64 s[0:1], s[8:9], s[0:1]
	s_and_b64 vcc, exec, s[0:1]
	s_waitcnt lgkmcnt(1)
	v_add_f32_e32 v18, v11, v18
	v_add_f32_e32 v11, v15, v22
	s_waitcnt lgkmcnt(0)
	v_add_f32_e32 v15, v16, v17
	ds_bpermute_b32 v17, v0, v19
	ds_bpermute_b32 v22, v0, v20
	;; [unrolled: 1-line block ×5, first 2 shown]
	s_waitcnt lgkmcnt(4)
	v_add_f32_e32 v17, v19, v17
	s_waitcnt lgkmcnt(3)
	v_add_f32_e32 v20, v20, v22
	;; [unrolled: 2-line block ×3, first 2 shown]
	ds_bpermute_b32 v19, v12, v17
	ds_bpermute_b32 v22, v12, v20
	;; [unrolled: 1-line block ×3, first 2 shown]
	s_waitcnt lgkmcnt(4)
	v_add_f32_e32 v18, v18, v23
	ds_bpermute_b32 v23, v21, v18
	s_waitcnt lgkmcnt(3)
	v_add_f32_e32 v17, v17, v19
	s_waitcnt lgkmcnt(2)
	v_add_f32_e32 v20, v20, v22
	s_waitcnt lgkmcnt(1)
	v_add_f32_e32 v0, v0, v12
	ds_bpermute_b32 v19, v13, v17
	ds_bpermute_b32 v22, v13, v20
	ds_bpermute_b32 v12, v13, v0
	s_waitcnt lgkmcnt(2)
	v_add_f32_e32 v13, v17, v19
	s_waitcnt lgkmcnt(1)
	v_add_f32_e32 v19, v20, v22
	s_waitcnt lgkmcnt(0)
	v_add_f32_e32 v0, v0, v12
	ds_bpermute_b32 v17, v14, v13
	ds_bpermute_b32 v20, v14, v19
	;; [unrolled: 9-line block ×3, first 2 shown]
	ds_bpermute_b32 v21, v21, v0
	v_add_f32_e32 v12, v15, v16
	v_add_f32_e32 v13, v18, v23
	s_waitcnt lgkmcnt(2)
	v_add_f32_e32 v14, v14, v17
	s_waitcnt lgkmcnt(1)
	;; [unrolled: 2-line block ×3, first 2 shown]
	v_add_f32_e32 v16, v0, v21
	s_cbranch_vccz .LBB33_13
; %bb.12:
	s_ashr_i32 s29, s28, 31
	s_lshl_b64 s[0:1], s[28:29], 2
	s_add_u32 s0, s16, s0
	s_addc_u32 s1, s17, s1
	v_mov_b32_e32 v0, 0
	global_load_dwordx2 v[23:24], v0, s[0:1]
	v_max_f32_e32 v0, v1, v1
	v_max_f32_e32 v17, v2, v2
	s_mov_b32 s6, 0x3fb8aa3b
	v_max_f32_e32 v18, v3, v3
	s_mov_b32 s1, 0xc2ce8ed0
	s_mov_b32 s0, 0x42b17218
	v_mov_b32_e32 v34, 0x7f800000
	s_waitcnt vmcnt(0)
	v_max_f32_e32 v31, v23, v23
	v_max_f32_e32 v25, v0, v31
	;; [unrolled: 1-line block ×3, first 2 shown]
	v_sub_f32_e32 v0, v1, v25
	v_max_f32_e32 v26, v17, v32
	v_sub_f32_e32 v1, v23, v25
	v_mul_f32_e32 v17, 0x3fb8aa3b, v0
	v_sub_f32_e32 v2, v2, v26
	v_mul_f32_e32 v20, 0x3fb8aa3b, v1
	v_fma_f32 v30, v0, s6, -v17
	v_rndne_f32_e32 v35, v17
	v_max_f32_e32 v27, v18, v31
	v_sub_f32_e32 v18, v24, v26
	v_mul_f32_e32 v21, 0x3fb8aa3b, v2
	v_fma_f32 v36, v1, s6, -v20
	v_rndne_f32_e32 v37, v20
	v_fmac_f32_e32 v30, 0x32a5705f, v0
	v_sub_f32_e32 v17, v17, v35
	v_sub_f32_e32 v3, v3, v27
	v_mul_f32_e32 v22, 0x3fb8aa3b, v18
	v_fma_f32 v38, v2, s6, -v21
	v_rndne_f32_e32 v39, v21
	v_fmac_f32_e32 v36, 0x32a5705f, v1
	v_sub_f32_e32 v20, v20, v37
	v_add_f32_e32 v17, v17, v30
	v_mul_f32_e32 v28, 0x3fb8aa3b, v3
	v_fma_f32 v40, v18, s6, -v22
	v_rndne_f32_e32 v41, v22
	v_cvt_i32_f32_e32 v35, v35
	v_fmac_f32_e32 v38, 0x32a5705f, v2
	v_sub_f32_e32 v21, v21, v39
	v_add_f32_e32 v20, v20, v36
	v_exp_f32_e32 v17, v17
	v_fma_f32 v42, v3, s6, -v28
	v_rndne_f32_e32 v43, v28
	v_cvt_i32_f32_e32 v37, v37
	v_fmac_f32_e32 v40, 0x32a5705f, v18
	v_sub_f32_e32 v22, v22, v41
	v_add_f32_e32 v21, v21, v38
	v_exp_f32_e32 v20, v20
	v_cvt_i32_f32_e32 v39, v39
	v_fmac_f32_e32 v42, 0x32a5705f, v3
	v_sub_f32_e32 v28, v28, v43
	v_add_f32_e32 v22, v22, v40
	v_exp_f32_e32 v21, v21
	v_cvt_i32_f32_e32 v41, v41
	v_add_f32_e32 v28, v28, v42
	v_exp_f32_e32 v22, v22
	v_cvt_i32_f32_e32 v43, v43
	v_exp_f32_e32 v28, v28
	v_ldexp_f32 v17, v17, v35
	v_cmp_ngt_f32_e32 vcc, s1, v0
	v_ldexp_f32 v20, v20, v37
	v_cndmask_b32_e32 v17, 0, v17, vcc
	v_cmp_ngt_f32_e32 vcc, s1, v1
	v_ldexp_f32 v21, v21, v39
	v_cndmask_b32_e32 v20, 0, v20, vcc
	;; [unrolled: 3-line block ×4, first 2 shown]
	v_cmp_ngt_f32_e32 vcc, s1, v3
	v_cndmask_b32_e32 v28, 0, v28, vcc
	v_cmp_nlt_f32_e32 vcc, s0, v0
	v_sub_f32_e32 v19, v23, v27
	v_cndmask_b32_e32 v0, v34, v17, vcc
	v_cmp_nlt_f32_e32 vcc, s0, v1
	v_mul_f32_e32 v29, 0x3fb8aa3b, v19
	v_cndmask_b32_e32 v17, v34, v20, vcc
	v_cmp_nlt_f32_e32 vcc, s0, v2
	v_cvt_f16_f32_e32 v2, v0
	v_fma_f32 v44, v19, s6, -v29
	v_rndne_f32_e32 v45, v29
	v_fmac_f32_e32 v44, 0x32a5705f, v19
	v_sub_f32_e32 v29, v29, v45
	v_cndmask_b32_e32 v1, v34, v21, vcc
	v_add_f32_e32 v29, v29, v44
	v_cmp_nlt_f32_e32 vcc, s0, v18
	v_cvt_f16_f32_e32 v20, v1
	v_cvt_i32_f32_e32 v45, v45
	v_exp_f32_e32 v29, v29
	v_cndmask_b32_e32 v18, v34, v22, vcc
	v_fmac_f32_e32 v17, v9, v0
	v_mul_u32_u24_e32 v0, 0x10001, v2
	v_cmp_nlt_f32_e32 vcc, s0, v3
	v_max_f32_e32 v2, v4, v4
	v_pk_mul_f16 v99, v99, v0
	v_cndmask_b32_e32 v0, v34, v28, vcc
	v_max_f32_e32 v28, v2, v32
	v_sub_f32_e32 v2, v4, v28
	v_fmac_f32_e32 v18, v10, v1
	v_mul_u32_u24_e32 v1, 0x10001, v20
	v_mul_f32_e32 v3, 0x3fb8aa3b, v2
	v_pk_mul_f16 v98, v98, v1
	v_ldexp_f32 v1, v29, v45
	v_cmp_ngt_f32_e32 vcc, s1, v19
	v_fma_f32 v4, v2, s6, -v3
	v_rndne_f32_e32 v9, v3
	v_cndmask_b32_e32 v1, 0, v1, vcc
	v_cmp_nlt_f32_e32 vcc, s0, v19
	v_fmac_f32_e32 v4, 0x32a5705f, v2
	v_sub_f32_e32 v3, v3, v9
	v_cndmask_b32_e32 v19, v34, v1, vcc
	v_cvt_f16_f32_e32 v1, v0
	v_add_f32_e32 v3, v3, v4
	v_exp_f32_e32 v3, v3
	v_cvt_i32_f32_e32 v4, v9
	v_fmac_f32_e32 v19, v11, v0
	v_mul_u32_u24_e32 v0, 0x10001, v1
	v_sub_f32_e32 v1, v24, v28
	v_pk_mul_f16 v97, v97, v0
	v_ldexp_f32 v0, v3, v4
	v_mul_f32_e32 v3, 0x3fb8aa3b, v1
	v_fma_f32 v4, v1, s6, -v3
	v_rndne_f32_e32 v9, v3
	v_fmac_f32_e32 v4, 0x32a5705f, v1
	v_sub_f32_e32 v3, v3, v9
	v_add_f32_e32 v3, v3, v4
	v_exp_f32_e32 v3, v3
	v_cvt_i32_f32_e32 v4, v9
	v_cmp_ngt_f32_e32 vcc, s1, v2
	v_cndmask_b32_e32 v0, 0, v0, vcc
	v_cmp_nlt_f32_e32 vcc, s0, v2
	v_cndmask_b32_e32 v0, v34, v0, vcc
	v_ldexp_f32 v2, v3, v4
	v_cmp_ngt_f32_e32 vcc, s1, v1
	v_cndmask_b32_e32 v2, 0, v2, vcc
	v_cmp_nlt_f32_e32 vcc, s0, v1
	v_cndmask_b32_e32 v20, v34, v2, vcc
	v_max_f32_e32 v2, v5, v5
	v_max_f32_e32 v29, v2, v31
	v_sub_f32_e32 v2, v5, v29
	v_mul_f32_e32 v3, 0x3fb8aa3b, v2
	v_fma_f32 v4, v2, s6, -v3
	v_rndne_f32_e32 v5, v3
	v_fmac_f32_e32 v4, 0x32a5705f, v2
	v_sub_f32_e32 v3, v3, v5
	v_cvt_f16_f32_e32 v1, v0
	v_add_f32_e32 v3, v3, v4
	v_exp_f32_e32 v3, v3
	v_cvt_i32_f32_e32 v4, v5
	v_fmac_f32_e32 v20, v12, v0
	v_mul_u32_u24_e32 v0, 0x10001, v1
	v_sub_f32_e32 v1, v23, v29
	v_pk_mul_f16 v96, v96, v0
	v_ldexp_f32 v0, v3, v4
	v_mul_f32_e32 v3, 0x3fb8aa3b, v1
	v_fma_f32 v4, v1, s6, -v3
	v_rndne_f32_e32 v5, v3
	v_fmac_f32_e32 v4, 0x32a5705f, v1
	v_sub_f32_e32 v3, v3, v5
	v_add_f32_e32 v3, v3, v4
	v_exp_f32_e32 v3, v3
	v_cvt_i32_f32_e32 v4, v5
	v_cmp_ngt_f32_e32 vcc, s1, v2
	v_cndmask_b32_e32 v0, 0, v0, vcc
	v_cmp_nlt_f32_e32 vcc, s0, v2
	v_cndmask_b32_e32 v0, v34, v0, vcc
	v_ldexp_f32 v2, v3, v4
	v_cmp_ngt_f32_e32 vcc, s1, v1
	v_cndmask_b32_e32 v2, 0, v2, vcc
	v_cmp_nlt_f32_e32 vcc, s0, v1
	v_cndmask_b32_e32 v21, v34, v2, vcc
	v_max_f32_e32 v2, v6, v6
	v_max_f32_e32 v30, v2, v32
	v_sub_f32_e32 v2, v6, v30
	v_mul_f32_e32 v3, 0x3fb8aa3b, v2
	v_fma_f32 v4, v2, s6, -v3
	v_rndne_f32_e32 v5, v3
	v_fmac_f32_e32 v4, 0x32a5705f, v2
	v_sub_f32_e32 v3, v3, v5
	v_cvt_f16_f32_e32 v1, v0
	v_add_f32_e32 v3, v3, v4
	v_exp_f32_e32 v3, v3
	v_cvt_i32_f32_e32 v4, v5
	v_fmac_f32_e32 v21, v13, v0
	v_mul_u32_u24_e32 v0, 0x10001, v1
	v_sub_f32_e32 v1, v24, v30
	v_pk_mul_f16 v95, v95, v0
	v_ldexp_f32 v0, v3, v4
	v_mul_f32_e32 v3, 0x3fb8aa3b, v1
	v_fma_f32 v4, v1, s6, -v3
	v_rndne_f32_e32 v5, v3
	v_fmac_f32_e32 v4, 0x32a5705f, v1
	v_sub_f32_e32 v3, v3, v5
	v_add_f32_e32 v3, v3, v4
	v_exp_f32_e32 v3, v3
	v_cvt_i32_f32_e32 v4, v5
	v_cmp_ngt_f32_e32 vcc, s1, v2
	v_cndmask_b32_e32 v0, 0, v0, vcc
	v_cmp_nlt_f32_e32 vcc, s0, v2
	v_cndmask_b32_e32 v0, v34, v0, vcc
	v_ldexp_f32 v2, v3, v4
	v_cmp_ngt_f32_e32 vcc, s1, v1
	v_cndmask_b32_e32 v2, 0, v2, vcc
	v_cmp_nlt_f32_e32 vcc, s0, v1
	v_cndmask_b32_e32 v22, v34, v2, vcc
	v_max_f32_e32 v2, v7, v7
	v_max_f32_e32 v31, v2, v31
	v_sub_f32_e32 v2, v7, v31
	v_mul_f32_e32 v3, 0x3fb8aa3b, v2
	v_fma_f32 v4, v2, s6, -v3
	v_rndne_f32_e32 v5, v3
	v_fmac_f32_e32 v4, 0x32a5705f, v2
	v_sub_f32_e32 v3, v3, v5
	v_cvt_f16_f32_e32 v1, v0
	v_add_f32_e32 v3, v3, v4
	v_exp_f32_e32 v3, v3
	v_cvt_i32_f32_e32 v4, v5
	v_fmac_f32_e32 v22, v14, v0
	v_mul_u32_u24_e32 v0, 0x10001, v1
	v_sub_f32_e32 v1, v23, v31
	v_pk_mul_f16 v94, v94, v0
	v_ldexp_f32 v0, v3, v4
	v_mul_f32_e32 v3, 0x3fb8aa3b, v1
	v_fma_f32 v4, v1, s6, -v3
	v_rndne_f32_e32 v5, v3
	v_fmac_f32_e32 v4, 0x32a5705f, v1
	v_sub_f32_e32 v3, v3, v5
	v_add_f32_e32 v3, v3, v4
	v_exp_f32_e32 v3, v3
	v_cvt_i32_f32_e32 v4, v5
	v_cmp_ngt_f32_e32 vcc, s1, v2
	v_cndmask_b32_e32 v0, 0, v0, vcc
	v_cmp_nlt_f32_e32 vcc, s0, v2
	v_cndmask_b32_e32 v0, v34, v0, vcc
	v_ldexp_f32 v2, v3, v4
	v_cmp_ngt_f32_e32 vcc, s1, v1
	v_cndmask_b32_e32 v2, 0, v2, vcc
	v_cmp_nlt_f32_e32 vcc, s0, v1
	v_cndmask_b32_e32 v23, v34, v2, vcc
	v_max_f32_e32 v2, v8, v8
	v_max_f32_e32 v32, v2, v32
	v_sub_f32_e32 v2, v8, v32
	v_mul_f32_e32 v3, 0x3fb8aa3b, v2
	v_fma_f32 v4, v2, s6, -v3
	v_rndne_f32_e32 v5, v3
	v_fmac_f32_e32 v4, 0x32a5705f, v2
	v_sub_f32_e32 v3, v3, v5
	v_cvt_f16_f32_e32 v1, v0
	v_add_f32_e32 v3, v3, v4
	v_exp_f32_e32 v3, v3
	v_cvt_i32_f32_e32 v4, v5
	v_fmac_f32_e32 v23, v15, v0
	v_mul_u32_u24_e32 v0, 0x10001, v1
	v_sub_f32_e32 v1, v24, v32
	v_pk_mul_f16 v93, v93, v0
	v_ldexp_f32 v0, v3, v4
	v_mul_f32_e32 v3, 0x3fb8aa3b, v1
	v_fma_f32 v4, v1, s6, -v3
	v_rndne_f32_e32 v5, v3
	v_fmac_f32_e32 v4, 0x32a5705f, v1
	v_sub_f32_e32 v3, v3, v5
	v_add_f32_e32 v3, v3, v4
	v_exp_f32_e32 v3, v3
	v_cvt_i32_f32_e32 v4, v5
	v_cmp_ngt_f32_e32 vcc, s1, v2
	v_cndmask_b32_e32 v0, 0, v0, vcc
	v_cmp_nlt_f32_e32 vcc, s0, v2
	v_cndmask_b32_e32 v0, v34, v0, vcc
	v_ldexp_f32 v2, v3, v4
	v_cvt_f16_f32_e32 v3, v0
	v_cmp_ngt_f32_e32 vcc, s1, v1
	v_cndmask_b32_e32 v2, 0, v2, vcc
	v_cmp_nlt_f32_e32 vcc, s0, v1
	v_cndmask_b32_e32 v24, v34, v2, vcc
	v_fmac_f32_e32 v24, v16, v0
	v_mul_u32_u24_e32 v0, 0x10001, v3
	v_mov_b32_e32 v1, v25
	v_pk_mul_f16 v92, v92, v0
	v_mov_b32_e32 v2, v26
	v_mov_b32_e32 v3, v27
	;; [unrolled: 1-line block ×15, first 2 shown]
	v_cmp_gt_i32_e32 vcc, s2, v60
	s_and_saveexec_b64 s[0:1], vcc
	s_cbranch_execnz .LBB33_14
	s_branch .LBB33_52
.LBB33_13:
	v_mov_b32_e32 v24, v16
	v_mov_b32_e32 v23, v15
	;; [unrolled: 1-line block ×8, first 2 shown]
	s_waitcnt vmcnt(0)
	v_cmp_gt_i32_e32 vcc, s2, v60
	s_and_saveexec_b64 s[0:1], vcc
	s_cbranch_execz .LBB33_52
.LBB33_14:
	s_load_dword s6, s[4:5], 0xd4
	v_mov_b32_e32 v25, 1.0
	s_waitcnt lgkmcnt(0)
	s_cmp_lg_u32 s6, 1
	s_cselect_b64 s[4:5], -1, 0
	s_cmp_eq_u32 s6, 1
	s_cselect_b64 s[8:9], -1, 0
	s_and_b64 vcc, exec, s[4:5]
	s_cbranch_vccnz .LBB33_16
; %bb.15:
	v_div_scale_f32 v0, s[0:1], v9, v9, 1.0
	v_div_scale_f32 v25, vcc, 1.0, v9, 1.0
	v_rcp_f32_e32 v26, v0
	v_fma_f32 v27, -v0, v26, 1.0
	v_fmac_f32_e32 v26, v27, v26
	v_mul_f32_e32 v27, v25, v26
	v_fma_f32 v28, -v0, v27, v25
	v_fmac_f32_e32 v27, v28, v26
	v_fma_f32 v0, -v0, v27, v25
	v_div_fmas_f32 v0, v0, v26, v27
	v_div_fixup_f32 v25, v0, v9, 1.0
.LBB33_16:
	s_mul_i32 s10, s33, s2
	s_add_i32 s10, s10, s14
	v_add_u32_e32 v0, s10, v59
	v_mul_lo_u32 v9, v0, s3
	v_cvt_f32_f16_e32 v0, v99
	v_cvt_f32_f16_sdwa v26, v99 dst_sel:DWORD dst_unused:UNUSED_PAD src0_sel:WORD_1
	v_cmp_eq_u32_e32 vcc, 0, v55
	v_add_u32_e32 v27, s28, v9
	v_mul_lo_u32 v30, s6, v27
	v_mul_f32_e32 v28, v25, v0
	v_mul_f32_e32 v29, v25, v26
	v_mov_b32_e32 v27, 0
	v_add_u32_e32 v25, s7, v30
	v_lshl_add_u32 v26, v25, 6, v33
	v_lshlrev_b64 v[26:27], 2, v[26:27]
	v_mov_b32_e32 v0, s21
	v_add_co_u32_e64 v26, s[0:1], s20, v26
	v_addc_co_u32_e64 v27, s[0:1], v0, v27, s[0:1]
	s_and_b64 s[4:5], vcc, s[4:5]
	global_store_dwordx2 v[26:27], v[28:29], off
	s_and_saveexec_b64 s[0:1], s[4:5]
	s_cbranch_execz .LBB33_18
; %bb.17:
	v_ashrrev_i32_e32 v26, 31, v25
	v_lshlrev_b64 v[25:26], 3, v[25:26]
	v_mov_b32_e32 v0, s23
	v_add_co_u32_e32 v25, vcc, s22, v25
	v_addc_co_u32_e32 v26, vcc, v0, v26, vcc
	v_mov_b32_e32 v0, v1
	v_mov_b32_e32 v1, v17
	global_store_dwordx2 v[25:26], v[0:1], off
.LBB33_18:
	s_or_b64 exec, exec, s[0:1]
	v_cndmask_b32_e64 v0, 0, 1, s[8:9]
	v_cmp_ne_u32_e64 s[0:1], 1, v0
	s_andn2_b64 vcc, exec, s[8:9]
	v_mov_b32_e32 v1, 1.0
	s_cbranch_vccnz .LBB33_20
; %bb.19:
	v_div_scale_f32 v0, s[8:9], v10, v10, 1.0
	v_div_scale_f32 v1, vcc, 1.0, v10, 1.0
	v_rcp_f32_e32 v17, v0
	v_fma_f32 v25, -v0, v17, 1.0
	v_fmac_f32_e32 v17, v25, v17
	v_mul_f32_e32 v25, v1, v17
	v_fma_f32 v26, -v0, v25, v1
	v_fmac_f32_e32 v25, v26, v17
	v_fma_f32 v0, -v0, v25, v1
	v_div_fmas_f32 v0, v0, v17, v25
	v_div_fixup_f32 v1, v0, v10, 1.0
.LBB33_20:
	s_add_i32 s11, s28, 1
	v_add_u32_e32 v0, s11, v9
	v_mul_lo_u32 v0, s6, v0
	v_cvt_f32_f16_e32 v9, v98
	v_cvt_f32_f16_sdwa v10, v98 dst_sel:DWORD dst_unused:UNUSED_PAD src0_sel:WORD_1
	v_mov_b32_e32 v26, 0
	v_add_u32_e32 v0, s7, v0
	v_lshl_add_u32 v25, v0, 6, v33
	v_lshlrev_b64 v[25:26], 2, v[25:26]
	v_mul_f32_e32 v9, v1, v9
	v_mul_f32_e32 v10, v1, v10
	v_mov_b32_e32 v1, s21
	v_add_co_u32_e32 v25, vcc, s20, v25
	v_addc_co_u32_e32 v26, vcc, v1, v26, vcc
	global_store_dwordx2 v[25:26], v[9:10], off
	s_and_saveexec_b64 s[8:9], s[4:5]
	s_cbranch_execz .LBB33_22
; %bb.21:
	v_ashrrev_i32_e32 v1, 31, v0
	v_lshlrev_b64 v[0:1], 3, v[0:1]
	v_mov_b32_e32 v9, s23
	v_add_co_u32_e32 v0, vcc, s22, v0
	v_addc_co_u32_e32 v1, vcc, v9, v1, vcc
	v_mov_b32_e32 v17, v2
	global_store_dwordx2 v[0:1], v[17:18], off
.LBB33_22:
	s_or_b64 exec, exec, s[8:9]
	v_cmp_gt_i32_e32 vcc, s2, v58
	s_and_b64 exec, exec, vcc
	s_cbranch_execz .LBB33_52
; %bb.23:
	s_and_b64 vcc, exec, s[0:1]
	v_mov_b32_e32 v0, 1.0
	s_cbranch_vccnz .LBB33_25
; %bb.24:
	v_div_scale_f32 v0, s[8:9], v11, v11, 1.0
	v_div_scale_f32 v1, vcc, 1.0, v11, 1.0
	v_rcp_f32_e32 v2, v0
	v_fma_f32 v9, -v0, v2, 1.0
	v_fmac_f32_e32 v2, v9, v2
	v_mul_f32_e32 v9, v1, v2
	v_fma_f32 v10, -v0, v9, v1
	v_fmac_f32_e32 v9, v10, v2
	v_fma_f32 v0, -v0, v9, v1
	v_div_fmas_f32 v0, v0, v2, v9
	v_div_fixup_f32 v0, v0, v11, 1.0
.LBB33_25:
	v_add_u32_e32 v1, s10, v57
	v_mul_lo_u32 v1, v1, s3
	v_cvt_f32_f16_e32 v9, v97
	v_cvt_f32_f16_sdwa v10, v97 dst_sel:DWORD dst_unused:UNUSED_PAD src0_sel:WORD_1
	v_mov_b32_e32 v2, 0
	v_add_u32_e32 v1, s28, v1
	v_mul_lo_u32 v1, s6, v1
	v_mul_f32_e32 v9, v0, v9
	v_mul_f32_e32 v10, v0, v10
	v_mov_b32_e32 v11, s21
	v_add_u32_e32 v0, s7, v1
	v_lshl_add_u32 v1, v0, 6, v33
	v_lshlrev_b64 v[1:2], 2, v[1:2]
	v_add_co_u32_e32 v1, vcc, s20, v1
	v_addc_co_u32_e32 v2, vcc, v11, v2, vcc
	global_store_dwordx2 v[1:2], v[9:10], off
	s_and_saveexec_b64 s[8:9], s[4:5]
	s_cbranch_execz .LBB33_27
; %bb.26:
	v_ashrrev_i32_e32 v1, 31, v0
	v_lshlrev_b64 v[0:1], 3, v[0:1]
	v_mov_b32_e32 v2, s23
	v_add_co_u32_e32 v0, vcc, s22, v0
	v_addc_co_u32_e32 v1, vcc, v2, v1, vcc
	v_mov_b32_e32 v18, v3
	global_store_dwordx2 v[0:1], v[18:19], off
.LBB33_27:
	s_or_b64 exec, exec, s[8:9]
	v_cmp_gt_i32_e32 vcc, s2, v56
	s_and_b64 exec, exec, vcc
	s_cbranch_execz .LBB33_52
; %bb.28:
	s_and_b64 vcc, exec, s[0:1]
	v_mov_b32_e32 v0, 1.0
	s_cbranch_vccnz .LBB33_30
; %bb.29:
	v_div_scale_f32 v0, s[8:9], v12, v12, 1.0
	v_div_scale_f32 v1, vcc, 1.0, v12, 1.0
	v_rcp_f32_e32 v2, v0
	v_fma_f32 v3, -v0, v2, 1.0
	v_fmac_f32_e32 v2, v3, v2
	v_mul_f32_e32 v3, v1, v2
	v_fma_f32 v9, -v0, v3, v1
	v_fmac_f32_e32 v3, v9, v2
	v_fma_f32 v0, -v0, v3, v1
	v_div_fmas_f32 v0, v0, v2, v3
	v_div_fixup_f32 v0, v0, v12, 1.0
.LBB33_30:
	v_add_u32_e32 v1, s10, v54
	v_mul_lo_u32 v1, v1, s3
	v_cvt_f32_f16_e32 v3, v96
	v_cvt_f32_f16_sdwa v10, v96 dst_sel:DWORD dst_unused:UNUSED_PAD src0_sel:WORD_1
	v_mov_b32_e32 v2, 0
	v_add_u32_e32 v1, s11, v1
	v_mul_lo_u32 v1, s6, v1
	v_mul_f32_e32 v9, v0, v3
	v_mul_f32_e32 v10, v0, v10
	v_mov_b32_e32 v11, s21
	v_add_u32_e32 v0, s7, v1
	v_lshl_add_u32 v1, v0, 6, v33
	v_lshlrev_b64 v[1:2], 2, v[1:2]
	;; [unrolled: 48-line block ×6, first 2 shown]
	v_add_co_u32_e32 v1, vcc, s20, v1
	v_addc_co_u32_e32 v2, vcc, v5, v2, vcc
	global_store_dwordx2 v[1:2], v[3:4], off
	s_and_b64 exec, exec, s[4:5]
	s_cbranch_execz .LBB33_52
; %bb.51:
	v_ashrrev_i32_e32 v1, 31, v0
	v_lshlrev_b64 v[0:1], 3, v[0:1]
	v_mov_b32_e32 v2, s23
	v_add_co_u32_e32 v0, vcc, s22, v0
	v_addc_co_u32_e32 v1, vcc, v2, v1, vcc
	v_mov_b32_e32 v23, v8
	global_store_dwordx2 v[0:1], v[23:24], off
	s_endpgm
.LBB33_52:
	s_endpgm
	.section	.rodata,"a",@progbits
	.p2align	6, 0x0
	.amdhsa_kernel _ZL15flash_attn_tileILi64ELi64ELi32ELi2ELb0EEvPKcS1_S1_S1_S1_PKiPfP15HIP_vector_typeIfLj2EEffffjfiS5_IjLj3EEiiiiiiiiiiiliiliiiiil
		.amdhsa_group_segment_fixed_size 25600
		.amdhsa_private_segment_fixed_size 84
		.amdhsa_kernarg_size 464
		.amdhsa_user_sgpr_count 6
		.amdhsa_user_sgpr_private_segment_buffer 1
		.amdhsa_user_sgpr_dispatch_ptr 0
		.amdhsa_user_sgpr_queue_ptr 0
		.amdhsa_user_sgpr_kernarg_segment_ptr 1
		.amdhsa_user_sgpr_dispatch_id 0
		.amdhsa_user_sgpr_flat_scratch_init 0
		.amdhsa_user_sgpr_private_segment_size 0
		.amdhsa_uses_dynamic_stack 0
		.amdhsa_system_sgpr_private_segment_wavefront_offset 1
		.amdhsa_system_sgpr_workgroup_id_x 1
		.amdhsa_system_sgpr_workgroup_id_y 1
		.amdhsa_system_sgpr_workgroup_id_z 1
		.amdhsa_system_sgpr_workgroup_info 0
		.amdhsa_system_vgpr_workitem_id 1
		.amdhsa_next_free_vgpr 128
		.amdhsa_next_free_sgpr 98
		.amdhsa_reserve_vcc 1
		.amdhsa_reserve_flat_scratch 0
		.amdhsa_float_round_mode_32 0
		.amdhsa_float_round_mode_16_64 0
		.amdhsa_float_denorm_mode_32 3
		.amdhsa_float_denorm_mode_16_64 3
		.amdhsa_dx10_clamp 1
		.amdhsa_ieee_mode 1
		.amdhsa_fp16_overflow 0
		.amdhsa_exception_fp_ieee_invalid_op 0
		.amdhsa_exception_fp_denorm_src 0
		.amdhsa_exception_fp_ieee_div_zero 0
		.amdhsa_exception_fp_ieee_overflow 0
		.amdhsa_exception_fp_ieee_underflow 0
		.amdhsa_exception_fp_ieee_inexact 0
		.amdhsa_exception_int_div_zero 0
	.end_amdhsa_kernel
	.section	.text._ZL15flash_attn_tileILi64ELi64ELi32ELi2ELb0EEvPKcS1_S1_S1_S1_PKiPfP15HIP_vector_typeIfLj2EEffffjfiS5_IjLj3EEiiiiiiiiiiiliiliiiiil,"axG",@progbits,_ZL15flash_attn_tileILi64ELi64ELi32ELi2ELb0EEvPKcS1_S1_S1_S1_PKiPfP15HIP_vector_typeIfLj2EEffffjfiS5_IjLj3EEiiiiiiiiiiiliiliiiiil,comdat
.Lfunc_end33:
	.size	_ZL15flash_attn_tileILi64ELi64ELi32ELi2ELb0EEvPKcS1_S1_S1_S1_PKiPfP15HIP_vector_typeIfLj2EEffffjfiS5_IjLj3EEiiiiiiiiiiiliiliiiiil, .Lfunc_end33-_ZL15flash_attn_tileILi64ELi64ELi32ELi2ELb0EEvPKcS1_S1_S1_S1_PKiPfP15HIP_vector_typeIfLj2EEffffjfiS5_IjLj3EEiiiiiiiiiiiliiliiiiil
                                        ; -- End function
	.set _ZL15flash_attn_tileILi64ELi64ELi32ELi2ELb0EEvPKcS1_S1_S1_S1_PKiPfP15HIP_vector_typeIfLj2EEffffjfiS5_IjLj3EEiiiiiiiiiiiliiliiiiil.num_vgpr, 128
	.set _ZL15flash_attn_tileILi64ELi64ELi32ELi2ELb0EEvPKcS1_S1_S1_S1_PKiPfP15HIP_vector_typeIfLj2EEffffjfiS5_IjLj3EEiiiiiiiiiiiliiliiiiil.num_agpr, 0
	.set _ZL15flash_attn_tileILi64ELi64ELi32ELi2ELb0EEvPKcS1_S1_S1_S1_PKiPfP15HIP_vector_typeIfLj2EEffffjfiS5_IjLj3EEiiiiiiiiiiiliiliiiiil.numbered_sgpr, 48
	.set _ZL15flash_attn_tileILi64ELi64ELi32ELi2ELb0EEvPKcS1_S1_S1_S1_PKiPfP15HIP_vector_typeIfLj2EEffffjfiS5_IjLj3EEiiiiiiiiiiiliiliiiiil.num_named_barrier, 0
	.set _ZL15flash_attn_tileILi64ELi64ELi32ELi2ELb0EEvPKcS1_S1_S1_S1_PKiPfP15HIP_vector_typeIfLj2EEffffjfiS5_IjLj3EEiiiiiiiiiiiliiliiiiil.private_seg_size, 84
	.set _ZL15flash_attn_tileILi64ELi64ELi32ELi2ELb0EEvPKcS1_S1_S1_S1_PKiPfP15HIP_vector_typeIfLj2EEffffjfiS5_IjLj3EEiiiiiiiiiiiliiliiiiil.uses_vcc, 1
	.set _ZL15flash_attn_tileILi64ELi64ELi32ELi2ELb0EEvPKcS1_S1_S1_S1_PKiPfP15HIP_vector_typeIfLj2EEffffjfiS5_IjLj3EEiiiiiiiiiiiliiliiiiil.uses_flat_scratch, 0
	.set _ZL15flash_attn_tileILi64ELi64ELi32ELi2ELb0EEvPKcS1_S1_S1_S1_PKiPfP15HIP_vector_typeIfLj2EEffffjfiS5_IjLj3EEiiiiiiiiiiiliiliiiiil.has_dyn_sized_stack, 0
	.set _ZL15flash_attn_tileILi64ELi64ELi32ELi2ELb0EEvPKcS1_S1_S1_S1_PKiPfP15HIP_vector_typeIfLj2EEffffjfiS5_IjLj3EEiiiiiiiiiiiliiliiiiil.has_recursion, 0
	.set _ZL15flash_attn_tileILi64ELi64ELi32ELi2ELb0EEvPKcS1_S1_S1_S1_PKiPfP15HIP_vector_typeIfLj2EEffffjfiS5_IjLj3EEiiiiiiiiiiiliiliiiiil.has_indirect_call, 0
	.section	.AMDGPU.csdata,"",@progbits
; Kernel info:
; codeLenInByte = 25328
; TotalNumSgprs: 52
; NumVgprs: 128
; ScratchSize: 84
; MemoryBound: 0
; FloatMode: 240
; IeeeMode: 1
; LDSByteSize: 25600 bytes/workgroup (compile time only)
; SGPRBlocks: 12
; VGPRBlocks: 31
; NumSGPRsForWavesPerEU: 102
; NumVGPRsForWavesPerEU: 128
; Occupancy: 2
; WaveLimiterHint : 1
; COMPUTE_PGM_RSRC2:SCRATCH_EN: 1
; COMPUTE_PGM_RSRC2:USER_SGPR: 6
; COMPUTE_PGM_RSRC2:TRAP_HANDLER: 0
; COMPUTE_PGM_RSRC2:TGID_X_EN: 1
; COMPUTE_PGM_RSRC2:TGID_Y_EN: 1
; COMPUTE_PGM_RSRC2:TGID_Z_EN: 1
; COMPUTE_PGM_RSRC2:TIDIG_COMP_CNT: 1
	.section	.text._ZL25flash_attn_mask_to_KV_maxILi32EEvPK7__half2Piiii,"axG",@progbits,_ZL25flash_attn_mask_to_KV_maxILi32EEvPK7__half2Piiii,comdat
	.globl	_ZL25flash_attn_mask_to_KV_maxILi32EEvPK7__half2Piiii ; -- Begin function _ZL25flash_attn_mask_to_KV_maxILi32EEvPK7__half2Piiii
	.p2align	8
	.type	_ZL25flash_attn_mask_to_KV_maxILi32EEvPK7__half2Piiii,@function
_ZL25flash_attn_mask_to_KV_maxILi32EEvPK7__half2Piiii: ; @_ZL25flash_attn_mask_to_KV_maxILi32EEvPK7__half2Piiii
; %bb.0:
	s_load_dwordx4 s[8:11], s[4:5], 0x0
	v_cmp_gt_u32_e32 vcc, 32, v0
	s_and_saveexec_b64 s[0:1], vcc
; %bb.1:
	v_lshlrev_b32_e32 v1, 2, v0
	v_mov_b32_e32 v2, 1
	ds_write_b32 v1, v2
; %bb.2:
	s_or_b64 exec, exec, s[0:1]
	s_load_dwordx4 s[12:15], s[4:5], 0x10
	s_load_dword s33, s[4:5], 0x20
	v_and_b32_e32 v1, 31, v0
	v_lshlrev_b32_e32 v6, 2, v1
	v_lshrrev_b32_e32 v5, 3, v0
	s_waitcnt lgkmcnt(0)
	s_mul_i32 s1, s6, s13
	s_mul_i32 s0, s14, s7
	s_lshl_b32 s1, s1, 5
	s_add_i32 s0, s0, s1
	s_ashr_i32 s1, s0, 31
	s_lshl_b64 s[0:1], s[0:1], 2
	s_add_u32 s94, s8, s0
	s_addc_u32 s95, s9, s1
	v_cmp_eq_u32_e64 s[0:1], 0, v1
	v_mbcnt_lo_u32_b32 v1, -1, 0
	s_lshl_b32 s12, s12, 8
	s_mov_b64 s[4:5], 0
	v_mov_b32_e32 v2, 0
	s_movk_i32 s92, 0x204
	v_mbcnt_hi_u32_b32 v7, -1, v1
	s_barrier
                                        ; implicit-def: $sgpr2_sgpr3
	s_branch .LBB34_5
.LBB34_3:                               ;   in Loop: Header=BB34_5 Depth=1
	s_or_b64 exec, exec, s[8:9]
	s_waitcnt lgkmcnt(0)
	s_barrier
	ds_read_b32 v10, v6
	s_waitcnt lgkmcnt(0)
	s_barrier
	ds_bpermute_b32 v1, v1, v10
	v_cmp_ne_u32_e32 vcc, 0, v10
	s_waitcnt lgkmcnt(0)
	v_cmp_ne_u32_e64 s[2:3], 0, v1
	s_and_b64 s[2:3], vcc, s[2:3]
	v_cndmask_b32_e64 v1, 0, 1, s[2:3]
	ds_bpermute_b32 v1, v3, v1
	s_waitcnt lgkmcnt(0)
	v_cmp_ne_u32_e32 vcc, 0, v1
	s_and_b64 s[2:3], vcc, s[2:3]
	v_cndmask_b32_e64 v1, 0, 1, s[2:3]
	ds_bpermute_b32 v1, v4, v1
	s_waitcnt lgkmcnt(0)
	v_cmp_ne_u32_e32 vcc, 0, v1
	;; [unrolled: 5-line block ×3, first 2 shown]
	s_and_b64 s[2:3], vcc, s[2:3]
	v_cndmask_b32_e64 v1, 0, 1, s[2:3]
	ds_bpermute_b32 v1, v9, v1
	s_xor_b64 s[2:3], s[2:3], -1
	s_waitcnt lgkmcnt(0)
	v_cmp_eq_u32_e32 vcc, 0, v1
	s_or_b64 s[2:3], vcc, s[2:3]
.LBB34_4:                               ;   in Loop: Header=BB34_5 Depth=1
	s_and_b64 s[8:9], exec, s[2:3]
	s_or_b64 s[4:5], s[8:9], s[4:5]
	v_mov_b32_e32 v1, s12
	s_mov_b32 s12, s93
	s_andn2_b64 exec, exec, s[4:5]
	s_cbranch_execz .LBB34_132
.LBB34_5:                               ; =>This Inner Loop Header: Depth=1
	s_add_i32 s93, s12, 0xffffff00
	s_or_b64 s[2:3], s[2:3], exec
	s_cmp_lt_i32 s93, 0
	s_cbranch_scc1 .LBB34_4
; %bb.6:                                ;   in Loop: Header=BB34_5 Depth=1
	s_lshr_b32 s2, s93, 1
	v_add_u32_e32 v1, s2, v0
	v_lshlrev_b64 v[3:4], 2, v[1:2]
	v_mov_b32_e32 v8, s95
	v_add_co_u32_e32 v3, vcc, s94, v3
	v_addc_co_u32_e32 v4, vcc, v8, v4, vcc
	global_load_dword v3, v[3:4], off
	v_mov_b32_e32 v4, 0
	s_waitcnt vmcnt(0)
	v_cmp_class_f16_e64 s[2:3], v3, s92
	v_cmp_class_f16_sdwa s[8:9], v3, s92 src0_sel:WORD_1 src1_sel:DWORD
	s_and_b64 s[8:9], s[2:3], s[8:9]
	s_and_saveexec_b64 s[2:3], s[8:9]
	s_cbranch_execz .LBB34_130
; %bb.7:                                ;   in Loop: Header=BB34_5 Depth=1
	v_add_u32_e32 v3, s13, v1
	v_ashrrev_i32_e32 v4, 31, v3
	v_lshlrev_b64 v[8:9], 2, v[3:4]
	v_mov_b32_e32 v1, s95
	v_add_co_u32_e32 v8, vcc, s94, v8
	v_addc_co_u32_e32 v9, vcc, v1, v9, vcc
	global_load_dword v1, v[8:9], off
	v_mov_b32_e32 v4, 0
	s_waitcnt vmcnt(0)
	v_cmp_class_f16_e64 s[14:15], v1, s92
	s_and_saveexec_b64 s[8:9], s[14:15]
	s_cbranch_execz .LBB34_129
; %bb.8:                                ;   in Loop: Header=BB34_5 Depth=1
	v_cmp_class_f16_sdwa s[16:17], v1, s92 src0_sel:WORD_1 src1_sel:DWORD
	v_mov_b32_e32 v4, 0
	s_and_saveexec_b64 s[14:15], s[16:17]
	s_cbranch_execz .LBB34_128
; %bb.9:                                ;   in Loop: Header=BB34_5 Depth=1
	v_add_u32_e32 v3, s13, v3
	v_ashrrev_i32_e32 v4, 31, v3
	v_lshlrev_b64 v[8:9], 2, v[3:4]
	v_mov_b32_e32 v1, s95
	v_add_co_u32_e32 v8, vcc, s94, v8
	v_addc_co_u32_e32 v9, vcc, v1, v9, vcc
	global_load_dword v1, v[8:9], off
	v_mov_b32_e32 v4, 0
	s_waitcnt vmcnt(0)
	v_cmp_class_f16_e64 s[18:19], v1, s92
	s_and_saveexec_b64 s[16:17], s[18:19]
	s_cbranch_execz .LBB34_127
; %bb.10:                               ;   in Loop: Header=BB34_5 Depth=1
	v_cmp_class_f16_sdwa s[20:21], v1, s92 src0_sel:WORD_1 src1_sel:DWORD
	v_mov_b32_e32 v4, 0
	s_and_saveexec_b64 s[18:19], s[20:21]
	s_cbranch_execz .LBB34_126
; %bb.11:                               ;   in Loop: Header=BB34_5 Depth=1
	v_add_u32_e32 v3, s13, v3
	v_ashrrev_i32_e32 v4, 31, v3
	v_lshlrev_b64 v[8:9], 2, v[3:4]
	v_mov_b32_e32 v1, s95
	v_add_co_u32_e32 v8, vcc, s94, v8
	v_addc_co_u32_e32 v9, vcc, v1, v9, vcc
	global_load_dword v1, v[8:9], off
	v_mov_b32_e32 v4, 0
	s_waitcnt vmcnt(0)
	v_cmp_class_f16_e64 s[22:23], v1, s92
	s_and_saveexec_b64 s[20:21], s[22:23]
	s_cbranch_execz .LBB34_125
; %bb.12:                               ;   in Loop: Header=BB34_5 Depth=1
	v_cmp_class_f16_sdwa s[24:25], v1, s92 src0_sel:WORD_1 src1_sel:DWORD
	v_mov_b32_e32 v4, 0
	s_and_saveexec_b64 s[22:23], s[24:25]
	s_cbranch_execz .LBB34_124
; %bb.13:                               ;   in Loop: Header=BB34_5 Depth=1
	;; [unrolled: 18-line block ×18, first 2 shown]
	v_add_u32_e32 v3, s13, v3
	v_ashrrev_i32_e32 v4, 31, v3
	v_lshlrev_b64 v[8:9], 2, v[3:4]
	v_mov_b32_e32 v1, s95
	v_add_co_u32_e32 v8, vcc, s94, v8
	v_addc_co_u32_e32 v9, vcc, v1, v9, vcc
	global_load_dword v1, v[8:9], off
	v_mov_b32_e32 v4, 0
	s_waitcnt vmcnt(0)
	v_cmp_class_f16_e64 vcc, v1, s92
	s_mov_b64 s[90:91], exec
                                        ; implicit-def: $vgpr12 : SGPR spill to VGPR lane
	v_writelane_b32 v12, s90, 0
	s_and_b64 vcc, s[90:91], vcc
	v_writelane_b32 v12, s91, 1
	s_mov_b64 exec, vcc
	s_cbranch_execz .LBB34_91
; %bb.46:                               ;   in Loop: Header=BB34_5 Depth=1
	v_mov_b32_e32 v4, 0
	v_cmp_class_f16_sdwa s[90:91], v1, s92 src0_sel:WORD_1 src1_sel:DWORD
	s_mov_b64 vcc, exec
	v_writelane_b32 v12, vcc_lo, 2
	s_and_b64 s[90:91], vcc, s[90:91]
	v_writelane_b32 v12, vcc_hi, 3
	s_mov_b64 exec, s[90:91]
	s_cbranch_execz .LBB34_90
; %bb.47:                               ;   in Loop: Header=BB34_5 Depth=1
	v_add_u32_e32 v3, s13, v3
	v_ashrrev_i32_e32 v4, 31, v3
	v_lshlrev_b64 v[8:9], 2, v[3:4]
	v_mov_b32_e32 v1, s95
	v_add_co_u32_e32 v8, vcc, s94, v8
	v_addc_co_u32_e32 v9, vcc, v1, v9, vcc
	global_load_dword v1, v[8:9], off
	v_mov_b32_e32 v4, 0
	s_waitcnt vmcnt(0)
	v_cmp_class_f16_e64 s[90:91], v1, s92
	s_mov_b64 vcc, exec
	v_writelane_b32 v12, vcc_lo, 4
	s_and_b64 s[90:91], vcc, s[90:91]
	v_writelane_b32 v12, vcc_hi, 5
	s_mov_b64 exec, s[90:91]
	s_cbranch_execz .LBB34_89
; %bb.48:                               ;   in Loop: Header=BB34_5 Depth=1
	v_mov_b32_e32 v4, 0
	v_cmp_class_f16_sdwa s[90:91], v1, s92 src0_sel:WORD_1 src1_sel:DWORD
	s_mov_b64 vcc, exec
	v_writelane_b32 v12, vcc_lo, 6
	s_and_b64 s[90:91], vcc, s[90:91]
	v_writelane_b32 v12, vcc_hi, 7
	s_mov_b64 exec, s[90:91]
	s_cbranch_execz .LBB34_88
; %bb.49:                               ;   in Loop: Header=BB34_5 Depth=1
	v_add_u32_e32 v3, s13, v3
	v_ashrrev_i32_e32 v4, 31, v3
	v_lshlrev_b64 v[8:9], 2, v[3:4]
	v_mov_b32_e32 v1, s95
	v_add_co_u32_e32 v8, vcc, s94, v8
	v_addc_co_u32_e32 v9, vcc, v1, v9, vcc
	global_load_dword v1, v[8:9], off
	v_mov_b32_e32 v4, 0
	s_waitcnt vmcnt(0)
	v_cmp_class_f16_e64 s[90:91], v1, s92
	s_mov_b64 vcc, exec
	v_writelane_b32 v12, vcc_lo, 8
	s_and_b64 s[90:91], vcc, s[90:91]
	v_writelane_b32 v12, vcc_hi, 9
	s_mov_b64 exec, s[90:91]
	;; [unrolled: 26-line block ×11, first 2 shown]
; %bb.68:                               ;   in Loop: Header=BB34_5 Depth=1
	v_cmp_class_f16_sdwa s[90:91], v1, s92 src0_sel:WORD_1 src1_sel:DWORD
	v_cndmask_b32_e64 v4, 0, 1, s[90:91]
; %bb.69:                               ;   in Loop: Header=BB34_5 Depth=1
	v_readlane_b32 s90, v12, 44
	v_readlane_b32 s91, v12, 45
	s_or_b64 exec, exec, s[90:91]
.LBB34_70:                              ;   in Loop: Header=BB34_5 Depth=1
	v_readlane_b32 s90, v12, 42
	v_readlane_b32 s91, v12, 43
	s_or_b64 exec, exec, s[90:91]
.LBB34_71:                              ;   in Loop: Header=BB34_5 Depth=1
	v_readlane_b32 s90, v12, 40
	v_readlane_b32 s91, v12, 41
	s_or_b64 exec, exec, s[90:91]
.LBB34_72:                              ;   in Loop: Header=BB34_5 Depth=1
	v_readlane_b32 s90, v12, 38
	v_readlane_b32 s91, v12, 39
	s_or_b64 exec, exec, s[90:91]
.LBB34_73:                              ;   in Loop: Header=BB34_5 Depth=1
	v_readlane_b32 s90, v12, 36
	v_readlane_b32 s91, v12, 37
	s_or_b64 exec, exec, s[90:91]
.LBB34_74:                              ;   in Loop: Header=BB34_5 Depth=1
	v_readlane_b32 s90, v12, 34
	v_readlane_b32 s91, v12, 35
	s_or_b64 exec, exec, s[90:91]
.LBB34_75:                              ;   in Loop: Header=BB34_5 Depth=1
	v_readlane_b32 s90, v12, 32
	v_readlane_b32 s91, v12, 33
	s_or_b64 exec, exec, s[90:91]
.LBB34_76:                              ;   in Loop: Header=BB34_5 Depth=1
	v_readlane_b32 s90, v12, 30
	v_readlane_b32 s91, v12, 31
	s_or_b64 exec, exec, s[90:91]
.LBB34_77:                              ;   in Loop: Header=BB34_5 Depth=1
	v_readlane_b32 s90, v12, 28
	v_readlane_b32 s91, v12, 29
	s_or_b64 exec, exec, s[90:91]
.LBB34_78:                              ;   in Loop: Header=BB34_5 Depth=1
	v_readlane_b32 s90, v12, 26
	v_readlane_b32 s91, v12, 27
	s_or_b64 exec, exec, s[90:91]
.LBB34_79:                              ;   in Loop: Header=BB34_5 Depth=1
	v_readlane_b32 s90, v12, 24
	v_readlane_b32 s91, v12, 25
	s_or_b64 exec, exec, s[90:91]
.LBB34_80:                              ;   in Loop: Header=BB34_5 Depth=1
	v_readlane_b32 s90, v12, 22
	v_readlane_b32 s91, v12, 23
	s_or_b64 exec, exec, s[90:91]
.LBB34_81:                              ;   in Loop: Header=BB34_5 Depth=1
	v_readlane_b32 s90, v12, 20
	v_readlane_b32 s91, v12, 21
	s_or_b64 exec, exec, s[90:91]
.LBB34_82:                              ;   in Loop: Header=BB34_5 Depth=1
	v_readlane_b32 s90, v12, 18
	v_readlane_b32 s91, v12, 19
	s_or_b64 exec, exec, s[90:91]
.LBB34_83:                              ;   in Loop: Header=BB34_5 Depth=1
	v_readlane_b32 s90, v12, 16
	v_readlane_b32 s91, v12, 17
	s_or_b64 exec, exec, s[90:91]
.LBB34_84:                              ;   in Loop: Header=BB34_5 Depth=1
	v_readlane_b32 s90, v12, 14
	v_readlane_b32 s91, v12, 15
	s_or_b64 exec, exec, s[90:91]
.LBB34_85:                              ;   in Loop: Header=BB34_5 Depth=1
	v_readlane_b32 s90, v12, 12
	v_readlane_b32 s91, v12, 13
	s_or_b64 exec, exec, s[90:91]
.LBB34_86:                              ;   in Loop: Header=BB34_5 Depth=1
	v_readlane_b32 s90, v12, 10
	v_readlane_b32 s91, v12, 11
	s_or_b64 exec, exec, s[90:91]
.LBB34_87:                              ;   in Loop: Header=BB34_5 Depth=1
	v_readlane_b32 s90, v12, 8
	v_readlane_b32 s91, v12, 9
	s_or_b64 exec, exec, s[90:91]
.LBB34_88:                              ;   in Loop: Header=BB34_5 Depth=1
	v_readlane_b32 s90, v12, 6
	v_readlane_b32 s91, v12, 7
	s_or_b64 exec, exec, s[90:91]
.LBB34_89:                              ;   in Loop: Header=BB34_5 Depth=1
	v_readlane_b32 s90, v12, 4
	v_readlane_b32 s91, v12, 5
	s_or_b64 exec, exec, s[90:91]
.LBB34_90:                              ;   in Loop: Header=BB34_5 Depth=1
	v_readlane_b32 s90, v12, 2
	v_readlane_b32 s91, v12, 3
	s_or_b64 exec, exec, s[90:91]
.LBB34_91:                              ;   in Loop: Header=BB34_5 Depth=1
	v_readlane_b32 s90, v12, 0
	v_readlane_b32 s91, v12, 1
	s_or_b64 exec, exec, s[90:91]
.LBB34_92:                              ;   in Loop: Header=BB34_5 Depth=1
	s_or_b64 exec, exec, s[88:89]
.LBB34_93:                              ;   in Loop: Header=BB34_5 Depth=1
	s_or_b64 exec, exec, s[86:87]
.LBB34_94:                              ;   in Loop: Header=BB34_5 Depth=1
	s_or_b64 exec, exec, s[84:85]
.LBB34_95:                              ;   in Loop: Header=BB34_5 Depth=1
	s_or_b64 exec, exec, s[82:83]
.LBB34_96:                              ;   in Loop: Header=BB34_5 Depth=1
	s_or_b64 exec, exec, s[80:81]
.LBB34_97:                              ;   in Loop: Header=BB34_5 Depth=1
	s_or_b64 exec, exec, s[78:79]
.LBB34_98:                              ;   in Loop: Header=BB34_5 Depth=1
	s_or_b64 exec, exec, s[76:77]
.LBB34_99:                              ;   in Loop: Header=BB34_5 Depth=1
	s_or_b64 exec, exec, s[74:75]
.LBB34_100:                             ;   in Loop: Header=BB34_5 Depth=1
	s_or_b64 exec, exec, s[72:73]
.LBB34_101:                             ;   in Loop: Header=BB34_5 Depth=1
	s_or_b64 exec, exec, s[70:71]
.LBB34_102:                             ;   in Loop: Header=BB34_5 Depth=1
	s_or_b64 exec, exec, s[68:69]
.LBB34_103:                             ;   in Loop: Header=BB34_5 Depth=1
	s_or_b64 exec, exec, s[66:67]
.LBB34_104:                             ;   in Loop: Header=BB34_5 Depth=1
	s_or_b64 exec, exec, s[64:65]
.LBB34_105:                             ;   in Loop: Header=BB34_5 Depth=1
	s_or_b64 exec, exec, s[62:63]
.LBB34_106:                             ;   in Loop: Header=BB34_5 Depth=1
	s_or_b64 exec, exec, s[60:61]
.LBB34_107:                             ;   in Loop: Header=BB34_5 Depth=1
	s_or_b64 exec, exec, s[58:59]
.LBB34_108:                             ;   in Loop: Header=BB34_5 Depth=1
	s_or_b64 exec, exec, s[56:57]
.LBB34_109:                             ;   in Loop: Header=BB34_5 Depth=1
	s_or_b64 exec, exec, s[54:55]
.LBB34_110:                             ;   in Loop: Header=BB34_5 Depth=1
	s_or_b64 exec, exec, s[52:53]
.LBB34_111:                             ;   in Loop: Header=BB34_5 Depth=1
	s_or_b64 exec, exec, s[50:51]
.LBB34_112:                             ;   in Loop: Header=BB34_5 Depth=1
	s_or_b64 exec, exec, s[48:49]
.LBB34_113:                             ;   in Loop: Header=BB34_5 Depth=1
	s_or_b64 exec, exec, s[46:47]
.LBB34_114:                             ;   in Loop: Header=BB34_5 Depth=1
	s_or_b64 exec, exec, s[44:45]
.LBB34_115:                             ;   in Loop: Header=BB34_5 Depth=1
	s_or_b64 exec, exec, s[42:43]
.LBB34_116:                             ;   in Loop: Header=BB34_5 Depth=1
	s_or_b64 exec, exec, s[40:41]
.LBB34_117:                             ;   in Loop: Header=BB34_5 Depth=1
	s_or_b64 exec, exec, s[38:39]
.LBB34_118:                             ;   in Loop: Header=BB34_5 Depth=1
	s_or_b64 exec, exec, s[36:37]
.LBB34_119:                             ;   in Loop: Header=BB34_5 Depth=1
	s_or_b64 exec, exec, s[34:35]
.LBB34_120:                             ;   in Loop: Header=BB34_5 Depth=1
	s_or_b64 exec, exec, s[30:31]
.LBB34_121:                             ;   in Loop: Header=BB34_5 Depth=1
	s_or_b64 exec, exec, s[28:29]
.LBB34_122:                             ;   in Loop: Header=BB34_5 Depth=1
	s_or_b64 exec, exec, s[26:27]
.LBB34_123:                             ;   in Loop: Header=BB34_5 Depth=1
	s_or_b64 exec, exec, s[24:25]
.LBB34_124:                             ;   in Loop: Header=BB34_5 Depth=1
	s_or_b64 exec, exec, s[22:23]
.LBB34_125:                             ;   in Loop: Header=BB34_5 Depth=1
	s_or_b64 exec, exec, s[20:21]
.LBB34_126:                             ;   in Loop: Header=BB34_5 Depth=1
	s_or_b64 exec, exec, s[18:19]
.LBB34_127:                             ;   in Loop: Header=BB34_5 Depth=1
	s_or_b64 exec, exec, s[16:17]
.LBB34_128:                             ;   in Loop: Header=BB34_5 Depth=1
	s_or_b64 exec, exec, s[14:15]
.LBB34_129:                             ;   in Loop: Header=BB34_5 Depth=1
	s_or_b64 exec, exec, s[8:9]
.LBB34_130:                             ;   in Loop: Header=BB34_5 Depth=1
	s_or_b64 exec, exec, s[2:3]
	v_and_b32_e32 v1, 0x60, v7
	v_add_u32_e32 v9, 32, v1
	v_xor_b32_e32 v1, 16, v7
	v_cmp_lt_i32_e32 vcc, v1, v9
	v_cndmask_b32_e32 v1, v7, v1, vcc
	v_lshlrev_b32_e32 v1, 2, v1
	ds_bpermute_b32 v3, v1, v4
	v_cmp_ne_u32_e32 vcc, 0, v4
	v_xor_b32_e32 v11, 1, v7
	s_waitcnt lgkmcnt(0)
	v_cmp_ne_u32_e64 s[2:3], 0, v3
	v_xor_b32_e32 v3, 8, v7
	s_and_b64 s[2:3], vcc, s[2:3]
	v_cmp_lt_i32_e32 vcc, v3, v9
	v_cndmask_b32_e32 v3, v7, v3, vcc
	v_cndmask_b32_e64 v4, 0, 1, s[2:3]
	v_lshlrev_b32_e32 v3, 2, v3
	ds_bpermute_b32 v4, v3, v4
	s_waitcnt lgkmcnt(0)
	v_cmp_ne_u32_e32 vcc, 0, v4
	v_xor_b32_e32 v4, 4, v7
	s_and_b64 s[2:3], vcc, s[2:3]
	v_cmp_lt_i32_e32 vcc, v4, v9
	v_cndmask_b32_e32 v4, v7, v4, vcc
	v_cndmask_b32_e64 v8, 0, 1, s[2:3]
	v_lshlrev_b32_e32 v4, 2, v4
	ds_bpermute_b32 v8, v4, v8
	s_waitcnt lgkmcnt(0)
	v_cmp_ne_u32_e32 vcc, 0, v8
	;; [unrolled: 9-line block ×3, first 2 shown]
	s_and_b64 s[2:3], vcc, s[2:3]
	v_cmp_lt_i32_e32 vcc, v11, v9
	v_cndmask_b32_e32 v9, v7, v11, vcc
	v_cndmask_b32_e64 v10, 0, 1, s[2:3]
	v_lshlrev_b32_e32 v9, 2, v9
	ds_bpermute_b32 v10, v9, v10
	s_and_saveexec_b64 s[8:9], s[0:1]
	s_cbranch_execz .LBB34_3
; %bb.131:                              ;   in Loop: Header=BB34_5 Depth=1
	s_waitcnt lgkmcnt(0)
	v_cmp_ne_u32_e32 vcc, 0, v10
	s_and_b64 s[2:3], vcc, s[2:3]
	v_cndmask_b32_e64 v10, 0, 1, s[2:3]
	ds_write_b32 v5, v10
	s_branch .LBB34_3
.LBB34_132:
	s_or_b64 exec, exec, s[4:5]
	v_cmp_eq_u32_e32 vcc, 0, v0
	s_and_saveexec_b64 s[0:1], vcc
	s_cbranch_execz .LBB34_134
; %bb.133:
	s_mul_i32 s0, s33, s7
	s_add_i32 s0, s0, s6
	s_ashr_i32 s1, s0, 31
	s_lshl_b64 s[0:1], s[0:1], 2
	s_add_u32 s0, s10, s0
	s_addc_u32 s1, s11, s1
	v_mov_b32_e32 v0, 0
	global_store_dword v0, v1, s[0:1]
.LBB34_134:
	s_endpgm
	.section	.rodata,"a",@progbits
	.p2align	6, 0x0
	.amdhsa_kernel _ZL25flash_attn_mask_to_KV_maxILi32EEvPK7__half2Piiii
		.amdhsa_group_segment_fixed_size 128
		.amdhsa_private_segment_fixed_size 0
		.amdhsa_kernarg_size 288
		.amdhsa_user_sgpr_count 6
		.amdhsa_user_sgpr_private_segment_buffer 1
		.amdhsa_user_sgpr_dispatch_ptr 0
		.amdhsa_user_sgpr_queue_ptr 0
		.amdhsa_user_sgpr_kernarg_segment_ptr 1
		.amdhsa_user_sgpr_dispatch_id 0
		.amdhsa_user_sgpr_flat_scratch_init 0
		.amdhsa_user_sgpr_private_segment_size 0
		.amdhsa_uses_dynamic_stack 0
		.amdhsa_system_sgpr_private_segment_wavefront_offset 0
		.amdhsa_system_sgpr_workgroup_id_x 1
		.amdhsa_system_sgpr_workgroup_id_y 1
		.amdhsa_system_sgpr_workgroup_id_z 0
		.amdhsa_system_sgpr_workgroup_info 0
		.amdhsa_system_vgpr_workitem_id 0
		.amdhsa_next_free_vgpr 13
		.amdhsa_next_free_sgpr 96
		.amdhsa_reserve_vcc 1
		.amdhsa_reserve_flat_scratch 0
		.amdhsa_float_round_mode_32 0
		.amdhsa_float_round_mode_16_64 0
		.amdhsa_float_denorm_mode_32 3
		.amdhsa_float_denorm_mode_16_64 3
		.amdhsa_dx10_clamp 1
		.amdhsa_ieee_mode 1
		.amdhsa_fp16_overflow 0
		.amdhsa_exception_fp_ieee_invalid_op 0
		.amdhsa_exception_fp_denorm_src 0
		.amdhsa_exception_fp_ieee_div_zero 0
		.amdhsa_exception_fp_ieee_overflow 0
		.amdhsa_exception_fp_ieee_underflow 0
		.amdhsa_exception_fp_ieee_inexact 0
		.amdhsa_exception_int_div_zero 0
	.end_amdhsa_kernel
	.section	.text._ZL25flash_attn_mask_to_KV_maxILi32EEvPK7__half2Piiii,"axG",@progbits,_ZL25flash_attn_mask_to_KV_maxILi32EEvPK7__half2Piiii,comdat
.Lfunc_end34:
	.size	_ZL25flash_attn_mask_to_KV_maxILi32EEvPK7__half2Piiii, .Lfunc_end34-_ZL25flash_attn_mask_to_KV_maxILi32EEvPK7__half2Piiii
                                        ; -- End function
	.set _ZL25flash_attn_mask_to_KV_maxILi32EEvPK7__half2Piiii.num_vgpr, 13
	.set _ZL25flash_attn_mask_to_KV_maxILi32EEvPK7__half2Piiii.num_agpr, 0
	.set _ZL25flash_attn_mask_to_KV_maxILi32EEvPK7__half2Piiii.numbered_sgpr, 96
	.set _ZL25flash_attn_mask_to_KV_maxILi32EEvPK7__half2Piiii.num_named_barrier, 0
	.set _ZL25flash_attn_mask_to_KV_maxILi32EEvPK7__half2Piiii.private_seg_size, 0
	.set _ZL25flash_attn_mask_to_KV_maxILi32EEvPK7__half2Piiii.uses_vcc, 1
	.set _ZL25flash_attn_mask_to_KV_maxILi32EEvPK7__half2Piiii.uses_flat_scratch, 0
	.set _ZL25flash_attn_mask_to_KV_maxILi32EEvPK7__half2Piiii.has_dyn_sized_stack, 0
	.set _ZL25flash_attn_mask_to_KV_maxILi32EEvPK7__half2Piiii.has_recursion, 0
	.set _ZL25flash_attn_mask_to_KV_maxILi32EEvPK7__half2Piiii.has_indirect_call, 0
	.section	.AMDGPU.csdata,"",@progbits
; Kernel info:
; codeLenInByte = 4392
; TotalNumSgprs: 100
; NumVgprs: 13
; ScratchSize: 0
; MemoryBound: 0
; FloatMode: 240
; IeeeMode: 1
; LDSByteSize: 128 bytes/workgroup (compile time only)
; SGPRBlocks: 12
; VGPRBlocks: 3
; NumSGPRsForWavesPerEU: 100
; NumVGPRsForWavesPerEU: 13
; Occupancy: 8
; WaveLimiterHint : 0
; COMPUTE_PGM_RSRC2:SCRATCH_EN: 0
; COMPUTE_PGM_RSRC2:USER_SGPR: 6
; COMPUTE_PGM_RSRC2:TRAP_HANDLER: 0
; COMPUTE_PGM_RSRC2:TGID_X_EN: 1
; COMPUTE_PGM_RSRC2:TGID_Y_EN: 1
; COMPUTE_PGM_RSRC2:TGID_Z_EN: 0
; COMPUTE_PGM_RSRC2:TIDIG_COMP_CNT: 0
	.section	.text._ZL33flash_attn_stream_k_fixup_uniformILi64ELi32ELi2EEvPfPK15HIP_vector_typeIfLj2EEiiiiiiS1_IjLj3EES5_S5_,"axG",@progbits,_ZL33flash_attn_stream_k_fixup_uniformILi64ELi32ELi2EEvPfPK15HIP_vector_typeIfLj2EEiiiiiiS1_IjLj3EES5_S5_,comdat
	.globl	_ZL33flash_attn_stream_k_fixup_uniformILi64ELi32ELi2EEvPfPK15HIP_vector_typeIfLj2EEiiiiiiS1_IjLj3EES5_S5_ ; -- Begin function _ZL33flash_attn_stream_k_fixup_uniformILi64ELi32ELi2EEvPfPK15HIP_vector_typeIfLj2EEiiiiiiS1_IjLj3EES5_S5_
	.p2align	8
	.type	_ZL33flash_attn_stream_k_fixup_uniformILi64ELi32ELi2EEvPfPK15HIP_vector_typeIfLj2EEiiiiiiS1_IjLj3EES5_S5_,@function
_ZL33flash_attn_stream_k_fixup_uniformILi64ELi32ELi2EEvPfPK15HIP_vector_typeIfLj2EEiiiiiiS1_IjLj3EES5_S5_: ; @_ZL33flash_attn_stream_k_fixup_uniformILi64ELi32ELi2EEvPfPK15HIP_vector_typeIfLj2EEiiiiiiS1_IjLj3EES5_S5_
; %bb.0:
	s_load_dwordx8 s[12:19], s[4:5], 0x1c
	s_load_dwordx2 s[10:11], s[4:5], 0x10
	s_load_dwordx4 s[0:3], s[4:5], 0x3c
	s_waitcnt lgkmcnt(0)
	s_mul_hi_u32 s9, s15, s6
	s_add_i32 s9, s6, s9
	s_lshr_b32 s9, s9, s16
	s_mul_i32 s15, s9, s17
	s_sub_i32 s15, s6, s15
	s_mul_hi_u32 s16, s15, s18
	s_add_i32 s16, s15, s16
	s_lshr_b32 s16, s16, s19
	s_mul_i32 s0, s16, s0
	s_sub_i32 s0, s15, s0
	;; [unrolled: 5-line block ×3, first 2 shown]
	s_lshl_b32 s0, s17, 5
	s_lshl_b32 s15, s1, 1
	s_add_i32 s0, s0, s7
	s_cmp_lt_i32 s0, s10
	s_cselect_b64 s[0:1], -1, 0
	s_add_i32 s2, s15, s8
	s_cmp_lt_i32 s2, s13
	s_cselect_b64 s[2:3], -1, 0
	s_and_b64 s[0:1], s[0:1], s[2:3]
	s_andn2_b64 vcc, exec, s[0:1]
	s_cbranch_vccnz .LBB35_6
; %bb.1:
	s_load_dwordx4 s[0:3], s[4:5], 0x0
	s_mul_i32 s4, s9, s10
	s_add_i32 s4, s4, s7
	s_mul_i32 s4, s4, s11
	s_mul_i32 s16, s16, s13
	s_add_i32 s4, s4, s8
	s_add_i32 s4, s4, s16
	s_mul_i32 s5, s11, s17
	s_add_i32 s4, s4, s15
	s_lshl_b32 s5, s5, 11
	s_lshl_b32 s4, s4, 6
	s_add_i32 s5, s5, s4
	v_or_b32_e32 v1, s5, v0
	v_ashrrev_i32_e32 v2, 31, v1
	v_lshlrev_b64 v[1:2], 2, v[1:2]
	s_waitcnt lgkmcnt(0)
	v_mov_b32_e32 v3, s1
	v_add_co_u32_e32 v1, vcc, s0, v1
	v_addc_co_u32_e32 v2, vcc, v3, v2, vcc
	global_load_dword v8, v[1:2], off
	s_mul_i32 s9, s14, s6
	s_lshl_b32 s4, s7, 1
	s_add_i32 s11, s9, s14
	s_add_i32 s0, s4, s8
	s_lshl_b32 s1, s11, 6
	s_add_i32 s0, s0, s1
	s_sub_i32 s0, s0, 64
	s_ashr_i32 s1, s0, 31
	s_lshl_b64 s[0:1], s[0:1], 3
	s_add_u32 s0, s2, s0
	s_addc_u32 s1, s3, s1
	s_load_dword s5, s[0:1], 0x4
	s_add_i32 s10, s11, -2
	s_cmp_lt_i32 s10, s9
	s_cbranch_scc1 .LBB35_4
; %bb.2:
	s_lshl_b32 s16, s12, 8
	s_ashr_i32 s17, s16, 31
	s_lshl_b64 s[16:17], s[16:17], 2
	s_add_u32 s10, s2, s16
	s_addc_u32 s13, s3, s17
	s_add_i32 s6, s6, 1
	s_load_dword s0, s[0:1], 0x0
	s_mul_i32 s1, s14, s6
	s_lshl_b32 s7, s7, 7
	s_lshl_b32 s14, s8, 6
	;; [unrolled: 1-line block ×3, first 2 shown]
	s_add_i32 s7, s14, s7
	s_lshl_b32 s1, s1, 6
	s_add_i32 s7, s7, s6
	s_add_i32 s1, s8, s1
	s_lshl_b32 s6, s12, 6
	s_add_i32 s1, s1, s6
	v_or_b32_e32 v0, s7, v0
	s_add_i32 s1, s1, s4
	s_add_i32 s11, s11, -1
	v_add_u32_e32 v3, 0xffffe000, v0
	s_add_i32 s4, s1, 0xffffff80
	s_waitcnt lgkmcnt(0)
	v_mov_b32_e32 v7, s5
	v_mov_b32_e32 v6, s0
	;; [unrolled: 1-line block ×3, first 2 shown]
	s_mov_b32 s6, 0x3fb8aa3b
	s_mov_b32 s7, 0xc2ce8ed0
	;; [unrolled: 1-line block ×3, first 2 shown]
	v_mov_b32_e32 v5, 0x7f800000
	s_mov_b32 s12, 0xc1a00000
.LBB35_3:                               ; =>This Inner Loop Header: Depth=1
	v_ashrrev_i32_e32 v4, 31, v3
	v_lshlrev_b64 v[9:10], 2, v[3:4]
	s_ashr_i32 s5, s4, 31
	v_add_co_u32_e32 v9, vcc, s10, v9
	v_addc_co_u32_e32 v10, vcc, v0, v10, vcc
	global_load_dword v4, v[9:10], off
	s_lshl_b64 s[0:1], s[4:5], 3
	s_add_u32 s0, s2, s0
	s_addc_u32 s1, s3, s1
	s_load_dwordx2 s[14:15], s[0:1], 0x0
	s_waitcnt vmcnt(1)
	v_mov_b32_e32 v9, v8
	v_max_f32_e32 v8, v6, v6
	v_mov_b32_e32 v10, v7
	s_add_i32 s11, s11, -1
	s_waitcnt lgkmcnt(0)
	v_max_f32_e64 v7, s14, s14
	v_max_f32_e32 v7, v8, v7
	v_sub_f32_e32 v11, s14, v7
	v_sub_f32_e32 v8, v6, v7
	v_mul_f32_e32 v12, 0x3fb8aa3b, v11
	v_mov_b32_e32 v6, v7
	v_mul_f32_e32 v7, 0x3fb8aa3b, v8
	v_fma_f32 v15, v11, s6, -v12
	v_rndne_f32_e32 v16, v12
	v_fma_f32 v13, v8, s6, -v7
	v_rndne_f32_e32 v14, v7
	v_fmac_f32_e32 v15, 0x32a5705f, v11
	v_sub_f32_e32 v12, v12, v16
	v_fmac_f32_e32 v13, 0x32a5705f, v8
	v_sub_f32_e32 v7, v7, v14
	v_add_f32_e32 v12, v12, v15
	v_cvt_i32_f32_e32 v16, v16
	v_add_f32_e32 v7, v7, v13
	v_exp_f32_e32 v12, v12
	v_cvt_i32_f32_e32 v14, v14
	v_exp_f32_e32 v7, v7
	v_cmp_ngt_f32_e32 vcc, s7, v11
	v_ldexp_f32 v12, v12, v16
	v_cmp_ngt_f32_e64 s[0:1], s7, v8
	v_ldexp_f32 v7, v7, v14
	v_cndmask_b32_e32 v12, 0, v12, vcc
	v_cmp_nlt_f32_e32 vcc, s8, v11
	v_cndmask_b32_e64 v7, 0, v7, s[0:1]
	v_cmp_nlt_f32_e64 s[0:1], s8, v8
	v_cndmask_b32_e32 v12, v5, v12, vcc
	v_cmp_le_f32_e32 vcc, s12, v11
	v_cndmask_b32_e64 v7, v5, v7, s[0:1]
	v_cmp_le_f32_e64 s[0:1], s12, v8
	v_cndmask_b32_e32 v8, 0, v12, vcc
	s_sub_i32 s4, s4, 64
	v_cndmask_b32_e64 v11, 0, v7, s[0:1]
	v_mul_f32_e32 v7, s15, v8
	v_add_u32_e32 v3, 0xfffff000, v3
	s_cmp_le_i32 s11, s9
	v_fmac_f32_e32 v7, v10, v11
	s_waitcnt vmcnt(0)
	v_mul_f32_e32 v8, v4, v8
	v_fmac_f32_e32 v8, v9, v11
	s_cbranch_scc0 .LBB35_3
	s_branch .LBB35_5
.LBB35_4:
	s_waitcnt lgkmcnt(0)
	v_mov_b32_e32 v7, s5
.LBB35_5:
	s_waitcnt vmcnt(0)
	v_div_scale_f32 v0, s[0:1], v7, v7, v8
	v_div_scale_f32 v3, vcc, v8, v7, v8
	v_rcp_f32_e32 v4, v0
	v_fma_f32 v5, -v0, v4, 1.0
	v_fmac_f32_e32 v4, v5, v4
	v_mul_f32_e32 v5, v3, v4
	v_fma_f32 v6, -v0, v5, v3
	v_fmac_f32_e32 v5, v6, v4
	v_fma_f32 v0, -v0, v5, v3
	v_div_fmas_f32 v0, v0, v4, v5
	v_div_fixup_f32 v0, v0, v7, v8
	global_store_dword v[1:2], v0, off
.LBB35_6:
	s_endpgm
	.section	.rodata,"a",@progbits
	.p2align	6, 0x0
	.amdhsa_kernel _ZL33flash_attn_stream_k_fixup_uniformILi64ELi32ELi2EEvPfPK15HIP_vector_typeIfLj2EEiiiiiiS1_IjLj3EES5_S5_
		.amdhsa_group_segment_fixed_size 0
		.amdhsa_private_segment_fixed_size 0
		.amdhsa_kernarg_size 76
		.amdhsa_user_sgpr_count 6
		.amdhsa_user_sgpr_private_segment_buffer 1
		.amdhsa_user_sgpr_dispatch_ptr 0
		.amdhsa_user_sgpr_queue_ptr 0
		.amdhsa_user_sgpr_kernarg_segment_ptr 1
		.amdhsa_user_sgpr_dispatch_id 0
		.amdhsa_user_sgpr_flat_scratch_init 0
		.amdhsa_user_sgpr_private_segment_size 0
		.amdhsa_uses_dynamic_stack 0
		.amdhsa_system_sgpr_private_segment_wavefront_offset 0
		.amdhsa_system_sgpr_workgroup_id_x 1
		.amdhsa_system_sgpr_workgroup_id_y 1
		.amdhsa_system_sgpr_workgroup_id_z 1
		.amdhsa_system_sgpr_workgroup_info 0
		.amdhsa_system_vgpr_workitem_id 0
		.amdhsa_next_free_vgpr 17
		.amdhsa_next_free_sgpr 20
		.amdhsa_reserve_vcc 1
		.amdhsa_reserve_flat_scratch 0
		.amdhsa_float_round_mode_32 0
		.amdhsa_float_round_mode_16_64 0
		.amdhsa_float_denorm_mode_32 3
		.amdhsa_float_denorm_mode_16_64 3
		.amdhsa_dx10_clamp 1
		.amdhsa_ieee_mode 1
		.amdhsa_fp16_overflow 0
		.amdhsa_exception_fp_ieee_invalid_op 0
		.amdhsa_exception_fp_denorm_src 0
		.amdhsa_exception_fp_ieee_div_zero 0
		.amdhsa_exception_fp_ieee_overflow 0
		.amdhsa_exception_fp_ieee_underflow 0
		.amdhsa_exception_fp_ieee_inexact 0
		.amdhsa_exception_int_div_zero 0
	.end_amdhsa_kernel
	.section	.text._ZL33flash_attn_stream_k_fixup_uniformILi64ELi32ELi2EEvPfPK15HIP_vector_typeIfLj2EEiiiiiiS1_IjLj3EES5_S5_,"axG",@progbits,_ZL33flash_attn_stream_k_fixup_uniformILi64ELi32ELi2EEvPfPK15HIP_vector_typeIfLj2EEiiiiiiS1_IjLj3EES5_S5_,comdat
.Lfunc_end35:
	.size	_ZL33flash_attn_stream_k_fixup_uniformILi64ELi32ELi2EEvPfPK15HIP_vector_typeIfLj2EEiiiiiiS1_IjLj3EES5_S5_, .Lfunc_end35-_ZL33flash_attn_stream_k_fixup_uniformILi64ELi32ELi2EEvPfPK15HIP_vector_typeIfLj2EEiiiiiiS1_IjLj3EES5_S5_
                                        ; -- End function
	.set _ZL33flash_attn_stream_k_fixup_uniformILi64ELi32ELi2EEvPfPK15HIP_vector_typeIfLj2EEiiiiiiS1_IjLj3EES5_S5_.num_vgpr, 17
	.set _ZL33flash_attn_stream_k_fixup_uniformILi64ELi32ELi2EEvPfPK15HIP_vector_typeIfLj2EEiiiiiiS1_IjLj3EES5_S5_.num_agpr, 0
	.set _ZL33flash_attn_stream_k_fixup_uniformILi64ELi32ELi2EEvPfPK15HIP_vector_typeIfLj2EEiiiiiiS1_IjLj3EES5_S5_.numbered_sgpr, 20
	.set _ZL33flash_attn_stream_k_fixup_uniformILi64ELi32ELi2EEvPfPK15HIP_vector_typeIfLj2EEiiiiiiS1_IjLj3EES5_S5_.num_named_barrier, 0
	.set _ZL33flash_attn_stream_k_fixup_uniformILi64ELi32ELi2EEvPfPK15HIP_vector_typeIfLj2EEiiiiiiS1_IjLj3EES5_S5_.private_seg_size, 0
	.set _ZL33flash_attn_stream_k_fixup_uniformILi64ELi32ELi2EEvPfPK15HIP_vector_typeIfLj2EEiiiiiiS1_IjLj3EES5_S5_.uses_vcc, 1
	.set _ZL33flash_attn_stream_k_fixup_uniformILi64ELi32ELi2EEvPfPK15HIP_vector_typeIfLj2EEiiiiiiS1_IjLj3EES5_S5_.uses_flat_scratch, 0
	.set _ZL33flash_attn_stream_k_fixup_uniformILi64ELi32ELi2EEvPfPK15HIP_vector_typeIfLj2EEiiiiiiS1_IjLj3EES5_S5_.has_dyn_sized_stack, 0
	.set _ZL33flash_attn_stream_k_fixup_uniformILi64ELi32ELi2EEvPfPK15HIP_vector_typeIfLj2EEiiiiiiS1_IjLj3EES5_S5_.has_recursion, 0
	.set _ZL33flash_attn_stream_k_fixup_uniformILi64ELi32ELi2EEvPfPK15HIP_vector_typeIfLj2EEiiiiiiS1_IjLj3EES5_S5_.has_indirect_call, 0
	.section	.AMDGPU.csdata,"",@progbits
; Kernel info:
; codeLenInByte = 860
; TotalNumSgprs: 24
; NumVgprs: 17
; ScratchSize: 0
; MemoryBound: 0
; FloatMode: 240
; IeeeMode: 1
; LDSByteSize: 0 bytes/workgroup (compile time only)
; SGPRBlocks: 2
; VGPRBlocks: 4
; NumSGPRsForWavesPerEU: 24
; NumVGPRsForWavesPerEU: 17
; Occupancy: 10
; WaveLimiterHint : 0
; COMPUTE_PGM_RSRC2:SCRATCH_EN: 0
; COMPUTE_PGM_RSRC2:USER_SGPR: 6
; COMPUTE_PGM_RSRC2:TRAP_HANDLER: 0
; COMPUTE_PGM_RSRC2:TGID_X_EN: 1
; COMPUTE_PGM_RSRC2:TGID_Y_EN: 1
; COMPUTE_PGM_RSRC2:TGID_Z_EN: 1
; COMPUTE_PGM_RSRC2:TIDIG_COMP_CNT: 0
	.section	.text._ZL33flash_attn_stream_k_fixup_generalILi64ELi32ELi2EEvPfPK15HIP_vector_typeIfLj2EEiiiiS1_IjLj3EES5_S5_S5_,"axG",@progbits,_ZL33flash_attn_stream_k_fixup_generalILi64ELi32ELi2EEvPfPK15HIP_vector_typeIfLj2EEiiiiS1_IjLj3EES5_S5_S5_,comdat
	.globl	_ZL33flash_attn_stream_k_fixup_generalILi64ELi32ELi2EEvPfPK15HIP_vector_typeIfLj2EEiiiiS1_IjLj3EES5_S5_S5_ ; -- Begin function _ZL33flash_attn_stream_k_fixup_generalILi64ELi32ELi2EEvPfPK15HIP_vector_typeIfLj2EEiiiiS1_IjLj3EES5_S5_S5_
	.p2align	8
	.type	_ZL33flash_attn_stream_k_fixup_generalILi64ELi32ELi2EEvPfPK15HIP_vector_typeIfLj2EEiiiiS1_IjLj3EES5_S5_S5_,@function
_ZL33flash_attn_stream_k_fixup_generalILi64ELi32ELi2EEvPfPK15HIP_vector_typeIfLj2EEiiiiS1_IjLj3EES5_S5_S5_: ; @_ZL33flash_attn_stream_k_fixup_generalILi64ELi32ELi2EEvPfPK15HIP_vector_typeIfLj2EEiiiiS1_IjLj3EES5_S5_S5_
; %bb.0:
	s_load_dwordx4 s[0:3], s[4:5], 0x10
	s_load_dword s22, s[4:5], 0x50
	s_mov_b32 s12, 0
	s_waitcnt lgkmcnt(0)
	s_mul_hi_i32 s13, s3, s6
	s_cmp_lg_u64 s[12:13], 0
	s_mul_i32 s9, s3, s6
	s_cbranch_scc0 .LBB36_20
; %bb.1:
	s_add_u32 s10, s22, 0
	s_addc_u32 s11, 0, 0
	s_xor_b64 s[10:11], s[10:11], 0
	v_cvt_f32_u32_e32 v1, s10
	v_cvt_f32_u32_e32 v2, s11
	s_sub_u32 s12, 0, s10
	s_subb_u32 s18, 0, s11
	v_madmk_f32 v1, v2, 0x4f800000, v1
	v_rcp_f32_e32 v1, v1
	v_mul_f32_e32 v1, 0x5f7ffffc, v1
	v_mul_f32_e32 v2, 0x2f800000, v1
	v_trunc_f32_e32 v2, v2
	v_madmk_f32 v1, v2, 0xcf800000, v1
	v_cvt_u32_f32_e32 v2, v2
	v_cvt_u32_f32_e32 v1, v1
	v_readfirstlane_b32 s19, v2
	v_readfirstlane_b32 s14, v1
	s_mul_i32 s15, s12, s19
	s_mul_hi_u32 s21, s12, s14
	s_mul_i32 s20, s18, s14
	s_add_i32 s15, s21, s15
	s_add_i32 s15, s15, s20
	s_mul_i32 s23, s12, s14
	s_mul_i32 s21, s14, s15
	s_mul_hi_u32 s24, s14, s23
	s_mul_hi_u32 s20, s14, s15
	s_add_u32 s21, s24, s21
	s_addc_u32 s20, 0, s20
	s_mul_hi_u32 s25, s19, s23
	s_mul_i32 s23, s19, s23
	s_add_u32 s21, s21, s23
	s_mul_hi_u32 s24, s19, s15
	s_addc_u32 s20, s20, s25
	s_addc_u32 s21, s24, 0
	s_mul_i32 s15, s19, s15
	s_add_u32 s15, s20, s15
	s_addc_u32 s20, 0, s21
	s_add_u32 s21, s14, s15
	s_cselect_b64 s[14:15], -1, 0
	s_cmp_lg_u64 s[14:15], 0
	s_addc_u32 s19, s19, s20
	s_mul_i32 s14, s12, s19
	s_mul_hi_u32 s15, s12, s21
	s_add_i32 s14, s15, s14
	s_mul_i32 s18, s18, s21
	s_add_i32 s14, s14, s18
	s_mul_i32 s12, s12, s21
	s_mul_hi_u32 s18, s19, s12
	s_mul_i32 s20, s19, s12
	s_mul_i32 s24, s21, s14
	s_mul_hi_u32 s12, s21, s12
	s_mul_hi_u32 s23, s21, s14
	s_add_u32 s12, s12, s24
	s_addc_u32 s23, 0, s23
	s_add_u32 s12, s12, s20
	s_mul_hi_u32 s15, s19, s14
	s_addc_u32 s12, s23, s18
	s_addc_u32 s15, s15, 0
	s_mul_i32 s14, s19, s14
	s_add_u32 s12, s12, s14
	s_addc_u32 s18, 0, s15
	s_add_u32 s20, s21, s12
	s_cselect_b64 s[14:15], -1, 0
	s_cmp_lg_u64 s[14:15], 0
	s_addc_u32 s18, s19, s18
	s_ashr_i32 s14, s13, 31
	s_add_u32 s12, s9, s14
	s_mov_b32 s15, s14
	s_addc_u32 s13, s13, s14
	s_xor_b64 s[12:13], s[12:13], s[14:15]
	s_mul_i32 s21, s12, s18
	s_mul_hi_u32 s23, s12, s20
	s_mul_hi_u32 s19, s12, s18
	s_add_u32 s21, s23, s21
	s_addc_u32 s19, 0, s19
	s_mul_hi_u32 s24, s13, s20
	s_mul_i32 s20, s13, s20
	s_add_u32 s20, s21, s20
	s_mul_hi_u32 s23, s13, s18
	s_addc_u32 s19, s19, s24
	s_addc_u32 s20, s23, 0
	s_mul_i32 s18, s13, s18
	s_add_u32 s23, s19, s18
	s_addc_u32 s24, 0, s20
	s_mul_i32 s18, s10, s24
	s_mul_hi_u32 s19, s10, s23
	s_add_i32 s18, s19, s18
	s_mul_i32 s19, s11, s23
	s_add_i32 s25, s18, s19
	s_sub_i32 s20, s13, s25
	s_mul_i32 s18, s10, s23
	s_sub_u32 s12, s12, s18
	s_cselect_b64 s[18:19], -1, 0
	s_cmp_lg_u64 s[18:19], 0
	s_subb_u32 s26, s20, s11
	s_sub_u32 s27, s12, s10
	s_cselect_b64 s[20:21], -1, 0
	s_cmp_lg_u64 s[20:21], 0
	s_subb_u32 s20, s26, 0
	s_cmp_ge_u32 s20, s11
	s_cselect_b32 s21, -1, 0
	s_cmp_ge_u32 s27, s10
	s_cselect_b32 s26, -1, 0
	s_cmp_eq_u32 s20, s11
	s_cselect_b32 s20, s26, s21
	s_add_u32 s21, s23, 1
	s_addc_u32 s26, s24, 0
	s_add_u32 s27, s23, 2
	s_addc_u32 s28, s24, 0
	s_cmp_lg_u32 s20, 0
	s_cselect_b32 s20, s27, s21
	s_cselect_b32 s21, s28, s26
	s_cmp_lg_u64 s[18:19], 0
	s_subb_u32 s13, s13, s25
	s_cmp_ge_u32 s13, s11
	s_cselect_b32 s18, -1, 0
	s_cmp_ge_u32 s12, s10
	s_cselect_b32 s10, -1, 0
	s_cmp_eq_u32 s13, s11
	s_cselect_b32 s10, s10, s18
	s_cmp_lg_u32 s10, 0
	s_cselect_b32 s11, s21, s24
	s_cselect_b32 s10, s20, s23
	s_xor_b64 s[12:13], s[14:15], 0
	s_xor_b64 s[10:11], s[10:11], s[12:13]
	s_sub_u32 s10, s10, s12
	s_load_dwordx4 s[12:15], s[4:5], 0x44
	s_cbranch_execnz .LBB36_3
.LBB36_2:
	v_cvt_f32_u32_e32 v1, s22
	s_sub_i32 s10, 0, s22
	v_rcp_iflag_f32_e32 v1, v1
	v_mul_f32_e32 v1, 0x4f7ffffe, v1
	v_cvt_u32_f32_e32 v1, v1
	v_readfirstlane_b32 s11, v1
	s_mul_i32 s10, s10, s11
	s_mul_hi_u32 s10, s11, s10
	s_add_i32 s11, s11, s10
	s_mul_hi_u32 s10, s9, s11
	s_waitcnt lgkmcnt(0)
	s_mul_i32 s15, s10, s22
	s_sub_i32 s9, s9, s15
	s_add_i32 s11, s10, 1
	s_sub_i32 s15, s9, s22
	s_cmp_ge_u32 s9, s22
	s_cselect_b32 s10, s11, s10
	s_cselect_b32 s9, s15, s9
	s_add_i32 s11, s10, 1
	s_cmp_ge_u32 s9, s22
	s_cselect_b32 s10, s11, s10
.LBB36_3:
	s_add_i32 s9, s6, 1
	s_mul_hi_i32 s21, s3, s9
	s_mov_b32 s20, 0
	s_cmp_lg_u64 s[20:21], 0
	s_mul_i32 s9, s3, s9
	s_cbranch_scc0 .LBB36_21
; %bb.4:
	s_add_u32 s16, s22, 0
	s_addc_u32 s17, 0, 0
	s_xor_b64 s[18:19], s[16:17], 0
	v_cvt_f32_u32_e32 v1, s18
	v_cvt_f32_u32_e32 v2, s19
	s_sub_u32 s11, 0, s18
	s_waitcnt lgkmcnt(0)
	s_subb_u32 s15, 0, s19
	v_madmk_f32 v1, v2, 0x4f800000, v1
	v_rcp_f32_e32 v1, v1
	v_mul_f32_e32 v1, 0x5f7ffffc, v1
	v_mul_f32_e32 v2, 0x2f800000, v1
	v_trunc_f32_e32 v2, v2
	v_madmk_f32 v1, v2, 0xcf800000, v1
	v_cvt_u32_f32_e32 v2, v2
	v_cvt_u32_f32_e32 v1, v1
	v_readfirstlane_b32 s20, v2
	v_readfirstlane_b32 s23, v1
	s_mul_i32 s24, s11, s20
	s_mul_hi_u32 s26, s11, s23
	s_mul_i32 s25, s15, s23
	s_add_i32 s24, s26, s24
	s_add_i32 s24, s24, s25
	s_mul_i32 s27, s11, s23
	s_mul_i32 s26, s23, s24
	s_mul_hi_u32 s28, s23, s27
	s_mul_hi_u32 s25, s23, s24
	s_add_u32 s26, s28, s26
	s_addc_u32 s25, 0, s25
	s_mul_hi_u32 s29, s20, s27
	s_mul_i32 s27, s20, s27
	s_add_u32 s26, s26, s27
	s_mul_hi_u32 s28, s20, s24
	s_addc_u32 s25, s25, s29
	s_addc_u32 s26, s28, 0
	s_mul_i32 s24, s20, s24
	s_add_u32 s24, s25, s24
	s_addc_u32 s26, 0, s26
	s_add_u32 s23, s23, s24
	s_cselect_b64 s[24:25], -1, 0
	s_cmp_lg_u64 s[24:25], 0
	s_addc_u32 s20, s20, s26
	s_mul_i32 s24, s11, s20
	s_mul_hi_u32 s25, s11, s23
	s_add_i32 s24, s25, s24
	s_mul_i32 s15, s15, s23
	s_add_i32 s24, s24, s15
	s_mul_i32 s11, s11, s23
	s_mul_hi_u32 s25, s20, s11
	s_mul_i32 s26, s20, s11
	s_mul_i32 s28, s23, s24
	s_mul_hi_u32 s11, s23, s11
	s_mul_hi_u32 s27, s23, s24
	s_add_u32 s11, s11, s28
	s_addc_u32 s27, 0, s27
	s_add_u32 s11, s11, s26
	s_mul_hi_u32 s15, s20, s24
	s_addc_u32 s11, s27, s25
	s_addc_u32 s15, s15, 0
	s_mul_i32 s24, s20, s24
	s_add_u32 s11, s11, s24
	s_addc_u32 s15, 0, s15
	s_add_u32 s11, s23, s11
	s_cselect_b64 s[24:25], -1, 0
	s_cmp_lg_u64 s[24:25], 0
	s_addc_u32 s15, s20, s15
	s_ashr_i32 s24, s21, 31
	s_add_u32 s20, s9, s24
	s_mov_b32 s25, s24
	s_addc_u32 s21, s21, s24
	s_xor_b64 s[20:21], s[20:21], s[24:25]
	s_mul_i32 s26, s20, s15
	s_mul_hi_u32 s27, s20, s11
	s_mul_hi_u32 s23, s20, s15
	s_add_u32 s26, s27, s26
	s_addc_u32 s23, 0, s23
	s_mul_hi_u32 s28, s21, s11
	s_mul_i32 s11, s21, s11
	s_add_u32 s11, s26, s11
	s_mul_hi_u32 s27, s21, s15
	s_addc_u32 s11, s23, s28
	s_addc_u32 s23, s27, 0
	s_mul_i32 s15, s21, s15
	s_add_u32 s11, s11, s15
	s_addc_u32 s15, 0, s23
	s_mul_i32 s23, s18, s15
	s_mul_hi_u32 s26, s18, s11
	s_add_i32 s23, s26, s23
	s_mul_i32 s26, s19, s11
	s_add_i32 s23, s23, s26
	s_sub_i32 s28, s21, s23
	s_mul_i32 s26, s18, s11
	s_sub_u32 s20, s20, s26
	s_cselect_b64 s[26:27], -1, 0
	s_cmp_lg_u64 s[26:27], 0
	s_subb_u32 s30, s28, s19
	s_sub_u32 s31, s20, s18
	s_cselect_b64 s[28:29], -1, 0
	s_cmp_lg_u64 s[28:29], 0
	s_subb_u32 s28, s30, 0
	s_cmp_ge_u32 s28, s19
	s_cselect_b32 s29, -1, 0
	s_cmp_ge_u32 s31, s18
	s_cselect_b32 s30, -1, 0
	s_cmp_eq_u32 s28, s19
	s_cselect_b32 s28, s30, s29
	s_add_u32 s29, s11, 1
	s_addc_u32 s30, s15, 0
	s_add_u32 s31, s11, 2
	s_addc_u32 s33, s15, 0
	s_cmp_lg_u32 s28, 0
	s_cselect_b32 s28, s31, s29
	s_cselect_b32 s29, s33, s30
	s_cmp_lg_u64 s[26:27], 0
	s_subb_u32 s21, s21, s23
	s_cmp_ge_u32 s21, s19
	s_cselect_b32 s23, -1, 0
	s_cmp_ge_u32 s20, s18
	s_cselect_b32 s18, -1, 0
	s_cmp_eq_u32 s21, s19
	s_cselect_b32 s18, s18, s23
	s_cmp_lg_u32 s18, 0
	s_cselect_b32 s19, s29, s15
	s_cselect_b32 s18, s28, s11
	s_xor_b64 s[20:21], s[24:25], 0
	s_xor_b64 s[18:19], s[18:19], s[20:21]
	s_sub_u32 s18, s18, s20
	s_cbranch_execnz .LBB36_6
.LBB36_5:
	v_cvt_f32_u32_e32 v1, s22
	s_sub_i32 s11, 0, s22
	v_rcp_iflag_f32_e32 v1, v1
	v_mul_f32_e32 v1, 0x4f7ffffe, v1
	v_cvt_u32_f32_e32 v1, v1
	s_waitcnt lgkmcnt(0)
	v_readfirstlane_b32 s15, v1
	s_mul_i32 s11, s11, s15
	s_mul_hi_u32 s11, s15, s11
	s_add_i32 s15, s15, s11
	s_mul_hi_u32 s11, s9, s15
	s_mul_i32 s16, s11, s22
	s_sub_i32 s9, s9, s16
	s_add_i32 s15, s11, 1
	s_sub_i32 s16, s9, s22
	s_cmp_ge_u32 s9, s22
	s_cselect_b32 s11, s15, s11
	s_cselect_b32 s9, s16, s9
	s_add_i32 s15, s11, 1
	s_cmp_ge_u32 s9, s22
	s_cselect_b32 s18, s15, s11
.LBB36_6:
	s_cmp_eq_u32 s10, s18
	s_waitcnt lgkmcnt(0)
	s_mul_hi_u32 s9, s10, s12
	s_cselect_b64 s[16:17], -1, 0
	s_add_i32 s9, s9, s10
	s_lshr_b32 s11, s9, s13
	s_mul_i32 s9, s11, s14
	s_cmp_eq_u32 s9, s10
	s_mul_hi_u32 s9, s18, s12
	s_cselect_b64 s[20:21], -1, 0
	s_add_i32 s9, s9, s18
	s_lshr_b32 s9, s9, s13
	s_cmp_eq_u32 s11, s9
	s_mul_i32 s9, s9, s14
	s_cselect_b64 s[24:25], -1, 0
	s_cmp_lg_u32 s9, s18
	s_cselect_b64 s[18:19], -1, 0
	s_and_b64 s[18:19], s[24:25], s[18:19]
	s_or_b64 s[16:17], s[16:17], s[20:21]
	s_or_b64 s[16:17], s[16:17], s[18:19]
	s_and_b64 vcc, exec, s[16:17]
	s_cbranch_vccnz .LBB36_23
; %bb.7:
	s_load_dwordx8 s[24:31], s[4:5], 0x20
	s_load_dword s15, s[4:5], 0x40
	s_waitcnt lgkmcnt(0)
	s_mul_hi_u32 s9, s10, s24
	s_add_i32 s9, s9, s10
	s_lshr_b32 s9, s9, s25
	s_mul_i32 s16, s9, s26
	s_sub_i32 s16, s10, s16
	s_mul_hi_u32 s17, s16, s27
	s_add_i32 s17, s16, s17
	s_lshr_b32 s23, s17, s28
	s_mul_i32 s17, s23, s29
	s_sub_i32 s16, s16, s17
	;; [unrolled: 5-line block ×3, first 2 shown]
	s_mul_hi_u32 s16, s15, s12
	s_add_i32 s15, s15, s16
	s_lshr_b32 s25, s15, s13
	s_lshl_b32 s15, s25, 5
	s_lshl_b32 s24, s17, 1
	s_add_i32 s15, s15, s7
	s_cmp_lt_i32 s15, s0
	s_cselect_b64 s[16:17], -1, 0
	s_add_i32 s15, s24, s8
	s_cmp_lt_i32 s15, s2
	s_cselect_b64 s[18:19], -1, 0
	s_and_b64 s[16:17], s[16:17], s[18:19]
	s_andn2_b64 vcc, exec, s[16:17]
	s_cbranch_vccnz .LBB36_23
; %bb.8:
	s_load_dwordx4 s[16:19], s[4:5], 0x0
	s_mov_b32 s4, 0
	s_lshl_b32 s15, s7, 1
	s_lshl_b32 s20, s22, 8
	s_mov_b32 s21, s4
	s_add_i32 s15, s15, s8
	s_lshl_b64 s[20:21], s[20:21], 2
	s_waitcnt lgkmcnt(0)
	s_add_u32 s20, s18, s20
	s_mul_i32 s0, s9, s0
	s_addc_u32 s21, s19, s21
	s_add_i32 s0, s0, s7
	s_mul_i32 s0, s0, s1
	s_mul_i32 s23, s23, s2
	s_add_i32 s0, s0, s8
	s_add_i32 s0, s0, s23
	s_mul_i32 s2, s1, s25
	s_add_i32 s0, s0, s24
	s_lshl_b32 s2, s2, 11
	s_lshl_b32 s0, s0, 6
	s_add_i32 s2, s2, s0
	v_or_b32_e32 v1, s2, v0
	v_ashrrev_i32_e32 v2, 31, v1
	v_lshlrev_b64 v[1:2], 2, v[1:2]
	v_mov_b32_e32 v3, s17
	v_add_co_u32_e32 v1, vcc, s16, v1
	v_addc_co_u32_e32 v2, vcc, v3, v2, vcc
	global_load_dword v3, v[1:2], off
	v_cvt_f32_u32_e32 v4, s22
	s_lshl_b32 s0, s6, 6
	s_add_i32 s0, s15, s0
	s_ashr_i32 s1, s0, 31
	s_lshl_b64 s[0:1], s[0:1], 3
	v_rcp_iflag_f32_e32 v4, v4
	s_add_u32 s0, s18, s0
	s_addc_u32 s1, s19, s1
	s_load_dwordx2 s[0:1], s[0:1], 0x0
	v_mul_f32_e32 v4, 0x4f7ffffe, v4
	v_cvt_u32_f32_e32 v4, v4
	s_add_i32 s24, s6, -1
	v_lshl_or_b32 v0, s15, 6, v0
	s_waitcnt lgkmcnt(0)
	v_mov_b32_e32 v6, s1
	v_mov_b32_e32 v7, s0
	s_mov_b32 s2, 0x3fb8aa3b
	s_mov_b32 s16, 0xc2ce8ed0
	;; [unrolled: 1-line block ×4, first 2 shown]
	v_mov_b32_e32 v5, 0x7f800000
	s_mul_hi_i32 s5, s24, s3
	s_cmp_lg_u64 s[4:5], 0
	s_mul_i32 s8, s24, s3
	s_cbranch_scc0 .LBB36_19
.LBB36_9:
	s_add_u32 s0, s22, 0
	s_addc_u32 s1, 0, 0
	s_xor_b64 s[0:1], s[0:1], 0
	v_cvt_f32_u32_e32 v8, s0
	v_cvt_f32_u32_e32 v9, s1
	s_sub_u32 s9, 0, s0
	s_subb_u32 s25, 0, s1
	v_mac_f32_e32 v8, 0x4f800000, v9
	v_rcp_f32_e32 v8, v8
	v_mul_f32_e32 v8, 0x5f7ffffc, v8
	v_mul_f32_e32 v9, 0x2f800000, v8
	v_trunc_f32_e32 v9, v9
	v_mac_f32_e32 v8, 0xcf800000, v9
	v_cvt_u32_f32_e32 v9, v9
	v_cvt_u32_f32_e32 v8, v8
	v_readfirstlane_b32 s26, v9
	v_readfirstlane_b32 s6, v8
	s_mul_i32 s7, s9, s26
	s_mul_hi_u32 s28, s9, s6
	s_mul_i32 s27, s25, s6
	s_add_i32 s7, s28, s7
	s_mul_i32 s29, s9, s6
	s_add_i32 s7, s7, s27
	s_mul_i32 s28, s6, s7
	s_mul_hi_u32 s30, s6, s29
	s_mul_hi_u32 s27, s6, s7
	s_add_u32 s28, s30, s28
	s_addc_u32 s27, 0, s27
	s_mul_hi_u32 s31, s26, s29
	s_mul_i32 s29, s26, s29
	s_add_u32 s28, s28, s29
	s_mul_hi_u32 s30, s26, s7
	s_addc_u32 s27, s27, s31
	s_addc_u32 s28, s30, 0
	s_mul_i32 s7, s26, s7
	s_add_u32 s7, s27, s7
	s_addc_u32 s27, 0, s28
	s_add_u32 s28, s6, s7
	s_cselect_b64 s[6:7], -1, 0
	s_cmp_lg_u64 s[6:7], 0
	s_addc_u32 s26, s26, s27
	s_mul_i32 s6, s9, s26
	s_mul_hi_u32 s7, s9, s28
	s_add_i32 s6, s7, s6
	s_mul_i32 s25, s25, s28
	s_add_i32 s6, s6, s25
	s_mul_i32 s9, s9, s28
	s_mul_hi_u32 s25, s26, s9
	s_mul_i32 s27, s26, s9
	s_mul_i32 s30, s28, s6
	s_mul_hi_u32 s9, s28, s9
	s_mul_hi_u32 s29, s28, s6
	s_add_u32 s9, s9, s30
	s_addc_u32 s29, 0, s29
	s_add_u32 s9, s9, s27
	s_mul_hi_u32 s7, s26, s6
	s_addc_u32 s9, s29, s25
	s_addc_u32 s7, s7, 0
	s_mul_i32 s6, s26, s6
	s_add_u32 s6, s9, s6
	s_addc_u32 s9, 0, s7
	s_add_u32 s25, s28, s6
	s_cselect_b64 s[6:7], -1, 0
	s_cmp_lg_u64 s[6:7], 0
	s_addc_u32 s9, s26, s9
	s_ashr_i32 s6, s5, 31
	s_add_u32 s26, s8, s6
	s_mov_b32 s7, s6
	s_addc_u32 s27, s5, s6
	s_xor_b64 s[26:27], s[26:27], s[6:7]
	s_mul_i32 s28, s26, s9
	s_mul_hi_u32 s29, s26, s25
	s_mul_hi_u32 s5, s26, s9
	s_add_u32 s28, s29, s28
	s_addc_u32 s5, 0, s5
	s_mul_hi_u32 s30, s27, s25
	s_mul_i32 s25, s27, s25
	s_add_u32 s25, s28, s25
	s_mul_hi_u32 s29, s27, s9
	s_addc_u32 s5, s5, s30
	s_addc_u32 s25, s29, 0
	s_mul_i32 s9, s27, s9
	s_add_u32 s5, s5, s9
	s_addc_u32 s9, 0, s25
	s_mul_i32 s25, s0, s9
	s_mul_hi_u32 s28, s0, s5
	s_add_i32 s25, s28, s25
	s_mul_i32 s28, s1, s5
	s_add_i32 s25, s25, s28
	s_sub_i32 s30, s27, s25
	s_mul_i32 s28, s0, s5
	s_sub_u32 s26, s26, s28
	s_cselect_b64 s[28:29], -1, 0
	s_cmp_lg_u64 s[28:29], 0
	s_subb_u32 s33, s30, s1
	s_sub_u32 s34, s26, s0
	s_cselect_b64 s[30:31], -1, 0
	s_cmp_lg_u64 s[30:31], 0
	s_subb_u32 s30, s33, 0
	s_cmp_ge_u32 s30, s1
	s_cselect_b32 s31, -1, 0
	s_cmp_ge_u32 s34, s0
	s_cselect_b32 s33, -1, 0
	s_cmp_eq_u32 s30, s1
	s_cselect_b32 s30, s33, s31
	s_add_u32 s31, s5, 1
	s_addc_u32 s33, s9, 0
	s_add_u32 s34, s5, 2
	s_addc_u32 s35, s9, 0
	s_cmp_lg_u32 s30, 0
	s_cselect_b32 s30, s34, s31
	s_cselect_b32 s31, s35, s33
	s_cmp_lg_u64 s[28:29], 0
	s_subb_u32 s25, s27, s25
	s_cmp_ge_u32 s25, s1
	s_cselect_b32 s27, -1, 0
	s_cmp_ge_u32 s26, s0
	s_cselect_b32 s0, -1, 0
	s_cmp_eq_u32 s25, s1
	s_cselect_b32 s0, s0, s27
	s_cmp_lg_u32 s0, 0
	s_cselect_b32 s1, s31, s9
	s_cselect_b32 s0, s30, s5
	s_xor_b64 s[6:7], s[6:7], 0
	s_xor_b64 s[0:1], s[0:1], s[6:7]
	s_sub_u32 s6, s0, s6
	s_cbranch_execnz .LBB36_11
.LBB36_10:
	s_sub_i32 s0, 0, s22
	v_readfirstlane_b32 s1, v4
	s_mul_i32 s0, s0, s1
	s_mul_hi_u32 s0, s1, s0
	s_add_i32 s1, s1, s0
	s_mul_hi_u32 s0, s8, s1
	s_mul_i32 s5, s0, s22
	s_sub_i32 s5, s8, s5
	s_add_i32 s1, s0, 1
	s_sub_i32 s6, s5, s22
	s_cmp_ge_u32 s5, s22
	s_cselect_b32 s0, s1, s0
	s_cselect_b32 s5, s6, s5
	s_add_i32 s1, s0, 1
	s_cmp_ge_u32 s5, s22
	s_cselect_b32 s6, s1, s0
.LBB36_11:
	s_cmp_lg_u32 s10, s6
	s_mov_b64 s[8:9], -1
                                        ; implicit-def: $sgpr0_sgpr1
                                        ; implicit-def: $vgpr10
                                        ; implicit-def: $vgpr8
                                        ; implicit-def: $vgpr9
                                        ; implicit-def: $sgpr5
                                        ; implicit-def: $sgpr7
	s_cbranch_scc1 .LBB36_14
; %bb.12:
	s_andn2_b64 vcc, exec, s[8:9]
	s_cbranch_vccz .LBB36_17
.LBB36_13:
	s_andn2_b64 vcc, exec, s[0:1]
	s_cbranch_vccnz .LBB36_18
	s_branch .LBB36_22
.LBB36_14:
	s_add_i32 s0, s24, s22
	s_lshl_b32 s0, s0, 6
	s_add_i32 s0, s0, s15
	s_mov_b32 s1, s4
	s_lshl_b64 s[0:1], s[0:1], 3
	s_add_u32 s8, s18, s0
	s_mul_hi_u32 s0, s6, s12
	s_addc_u32 s9, s19, s1
	s_add_i32 s0, s0, s6
	s_lshr_b32 s5, s0, s13
	s_mul_i32 s0, s5, s14
	s_cmp_eq_u32 s0, s6
	s_cselect_b64 s[0:1], -1, 0
	s_cmp_lt_u32 s5, s11
	s_cselect_b64 s[26:27], -1, 0
	s_or_b64 s[26:27], s[26:27], s[0:1]
	s_mov_b64 s[0:1], -1
	s_and_b64 vcc, exec, s[26:27]
	s_mov_b32 s5, s24
	s_mov_b32 s7, s10
	s_cbranch_vccnz .LBB36_16
; %bb.15:
	s_add_i32 s5, s24, -1
	s_mov_b64 s[0:1], 0
	s_mov_b32 s7, s6
.LBB36_16:
	v_lshl_add_u32 v8, s24, 12, v0
	v_ashrrev_i32_e32 v9, 31, v8
	v_lshlrev_b64 v[8:9], 2, v[8:9]
	v_mov_b32_e32 v10, s21
	v_add_co_u32_e32 v8, vcc, s20, v8
	v_addc_co_u32_e32 v9, vcc, v10, v9, vcc
	global_load_dword v10, v[8:9], off
	s_load_dwordx2 s[8:9], s[8:9], 0x0
	v_max_f32_e32 v8, v7, v7
	s_waitcnt lgkmcnt(0)
	v_max_f32_e64 v9, s8, s8
	v_max_f32_e32 v8, v8, v9
	v_sub_f32_e32 v9, v7, v8
	v_sub_f32_e32 v11, s8, v8
	v_mul_f32_e32 v12, 0x3fb8aa3b, v9
	v_mul_f32_e32 v13, 0x3fb8aa3b, v11
	v_fma_f32 v14, v9, s2, -v12
	v_rndne_f32_e32 v15, v12
	v_fma_f32 v16, v11, s2, -v13
	v_rndne_f32_e32 v17, v13
	v_fmac_f32_e32 v14, 0x32a5705f, v9
	v_sub_f32_e32 v12, v12, v15
	v_fmac_f32_e32 v16, 0x32a5705f, v11
	v_sub_f32_e32 v13, v13, v17
	v_add_f32_e32 v12, v12, v14
	v_cvt_i32_f32_e32 v15, v15
	v_add_f32_e32 v13, v13, v16
	v_exp_f32_e32 v12, v12
	v_cvt_i32_f32_e32 v17, v17
	v_exp_f32_e32 v13, v13
	v_cmp_ngt_f32_e32 vcc, s16, v9
	v_ldexp_f32 v12, v12, v15
	v_cndmask_b32_e32 v12, 0, v12, vcc
	v_ldexp_f32 v13, v13, v17
	v_cmp_ngt_f32_e32 vcc, s16, v11
	v_cndmask_b32_e32 v13, 0, v13, vcc
	v_cmp_nlt_f32_e32 vcc, s17, v9
	v_cndmask_b32_e32 v12, v5, v12, vcc
	v_cmp_nlt_f32_e32 vcc, s17, v11
	v_cndmask_b32_e32 v13, v5, v13, vcc
	v_cmp_le_f32_e32 vcc, s23, v9
	v_cndmask_b32_e32 v12, 0, v12, vcc
	v_cmp_le_f32_e32 vcc, s23, v11
	v_cndmask_b32_e32 v11, 0, v13, vcc
	v_mul_f32_e32 v9, s9, v11
	v_fmac_f32_e32 v9, v6, v12
	s_waitcnt vmcnt(0)
	v_mul_f32_e32 v10, v10, v11
	v_fmac_f32_e32 v10, v3, v12
	s_cbranch_execnz .LBB36_13
.LBB36_17:
	s_add_i32 s5, s24, -1
	s_mov_b32 s7, s10
	v_mov_b32_e32 v9, v6
	v_mov_b32_e32 v8, v7
	s_waitcnt vmcnt(0)
	v_mov_b32_e32 v10, v3
	s_cbranch_execz .LBB36_22
.LBB36_18:
	s_mov_b32 s10, s7
	s_mov_b32 s24, s5
	v_mov_b32_e32 v6, v9
	v_mov_b32_e32 v7, v8
	s_waitcnt vmcnt(0)
	v_mov_b32_e32 v3, v10
	s_mul_hi_i32 s5, s24, s3
	s_cmp_lg_u64 s[4:5], 0
	s_mul_i32 s8, s24, s3
	s_cbranch_scc1 .LBB36_9
.LBB36_19:
                                        ; implicit-def: $sgpr6_sgpr7
	s_branch .LBB36_10
.LBB36_20:
                                        ; implicit-def: $sgpr10_sgpr11
	s_load_dwordx4 s[12:15], s[4:5], 0x44
	s_branch .LBB36_2
.LBB36_21:
                                        ; implicit-def: $sgpr18_sgpr19
	s_branch .LBB36_5
.LBB36_22:
	v_div_scale_f32 v0, s[0:1], v9, v9, v10
	s_waitcnt vmcnt(0)
	v_div_scale_f32 v3, vcc, v10, v9, v10
	v_rcp_f32_e32 v4, v0
	v_fma_f32 v5, -v0, v4, 1.0
	v_fmac_f32_e32 v4, v5, v4
	v_mul_f32_e32 v5, v3, v4
	v_fma_f32 v6, -v0, v5, v3
	v_fmac_f32_e32 v5, v6, v4
	v_fma_f32 v0, -v0, v5, v3
	v_div_fmas_f32 v0, v0, v4, v5
	v_div_fixup_f32 v0, v0, v9, v10
	global_store_dword v[1:2], v0, off
.LBB36_23:
	s_endpgm
	.section	.rodata,"a",@progbits
	.p2align	6, 0x0
	.amdhsa_kernel _ZL33flash_attn_stream_k_fixup_generalILi64ELi32ELi2EEvPfPK15HIP_vector_typeIfLj2EEiiiiS1_IjLj3EES5_S5_S5_
		.amdhsa_group_segment_fixed_size 0
		.amdhsa_private_segment_fixed_size 0
		.amdhsa_kernarg_size 336
		.amdhsa_user_sgpr_count 6
		.amdhsa_user_sgpr_private_segment_buffer 1
		.amdhsa_user_sgpr_dispatch_ptr 0
		.amdhsa_user_sgpr_queue_ptr 0
		.amdhsa_user_sgpr_kernarg_segment_ptr 1
		.amdhsa_user_sgpr_dispatch_id 0
		.amdhsa_user_sgpr_flat_scratch_init 0
		.amdhsa_user_sgpr_private_segment_size 0
		.amdhsa_uses_dynamic_stack 0
		.amdhsa_system_sgpr_private_segment_wavefront_offset 0
		.amdhsa_system_sgpr_workgroup_id_x 1
		.amdhsa_system_sgpr_workgroup_id_y 1
		.amdhsa_system_sgpr_workgroup_id_z 1
		.amdhsa_system_sgpr_workgroup_info 0
		.amdhsa_system_vgpr_workitem_id 0
		.amdhsa_next_free_vgpr 18
		.amdhsa_next_free_sgpr 36
		.amdhsa_reserve_vcc 1
		.amdhsa_reserve_flat_scratch 0
		.amdhsa_float_round_mode_32 0
		.amdhsa_float_round_mode_16_64 0
		.amdhsa_float_denorm_mode_32 3
		.amdhsa_float_denorm_mode_16_64 3
		.amdhsa_dx10_clamp 1
		.amdhsa_ieee_mode 1
		.amdhsa_fp16_overflow 0
		.amdhsa_exception_fp_ieee_invalid_op 0
		.amdhsa_exception_fp_denorm_src 0
		.amdhsa_exception_fp_ieee_div_zero 0
		.amdhsa_exception_fp_ieee_overflow 0
		.amdhsa_exception_fp_ieee_underflow 0
		.amdhsa_exception_fp_ieee_inexact 0
		.amdhsa_exception_int_div_zero 0
	.end_amdhsa_kernel
	.section	.text._ZL33flash_attn_stream_k_fixup_generalILi64ELi32ELi2EEvPfPK15HIP_vector_typeIfLj2EEiiiiS1_IjLj3EES5_S5_S5_,"axG",@progbits,_ZL33flash_attn_stream_k_fixup_generalILi64ELi32ELi2EEvPfPK15HIP_vector_typeIfLj2EEiiiiS1_IjLj3EES5_S5_S5_,comdat
.Lfunc_end36:
	.size	_ZL33flash_attn_stream_k_fixup_generalILi64ELi32ELi2EEvPfPK15HIP_vector_typeIfLj2EEiiiiS1_IjLj3EES5_S5_S5_, .Lfunc_end36-_ZL33flash_attn_stream_k_fixup_generalILi64ELi32ELi2EEvPfPK15HIP_vector_typeIfLj2EEiiiiS1_IjLj3EES5_S5_S5_
                                        ; -- End function
	.set _ZL33flash_attn_stream_k_fixup_generalILi64ELi32ELi2EEvPfPK15HIP_vector_typeIfLj2EEiiiiS1_IjLj3EES5_S5_S5_.num_vgpr, 18
	.set _ZL33flash_attn_stream_k_fixup_generalILi64ELi32ELi2EEvPfPK15HIP_vector_typeIfLj2EEiiiiS1_IjLj3EES5_S5_S5_.num_agpr, 0
	.set _ZL33flash_attn_stream_k_fixup_generalILi64ELi32ELi2EEvPfPK15HIP_vector_typeIfLj2EEiiiiS1_IjLj3EES5_S5_S5_.numbered_sgpr, 36
	.set _ZL33flash_attn_stream_k_fixup_generalILi64ELi32ELi2EEvPfPK15HIP_vector_typeIfLj2EEiiiiS1_IjLj3EES5_S5_S5_.num_named_barrier, 0
	.set _ZL33flash_attn_stream_k_fixup_generalILi64ELi32ELi2EEvPfPK15HIP_vector_typeIfLj2EEiiiiS1_IjLj3EES5_S5_S5_.private_seg_size, 0
	.set _ZL33flash_attn_stream_k_fixup_generalILi64ELi32ELi2EEvPfPK15HIP_vector_typeIfLj2EEiiiiS1_IjLj3EES5_S5_S5_.uses_vcc, 1
	.set _ZL33flash_attn_stream_k_fixup_generalILi64ELi32ELi2EEvPfPK15HIP_vector_typeIfLj2EEiiiiS1_IjLj3EES5_S5_S5_.uses_flat_scratch, 0
	.set _ZL33flash_attn_stream_k_fixup_generalILi64ELi32ELi2EEvPfPK15HIP_vector_typeIfLj2EEiiiiS1_IjLj3EES5_S5_S5_.has_dyn_sized_stack, 0
	.set _ZL33flash_attn_stream_k_fixup_generalILi64ELi32ELi2EEvPfPK15HIP_vector_typeIfLj2EEiiiiS1_IjLj3EES5_S5_S5_.has_recursion, 0
	.set _ZL33flash_attn_stream_k_fixup_generalILi64ELi32ELi2EEvPfPK15HIP_vector_typeIfLj2EEiiiiS1_IjLj3EES5_S5_S5_.has_indirect_call, 0
	.section	.AMDGPU.csdata,"",@progbits
; Kernel info:
; codeLenInByte = 2940
; TotalNumSgprs: 40
; NumVgprs: 18
; ScratchSize: 0
; MemoryBound: 0
; FloatMode: 240
; IeeeMode: 1
; LDSByteSize: 0 bytes/workgroup (compile time only)
; SGPRBlocks: 4
; VGPRBlocks: 4
; NumSGPRsForWavesPerEU: 40
; NumVGPRsForWavesPerEU: 18
; Occupancy: 10
; WaveLimiterHint : 0
; COMPUTE_PGM_RSRC2:SCRATCH_EN: 0
; COMPUTE_PGM_RSRC2:USER_SGPR: 6
; COMPUTE_PGM_RSRC2:TRAP_HANDLER: 0
; COMPUTE_PGM_RSRC2:TGID_X_EN: 1
; COMPUTE_PGM_RSRC2:TGID_Y_EN: 1
; COMPUTE_PGM_RSRC2:TGID_Z_EN: 1
; COMPUTE_PGM_RSRC2:TIDIG_COMP_CNT: 0
	.section	.text._ZL15flash_attn_tileILi64ELi64ELi16ELi2ELb0EEvPKcS1_S1_S1_S1_PKiPfP15HIP_vector_typeIfLj2EEffffjfiS5_IjLj3EEiiiiiiiiiiiliiliiiiil,"axG",@progbits,_ZL15flash_attn_tileILi64ELi64ELi16ELi2ELb0EEvPKcS1_S1_S1_S1_PKiPfP15HIP_vector_typeIfLj2EEffffjfiS5_IjLj3EEiiiiiiiiiiiliiliiiiil,comdat
	.globl	_ZL15flash_attn_tileILi64ELi64ELi16ELi2ELb0EEvPKcS1_S1_S1_S1_PKiPfP15HIP_vector_typeIfLj2EEffffjfiS5_IjLj3EEiiiiiiiiiiiliiliiiiil ; -- Begin function _ZL15flash_attn_tileILi64ELi64ELi16ELi2ELb0EEvPKcS1_S1_S1_S1_PKiPfP15HIP_vector_typeIfLj2EEffffjfiS5_IjLj3EEiiiiiiiiiiiliiliiiiil
	.p2align	8
	.type	_ZL15flash_attn_tileILi64ELi64ELi16ELi2ELb0EEvPKcS1_S1_S1_S1_PKiPfP15HIP_vector_typeIfLj2EEffffjfiS5_IjLj3EEiiiiiiiiiiiliiliiiiil,@function
_ZL15flash_attn_tileILi64ELi64ELi16ELi2ELb0EEvPKcS1_S1_S1_S1_PKiPfP15HIP_vector_typeIfLj2EEffffjfiS5_IjLj3EEiiiiiiiiiiiliiliiiiil: ; @_ZL15flash_attn_tileILi64ELi64ELi16ELi2ELb0EEvPKcS1_S1_S1_S1_PKiPfP15HIP_vector_typeIfLj2EEffffjfiS5_IjLj3EEiiiiiiiiiiiliiliiiiil
; %bb.0:
	s_load_dwordx4 s[0:3], s[4:5], 0x5c
	s_load_dwordx2 s[30:31], s[4:5], 0x80
	s_load_dwordx2 s[36:37], s[4:5], 0xb8
	s_mov_b64 s[34:35], 0
	s_waitcnt lgkmcnt(0)
	s_lshr_b32 s9, s3, 31
	s_add_i32 s9, s3, s9
	s_ashr_i32 s9, s9, 1
	v_cvt_f32_u32_e32 v2, s9
	s_sub_i32 s10, 0, s9
	v_rcp_iflag_f32_e32 v2, v2
	v_mul_f32_e32 v2, 0x4f7ffffe, v2
	v_cvt_u32_f32_e32 v2, v2
	v_readfirstlane_b32 s11, v2
	s_mul_i32 s10, s10, s11
	s_mul_hi_u32 s10, s11, s10
	s_add_i32 s11, s11, s10
	s_mul_hi_u32 s10, s8, s11
	s_mul_i32 s11, s10, s9
	s_sub_i32 s11, s8, s11
	s_add_i32 s12, s10, 1
	s_sub_i32 s13, s11, s9
	s_cmp_ge_u32 s11, s9
	s_cselect_b32 s10, s12, s10
	s_cselect_b32 s11, s13, s11
	s_add_i32 s12, s10, 1
	s_cmp_ge_u32 s11, s9
	s_cselect_b32 s33, s12, s10
	s_abs_i32 s9, s31
	v_cvt_f32_u32_e32 v2, s9
	s_lshl_b32 s8, s8, 1
	s_mul_i32 s12, s33, s3
	s_sub_i32 s13, 0, s9
	v_rcp_iflag_f32_e32 v2, v2
	s_sub_i32 s28, s8, s12
	s_abs_i32 s11, s3
	s_xor_b32 s10, s3, s31
	v_mul_f32_e32 v2, 0x4f7ffffe, v2
	v_cvt_u32_f32_e32 v2, v2
	s_ashr_i32 s10, s10, 31
	v_readfirstlane_b32 s8, v2
	s_mul_i32 s13, s13, s8
	s_mul_hi_u32 s12, s8, s13
	s_add_i32 s8, s8, s12
	s_mul_hi_u32 s8, s11, s8
	s_mul_i32 s12, s8, s9
	s_sub_i32 s11, s11, s12
	s_add_i32 s13, s8, 1
	s_sub_i32 s12, s11, s9
	s_cmp_ge_u32 s11, s9
	s_cselect_b32 s8, s13, s8
	s_cselect_b32 s11, s12, s11
	s_add_i32 s12, s8, 1
	s_cmp_ge_u32 s11, s9
	s_cselect_b32 s8, s12, s8
	s_xor_b32 s8, s8, s10
	s_sub_i32 s31, s8, s10
	s_abs_i32 s29, s31
	v_cvt_f32_u32_e32 v2, s29
	s_load_dwordx16 s[8:23], s[4:5], 0x0
	v_rcp_iflag_f32_e32 v2, v2
	s_waitcnt lgkmcnt(0)
	s_cmp_eq_u64 s[14:15], 0
	v_mul_f32_e32 v2, 0x4f7ffffe, v2
	v_cvt_u32_f32_e32 v2, v2
	v_readfirstlane_b32 s38, v2
	s_cbranch_scc1 .LBB37_2
; %bb.1:
	s_abs_i32 s26, s36
	v_cvt_f32_u32_e32 v2, s26
	s_sub_i32 s35, 0, s26
	s_abs_i32 s34, s33
	s_ashr_i32 s27, s33, 31
	v_rcp_iflag_f32_e32 v2, v2
	s_load_dwordx2 s[24:25], s[4:5], 0xc8
	v_mul_f32_e32 v2, 0x4f7ffffe, v2
	v_cvt_u32_f32_e32 v2, v2
	v_readfirstlane_b32 s36, v2
	s_mul_i32 s35, s35, s36
	s_mul_hi_u32 s35, s36, s35
	s_add_i32 s36, s36, s35
	s_mul_hi_u32 s35, s34, s36
	s_mul_i32 s35, s35, s26
	s_sub_i32 s34, s34, s35
	s_sub_i32 s35, s34, s26
	s_cmp_ge_u32 s34, s26
	s_cselect_b32 s34, s35, s34
	s_sub_i32 s35, s34, s26
	s_cmp_ge_u32 s34, s26
	s_cselect_b32 s26, s35, s34
	s_xor_b32 s26, s26, s27
	s_sub_i32 s26, s26, s27
	s_ashr_i32 s27, s26, 31
	s_waitcnt lgkmcnt(0)
	s_mul_hi_u32 s34, s24, s26
	s_mul_i32 s27, s24, s27
	s_mul_i32 s25, s25, s26
	s_add_i32 s27, s34, s27
	s_add_i32 s27, s27, s25
	s_mul_i32 s24, s24, s26
	s_add_u32 s34, s14, s24
	s_addc_u32 s35, s15, s27
.LBB37_2:
	s_lshl_b32 s14, s6, 4
	v_lshlrev_b32_e32 v29, 1, v1
	s_load_dwordx4 s[24:27], s[4:5], 0x70
	v_add_u32_e32 v30, s14, v29
	v_mul_hi_u32 v2, v30, s0
	v_lshlrev_b32_e32 v4, 2, v1
	v_or_b32_e32 v18, 2, v4
	s_waitcnt lgkmcnt(0)
	s_mul_i32 s15, s33, s26
	v_add_u32_e32 v2, v30, v2
	s_ashr_i32 s27, s15, 31
	v_lshrrev_b32_e32 v2, s1, v2
	s_mul_i32 s26, s28, s25
	s_add_u32 s8, s8, s15
	v_mul_lo_u32 v2, v2, s2
	s_addc_u32 s9, s9, s27
	s_ashr_i32 s15, s26, 31
	s_add_u32 s36, s8, s26
	s_addc_u32 s15, s9, s15
	s_ashr_i32 s9, s24, 31
	s_mov_b32 s8, s24
	s_lshr_b64 s[26:27], s[8:9], 2
	v_sub_u32_e32 v3, v30, v2
	v_mad_u64_u32 v[5:6], s[40:41], s26, v3, 0
	s_lshr_b32 s24, s9, 2
	v_lshrrev_b32_e32 v27, 1, v18
	v_mov_b32_e32 v2, v6
	v_mad_u64_u32 v[6:7], s[8:9], s24, v3, v[2:3]
	v_mov_b32_e32 v2, s15
	v_add_u32_e32 v28, s14, v27
	v_lshlrev_b64 v[5:6], 2, v[5:6]
	s_ashr_i32 s8, s25, 31
	v_add_co_u32_e32 v7, vcc, s36, v5
	v_addc_co_u32_e32 v8, vcc, v2, v6, vcc
	v_lshlrev_b32_e32 v2, 3, v0
	s_and_b32 s9, s25, -4
	v_mul_hi_u32 v10, v28, s0
	v_add_co_u32_e32 v7, vcc, v7, v2
	s_add_u32 s25, s36, s9
	v_addc_co_u32_e32 v8, vcc, 0, v8, vcc
	s_addc_u32 s27, s15, s8
	v_mov_b32_e32 v9, s27
	v_add_co_u32_e32 v5, vcc, s25, v5
	v_addc_co_u32_e32 v6, vcc, v9, v6, vcc
	v_add_u32_e32 v9, v28, v10
	v_lshrrev_b32_e32 v9, s1, v9
	v_mul_lo_u32 v9, v9, s2
	v_or_b32_e32 v19, 3, v4
	v_lshrrev_b32_e32 v25, 1, v19
	v_add_u32_e32 v26, s14, v25
	v_sub_u32_e32 v11, v28, v9
	v_mad_u64_u32 v[9:10], s[8:9], s26, v11, 0
	v_mul_hi_u32 v12, v26, s0
	v_add_co_u32_e32 v5, vcc, v5, v2
	v_mad_u64_u32 v[10:11], s[8:9], s24, v11, v[10:11]
	v_add_u32_e32 v11, v26, v12
	v_lshrrev_b32_e32 v11, s1, v11
	v_mul_lo_u32 v11, v11, s2
	v_lshlrev_b64 v[9:10], 2, v[9:10]
	v_addc_co_u32_e32 v6, vcc, 0, v6, vcc
	v_sub_u32_e32 v14, v26, v11
	v_mad_u64_u32 v[11:12], s[8:9], s26, v14, 0
	v_mov_b32_e32 v13, s15
	v_add_co_u32_e32 v15, vcc, s36, v9
	v_mov_b32_e32 v9, v12
	v_addc_co_u32_e32 v13, vcc, v13, v10, vcc
	v_mad_u64_u32 v[9:10], s[8:9], s24, v14, v[9:10]
	v_add_co_u32_e32 v12, vcc, v15, v2
	global_load_dwordx2 v[7:8], v[7:8], off
	v_addc_co_u32_e32 v13, vcc, 0, v13, vcc
	global_load_dwordx2 v[14:15], v[5:6], off
	global_load_dwordx2 v[16:17], v[12:13], off
	v_mov_b32_e32 v12, v9
	v_lshlrev_b64 v[5:6], 2, v[11:12]
	v_mov_b32_e32 v9, s27
	v_add_co_u32_e32 v5, vcc, s25, v5
	v_addc_co_u32_e32 v6, vcc, v9, v6, vcc
	v_add_co_u32_e32 v5, vcc, v5, v2
	v_addc_co_u32_e32 v6, vcc, 0, v6, vcc
	global_load_dwordx2 v[5:6], v[5:6], off
	s_load_dword s8, s[4:5], 0x40
	v_mov_b32_e32 v9, 0x3400
	v_lshl_or_b32 v9, v0, 2, v9
	v_lshlrev_b32_e32 v1, 9, v1
	v_add_u32_e32 v10, v9, v1
	s_cmp_eq_u64 s[18:19], 0
	s_waitcnt vmcnt(3) lgkmcnt(0)
	v_fma_mixlo_f16 v8, s8, v8, 0
	v_fma_mixlo_f16 v7, s8, v7, 0
	v_lshlrev_b32_e32 v8, 16, v8
	s_waitcnt vmcnt(2)
	v_fma_mixlo_f16 v11, s8, v15, 0
	v_or_b32_sdwa v7, v8, v7 dst_sel:DWORD dst_unused:UNUSED_PAD src0_sel:DWORD src1_sel:WORD_0
	v_fma_mixlo_f16 v8, s8, v14, 0
	v_lshlrev_b32_e32 v11, 16, v11
	v_or_b32_sdwa v8, v11, v8 dst_sel:DWORD dst_unused:UNUSED_PAD src0_sel:DWORD src1_sel:WORD_0
	ds_write2_b32 v10, v7, v8 offset1:32
	s_waitcnt vmcnt(1)
	v_fma_mixlo_f16 v10, s8, v17, 0
	v_fma_mixlo_f16 v8, s8, v16, 0
	v_lshlrev_b32_e32 v10, 16, v10
	v_lshl_add_u32 v7, v18, 7, v9
	v_or_b32_sdwa v8, v10, v8 dst_sel:DWORD dst_unused:UNUSED_PAD src0_sel:DWORD src1_sel:WORD_0
	ds_write_b32 v7, v8
	s_waitcnt vmcnt(0)
	v_fma_mixlo_f16 v6, s8, v6, 0
	v_fma_mixlo_f16 v5, s8, v5, 0
	v_lshlrev_b32_e32 v6, 16, v6
	v_lshl_add_u32 v7, v19, 7, v9
	v_or_b32_sdwa v5, v6, v5 dst_sel:DWORD dst_unused:UNUSED_PAD src0_sel:DWORD src1_sel:WORD_0
	ds_write_b32 v7, v5
	s_waitcnt lgkmcnt(0)
	s_barrier
	s_cbranch_scc1 .LBB37_4
; %bb.3:
	s_load_dword s8, s[4:5], 0xd0
	s_mov_b32 s9, 0
	s_waitcnt lgkmcnt(0)
	s_mul_i32 s8, s8, s33
	s_add_i32 s8, s8, s6
	s_lshl_b64 s[8:9], s[8:9], 2
	s_add_u32 s8, s18, s8
	s_addc_u32 s9, s19, s9
	s_load_dword s30, s[8:9], 0x0
.LBB37_4:
	s_lshl_b32 s6, s7, 6
	s_waitcnt lgkmcnt(0)
	s_cmp_lt_i32 s6, s30
	v_mbcnt_lo_u32_b32 v5, -1, 0
	s_cbranch_scc1 .LBB37_7
; %bb.5:
	v_mbcnt_hi_u32_b32 v31, -1, v5
	v_and_b32_e32 v6, 0x60, v31
	v_add_u32_e32 v32, 32, v6
	v_xor_b32_e32 v37, 16, v31
	v_xor_b32_e32 v36, 8, v31
	;; [unrolled: 1-line block ×5, first 2 shown]
	s_cbranch_execz .LBB37_8
; %bb.6:
	v_mov_b32_e32 v62, 0
	v_mov_b32_e32 v38, 0
	;; [unrolled: 1-line block ×12, first 2 shown]
	s_branch .LBB37_10
.LBB37_7:
                                        ; implicit-def: $vgpr31
                                        ; implicit-def: $vgpr32
                                        ; implicit-def: $vgpr37
                                        ; implicit-def: $vgpr36
                                        ; implicit-def: $vgpr35
                                        ; implicit-def: $vgpr33
                                        ; implicit-def: $vgpr34
.LBB37_8:
	s_load_dwordx2 s[18:19], s[4:5], 0x8c
	s_load_dwordx4 s[24:27], s[4:5], 0x98
	s_sub_i32 s8, 0, s29
	s_mul_i32 s8, s8, s38
	s_mul_hi_u32 s8, s38, s8
	s_waitcnt lgkmcnt(0)
	s_ashr_i32 s9, s18, 2
	s_ashr_i32 s18, s33, 31
	s_add_i32 s38, s38, s8
	s_ashr_i32 s8, s26, 2
	s_ashr_i32 s26, s37, 1
	s_mul_hi_u32 s37, s24, s33
	s_mul_i32 s41, s24, s18
	s_abs_i32 s15, s28
	s_add_i32 s37, s37, s41
	s_mul_i32 s25, s25, s33
	s_mul_hi_u32 s36, s15, s38
	s_ashr_i32 s40, s28, 31
	s_ashr_i32 s31, s31, 31
	s_add_i32 s37, s37, s25
	s_mul_i32 s24, s24, s33
	s_add_u32 s10, s10, s24
	s_mul_i32 s25, s36, s29
	s_addc_u32 s11, s11, s37
	s_sub_i32 s15, s15, s25
	s_xor_b32 s24, s40, s31
	s_add_i32 s25, s36, 1
	s_sub_i32 s31, s15, s29
	s_cmp_ge_u32 s15, s29
	s_cselect_b32 s25, s25, s36
	s_cselect_b32 s15, s31, s15
	s_add_i32 s31, s25, 1
	s_cmp_ge_u32 s15, s29
	v_add3_u32 v11, s14, v29, 1
	s_load_dwordx2 s[38:39], s[4:5], 0xa8
	s_cselect_b32 s15, s31, s25
	v_mul_hi_u32 v13, s0, v11
	s_xor_b32 s15, s15, s24
	s_sub_i32 s15, s15, s24
	s_mul_i32 s19, s15, s19
	s_ashr_i32 s24, s19, 31
	v_add_u32_e32 v13, v11, v13
	s_add_u32 s10, s10, s19
	s_waitcnt lgkmcnt(0)
	s_mul_hi_u32 s19, s38, s33
	s_mul_i32 s18, s38, s18
	v_lshrrev_b32_e32 v6, 3, v0
	v_lshrrev_b32_e32 v13, s1, v13
	s_addc_u32 s11, s11, s24
	s_add_i32 s18, s19, s18
	s_mul_i32 s19, s39, s33
	v_add_u32_e32 v4, v6, v4
	v_mul_lo_u32 v13, v13, s2
	s_add_i32 s18, s18, s19
	s_mul_i32 s19, s38, s33
	v_mul_lo_u32 v6, s9, v4
	v_mul_lo_u32 v44, v3, s26
	;; [unrolled: 1-line block ×3, first 2 shown]
	s_add_u32 s12, s12, s19
	s_mul_i32 s15, s15, s27
	v_lshlrev_b32_e32 v39, 2, v0
	s_addc_u32 s13, s13, s18
	s_ashr_i32 s18, s15, 31
	v_and_b32_e32 v12, 28, v39
	s_add_u32 s12, s12, s15
	v_lshlrev_b32_e32 v10, 2, v12
	s_movk_i32 s15, 0x90
	v_sub_u32_e32 v11, v11, v13
	v_mad_u32_u24 v40, v4, s15, v10
	v_lshl_add_u32 v8, s9, 5, v6
	v_mul_lo_u32 v45, v11, s26
	v_lshl_or_b32 v47, v4, 7, v10
	v_lshl_add_u32 v10, s8, 5, v3
	s_addc_u32 s13, s13, s18
	v_ashrrev_i32_e32 v7, 31, v6
	v_ashrrev_i32_e32 v9, 31, v8
	;; [unrolled: 1-line block ×4, first 2 shown]
	v_mbcnt_hi_u32_b32 v31, -1, v5
	v_add_u32_e32 v46, 0x2400, v1
	s_add_u32 s0, s4, 0xd0
	v_lshlrev_b64 v[17:18], 2, v[6:7]
	v_lshlrev_b64 v[19:20], 2, v[8:9]
	v_and_b32_e32 v5, 0x60, v31
	v_lshlrev_b64 v[21:22], 2, v[3:4]
	v_lshlrev_b64 v[23:24], 2, v[10:11]
	v_mov_b32_e32 v63, 0
	v_add_u32_e32 v41, 0x1200, v40
	v_add_u32_e32 v42, 0x3400, v1
	v_mul_u32_u24_e32 v43, 0x90, v0
	v_add_u32_e32 v48, 0x1000, v47
	s_addc_u32 s1, s5, 0
	v_mov_b32_e32 v1, 0xfeffffff
	v_lshlrev_b32_e32 v49, 2, v12
	v_add_u32_e32 v32, 32, v5
	v_xor_b32_e32 v37, 16, v31
	v_xor_b32_e32 v36, 8, v31
	;; [unrolled: 1-line block ×5, first 2 shown]
	v_mov_b32_e32 v50, s35
	s_mov_b32 s15, 0x3fb8aa3b
	s_mov_b32 s18, 0xc2ce8ed0
	;; [unrolled: 1-line block ×3, first 2 shown]
	v_mov_b32_e32 v51, 0x7f800000
	s_mov_b32 s24, 0x10001
	v_add_u32_e32 v52, v46, v2
	v_add_u32_e32 v53, 0x400, v39
	;; [unrolled: 1-line block ×8, first 2 shown]
	v_mov_b32_e32 v60, 0
	v_mov_b32_e32 v61, 0
	;; [unrolled: 1-line block ×10, first 2 shown]
.LBB37_9:                               ; =>This Inner Loop Header: Depth=1
	s_mul_hi_i32 s27, s6, s9
	s_mul_i32 s26, s6, s9
	s_lshl_b64 s[26:27], s[26:27], 2
	s_add_u32 s25, s10, s26
	s_addc_u32 s26, s11, s27
	v_mov_b32_e32 v69, v2
	v_mov_b32_e32 v70, v1
	v_add_co_u32_e32 v1, vcc, s25, v17
	v_mov_b32_e32 v2, s26
	v_addc_co_u32_e32 v2, vcc, v2, v18, vcc
	v_add_co_u32_e32 v1, vcc, v1, v49
	v_addc_co_u32_e32 v2, vcc, 0, v2, vcc
	v_mov_b32_e32 v65, v4
	v_mov_b32_e32 v67, v3
	global_load_dwordx4 v[1:4], v[1:2], off
	v_mov_b32_e32 v64, v11
	v_mov_b32_e32 v66, v10
	v_mov_b32_e32 v68, v9
	v_mov_b32_e32 v71, 0
	v_mov_b32_e32 v74, 0
	v_mov_b32_e32 v72, 0
	v_mov_b32_e32 v73, 0
	s_mul_hi_i32 s27, s6, s8
	s_waitcnt vmcnt(0)
	ds_write_b128 v40, v[1:4]
	v_add_co_u32_e32 v1, vcc, s25, v19
	v_mov_b32_e32 v2, s26
	v_addc_co_u32_e32 v2, vcc, v2, v20, vcc
	v_add_co_u32_e32 v1, vcc, v1, v49
	v_addc_co_u32_e32 v2, vcc, 0, v2, vcc
	global_load_dwordx4 v[1:4], v[1:2], off
	v_cmp_lt_i32_e32 vcc, v37, v32
	s_mul_i32 s26, s6, s8
	s_lshl_b64 s[26:27], s[26:27], 2
	s_add_u32 s25, s12, s26
	s_addc_u32 s26, s13, s27
	s_waitcnt vmcnt(0)
	ds_write_b128 v41, v[1:4]
	s_waitcnt lgkmcnt(0)
	s_barrier
	ds_read_b128 v[75:78], v43
	ds_read_b128 v[1:4], v43 offset:4608
	ds_read_b128 v[79:82], v42
	ds_read_b128 v[13:16], v42 offset:128
	ds_read_b128 v[9:12], v42 offset:256
	ds_read_b128 v[5:8], v42 offset:384
	s_waitcnt lgkmcnt(3)
	;;#ASMSTART
	v_dot2_f32_f16 v71, v75, v79, v71
	;;#ASMEND
	;;#ASMSTART
	v_dot2_f32_f16 v71, v76, v80, v71
	;;#ASMEND
	;;#ASMSTART
	v_dot2_f32_f16 v71, v77, v81, v71
	;;#ASMEND
	;;#ASMSTART
	v_dot2_f32_f16 v71, v78, v82, v71
	;;#ASMEND
	s_waitcnt lgkmcnt(2)
	;;#ASMSTART
	v_dot2_f32_f16 v74, v75, v13, v74
	;;#ASMEND
	;;#ASMSTART
	v_dot2_f32_f16 v74, v76, v14, v74
	;;#ASMEND
	;;#ASMSTART
	v_dot2_f32_f16 v74, v77, v15, v74
	;;#ASMEND
	;;#ASMSTART
	v_dot2_f32_f16 v74, v78, v16, v74
	;;#ASMEND
	;; [unrolled: 13-line block ×3, first 2 shown]
	s_waitcnt lgkmcnt(0)
	;;#ASMSTART
	v_dot2_f32_f16 v73, v75, v5, v73
	;;#ASMEND
	;;#ASMSTART
	v_dot2_f32_f16 v73, v76, v6, v73
	;;#ASMEND
	;;#ASMSTART
	v_dot2_f32_f16 v73, v77, v7, v73
	;;#ASMEND
	v_mov_b32_e32 v75, 0
	;;#ASMSTART
	v_dot2_f32_f16 v73, v78, v8, v73
	;;#ASMEND
	;;#ASMSTART
	v_dot2_f32_f16 v75, v1, v79, v75
	;;#ASMEND
	;;#ASMSTART
	v_dot2_f32_f16 v75, v2, v80, v75
	;;#ASMEND
	;;#ASMSTART
	v_dot2_f32_f16 v75, v3, v81, v75
	;;#ASMEND
	v_mov_b32_e32 v76, 0
	;;#ASMSTART
	v_dot2_f32_f16 v75, v4, v82, v75
	;;#ASMEND
	;; [unrolled: 13-line block ×4, first 2 shown]
	;;#ASMSTART
	v_dot2_f32_f16 v9, v1, v5, v9
	;;#ASMEND
	;;#ASMSTART
	v_dot2_f32_f16 v9, v2, v6, v9
	;;#ASMEND
	;; [unrolled: 3-line block ×4, first 2 shown]
	ds_read_b128 v[1:4], v43 offset:16
	ds_read_b128 v[5:8], v43 offset:4624
	;; [unrolled: 1-line block ×6, first 2 shown]
	s_waitcnt lgkmcnt(3)
	;;#ASMSTART
	v_dot2_f32_f16 v71, v1, v77, v71
	;;#ASMEND
	;;#ASMSTART
	v_dot2_f32_f16 v71, v2, v78, v71
	;;#ASMEND
	;;#ASMSTART
	v_dot2_f32_f16 v71, v3, v79, v71
	;;#ASMEND
	;;#ASMSTART
	v_dot2_f32_f16 v71, v4, v80, v71
	;;#ASMEND
	s_waitcnt lgkmcnt(2)
	;;#ASMSTART
	v_dot2_f32_f16 v74, v1, v81, v74
	;;#ASMEND
	;;#ASMSTART
	v_dot2_f32_f16 v74, v2, v82, v74
	;;#ASMEND
	;;#ASMSTART
	v_dot2_f32_f16 v74, v3, v83, v74
	;;#ASMEND
	;;#ASMSTART
	v_dot2_f32_f16 v74, v4, v84, v74
	;;#ASMEND
	;; [unrolled: 13-line block ×4, first 2 shown]
	;;#ASMSTART
	v_dot2_f32_f16 v75, v5, v77, v75
	;;#ASMEND
	;;#ASMSTART
	v_dot2_f32_f16 v75, v6, v78, v75
	;;#ASMEND
	;; [unrolled: 3-line block ×16, first 2 shown]
	ds_read_b128 v[1:4], v43 offset:32
	ds_read_b128 v[5:8], v43 offset:4640
	;; [unrolled: 1-line block ×6, first 2 shown]
	s_waitcnt lgkmcnt(3)
	;;#ASMSTART
	v_dot2_f32_f16 v71, v1, v77, v71
	;;#ASMEND
	;;#ASMSTART
	v_dot2_f32_f16 v71, v2, v78, v71
	;;#ASMEND
	;;#ASMSTART
	v_dot2_f32_f16 v71, v3, v79, v71
	;;#ASMEND
	;;#ASMSTART
	v_dot2_f32_f16 v71, v4, v80, v71
	;;#ASMEND
	s_waitcnt lgkmcnt(2)
	;;#ASMSTART
	v_dot2_f32_f16 v74, v1, v81, v74
	;;#ASMEND
	;;#ASMSTART
	v_dot2_f32_f16 v74, v2, v82, v74
	;;#ASMEND
	;;#ASMSTART
	v_dot2_f32_f16 v74, v3, v83, v74
	;;#ASMEND
	;;#ASMSTART
	v_dot2_f32_f16 v74, v4, v84, v74
	;;#ASMEND
	;; [unrolled: 13-line block ×4, first 2 shown]
	;;#ASMSTART
	v_dot2_f32_f16 v75, v5, v77, v75
	;;#ASMEND
	;;#ASMSTART
	v_dot2_f32_f16 v75, v6, v78, v75
	;;#ASMEND
	;; [unrolled: 3-line block ×16, first 2 shown]
	ds_read_b128 v[1:4], v43 offset:48
	ds_read_b128 v[5:8], v43 offset:4656
	;; [unrolled: 1-line block ×6, first 2 shown]
	s_waitcnt lgkmcnt(3)
	;;#ASMSTART
	v_dot2_f32_f16 v71, v1, v77, v71
	;;#ASMEND
	;;#ASMSTART
	v_dot2_f32_f16 v71, v2, v78, v71
	;;#ASMEND
	;;#ASMSTART
	v_dot2_f32_f16 v71, v3, v79, v71
	;;#ASMEND
	;;#ASMSTART
	v_dot2_f32_f16 v71, v4, v80, v71
	;;#ASMEND
	s_waitcnt lgkmcnt(2)
	;;#ASMSTART
	v_dot2_f32_f16 v74, v1, v81, v74
	;;#ASMEND
	;;#ASMSTART
	v_dot2_f32_f16 v74, v2, v82, v74
	;;#ASMEND
	;;#ASMSTART
	v_dot2_f32_f16 v74, v3, v83, v74
	;;#ASMEND
	;;#ASMSTART
	v_dot2_f32_f16 v74, v4, v84, v74
	;;#ASMEND
	;; [unrolled: 13-line block ×4, first 2 shown]
	;;#ASMSTART
	v_dot2_f32_f16 v75, v5, v77, v75
	;;#ASMEND
	;;#ASMSTART
	v_dot2_f32_f16 v75, v6, v78, v75
	;;#ASMEND
	;; [unrolled: 3-line block ×16, first 2 shown]
	ds_read_b128 v[1:4], v43 offset:64
	ds_read_b128 v[5:8], v43 offset:4672
	;; [unrolled: 1-line block ×6, first 2 shown]
	s_waitcnt lgkmcnt(3)
	;;#ASMSTART
	v_dot2_f32_f16 v71, v1, v77, v71
	;;#ASMEND
	;;#ASMSTART
	v_dot2_f32_f16 v71, v2, v78, v71
	;;#ASMEND
	;;#ASMSTART
	v_dot2_f32_f16 v71, v3, v79, v71
	;;#ASMEND
	;;#ASMSTART
	v_dot2_f32_f16 v71, v4, v80, v71
	;;#ASMEND
	s_waitcnt lgkmcnt(2)
	;;#ASMSTART
	v_dot2_f32_f16 v74, v1, v81, v74
	;;#ASMEND
	;;#ASMSTART
	v_dot2_f32_f16 v74, v2, v82, v74
	;;#ASMEND
	;;#ASMSTART
	v_dot2_f32_f16 v74, v3, v83, v74
	;;#ASMEND
	;;#ASMSTART
	v_dot2_f32_f16 v74, v4, v84, v74
	;;#ASMEND
	;; [unrolled: 13-line block ×4, first 2 shown]
	;;#ASMSTART
	v_dot2_f32_f16 v75, v5, v77, v75
	;;#ASMEND
	;;#ASMSTART
	v_dot2_f32_f16 v75, v6, v78, v75
	;;#ASMEND
	;; [unrolled: 3-line block ×16, first 2 shown]
	ds_read_b128 v[1:4], v43 offset:80
	ds_read_b128 v[5:8], v43 offset:4688
	;; [unrolled: 1-line block ×6, first 2 shown]
	s_waitcnt lgkmcnt(3)
	;;#ASMSTART
	v_dot2_f32_f16 v71, v1, v77, v71
	;;#ASMEND
	;;#ASMSTART
	v_dot2_f32_f16 v71, v2, v78, v71
	;;#ASMEND
	;;#ASMSTART
	v_dot2_f32_f16 v71, v3, v79, v71
	;;#ASMEND
	;;#ASMSTART
	v_dot2_f32_f16 v71, v4, v80, v71
	;;#ASMEND
	s_waitcnt lgkmcnt(2)
	;;#ASMSTART
	v_dot2_f32_f16 v74, v1, v81, v74
	;;#ASMEND
	;;#ASMSTART
	v_dot2_f32_f16 v74, v2, v82, v74
	;;#ASMEND
	;;#ASMSTART
	v_dot2_f32_f16 v74, v3, v83, v74
	;;#ASMEND
	;;#ASMSTART
	v_dot2_f32_f16 v74, v4, v84, v74
	;;#ASMEND
	;; [unrolled: 13-line block ×4, first 2 shown]
	;;#ASMSTART
	v_dot2_f32_f16 v75, v5, v77, v75
	;;#ASMEND
	;;#ASMSTART
	v_dot2_f32_f16 v75, v6, v78, v75
	;;#ASMEND
	;; [unrolled: 3-line block ×16, first 2 shown]
	ds_read_b128 v[1:4], v43 offset:96
	ds_read_b128 v[5:8], v43 offset:4704
	;; [unrolled: 1-line block ×6, first 2 shown]
	s_waitcnt lgkmcnt(3)
	;;#ASMSTART
	v_dot2_f32_f16 v71, v1, v77, v71
	;;#ASMEND
	;;#ASMSTART
	v_dot2_f32_f16 v71, v2, v78, v71
	;;#ASMEND
	;;#ASMSTART
	v_dot2_f32_f16 v71, v3, v79, v71
	;;#ASMEND
	;;#ASMSTART
	v_dot2_f32_f16 v71, v4, v80, v71
	;;#ASMEND
	s_waitcnt lgkmcnt(2)
	;;#ASMSTART
	v_dot2_f32_f16 v74, v1, v81, v74
	;;#ASMEND
	;;#ASMSTART
	v_dot2_f32_f16 v74, v2, v82, v74
	;;#ASMEND
	;;#ASMSTART
	v_dot2_f32_f16 v74, v3, v83, v74
	;;#ASMEND
	;;#ASMSTART
	v_dot2_f32_f16 v74, v4, v84, v74
	;;#ASMEND
	;; [unrolled: 13-line block ×4, first 2 shown]
	;;#ASMSTART
	v_dot2_f32_f16 v75, v5, v77, v75
	;;#ASMEND
	;;#ASMSTART
	v_dot2_f32_f16 v75, v6, v78, v75
	;;#ASMEND
	;; [unrolled: 3-line block ×16, first 2 shown]
	ds_read_b128 v[1:4], v43 offset:112
	ds_read_b128 v[5:8], v43 offset:4720
	;; [unrolled: 1-line block ×6, first 2 shown]
	s_waitcnt lgkmcnt(3)
	;;#ASMSTART
	v_dot2_f32_f16 v71, v1, v77, v71
	;;#ASMEND
	;;#ASMSTART
	v_dot2_f32_f16 v71, v2, v78, v71
	;;#ASMEND
	;;#ASMSTART
	v_dot2_f32_f16 v71, v3, v79, v71
	;;#ASMEND
	;;#ASMSTART
	v_dot2_f32_f16 v71, v4, v80, v71
	;;#ASMEND
	s_waitcnt lgkmcnt(2)
	;;#ASMSTART
	v_dot2_f32_f16 v74, v1, v81, v74
	;;#ASMEND
	;;#ASMSTART
	v_dot2_f32_f16 v74, v2, v82, v74
	;;#ASMEND
	;;#ASMSTART
	v_dot2_f32_f16 v74, v3, v83, v74
	;;#ASMEND
	;;#ASMSTART
	v_dot2_f32_f16 v74, v4, v84, v74
	;;#ASMEND
	;; [unrolled: 13-line block ×4, first 2 shown]
	;;#ASMSTART
	v_dot2_f32_f16 v75, v5, v77, v75
	;;#ASMEND
	;;#ASMSTART
	v_dot2_f32_f16 v75, v6, v78, v75
	;;#ASMEND
	;; [unrolled: 3-line block ×11, first 2 shown]
	v_cndmask_b32_e32 v1, v31, v37, vcc
	v_cmp_lt_i32_e32 vcc, v36, v32
	;;#ASMSTART
	v_dot2_f32_f16 v13, v8, v88, v13
	;;#ASMEND
	;;#ASMSTART
	v_dot2_f32_f16 v9, v5, v89, v9
	;;#ASMEND
	v_lshlrev_b32_e32 v5, 2, v1
	v_cndmask_b32_e32 v1, v31, v36, vcc
	v_cmp_lt_i32_e32 vcc, v35, v32
	;;#ASMSTART
	v_dot2_f32_f16 v9, v6, v90, v9
	;;#ASMEND
	v_lshlrev_b32_e32 v6, 2, v1
	v_cndmask_b32_e32 v1, v31, v35, vcc
	v_cmp_lt_i32_e32 vcc, v33, v32
	;; [unrolled: 6-line block ×3, first 2 shown]
	;;#ASMSTART
	v_dot2_f32_f16 v9, v8, v92, v9
	;;#ASMEND
	v_add_u32_e32 v3, s6, v0
	v_lshlrev_b32_e32 v8, 2, v1
	v_cndmask_b32_e32 v1, v31, v34, vcc
	v_lshlrev_b32_e32 v10, 2, v1
	v_add_u32_e32 v1, v3, v44
	v_ashrrev_i32_e32 v2, 31, v1
	v_lshlrev_b64 v[1:2], 1, v[1:2]
	v_add_u32_e32 v3, v3, v45
	v_add_co_u32_e32 v1, vcc, s34, v1
	v_addc_co_u32_e32 v2, vcc, v50, v2, vcc
	global_load_ushort v4, v[1:2], off
	s_waitcnt vmcnt(0)
	v_cvt_f32_f16_e32 v4, v4
	global_load_ushort v1, v[1:2], off offset:64
	v_add_f32_e32 v15, v74, v4
	v_add_f32_e32 v11, v71, v4
	;; [unrolled: 1-line block ×4, first 2 shown]
	s_waitcnt vmcnt(0)
	v_cvt_f32_f16_e32 v2, v1
	v_add_f32_e32 v16, v76, v2
	v_add_f32_e32 v14, v75, v2
	;; [unrolled: 1-line block ×3, first 2 shown]
	v_max3_f32 v2, v69, v4, v2
	ds_bpermute_b32 v4, v5, v2
	v_add_f32_e32 v1, 0x40051340, v14
	v_max3_f32 v1, v70, v12, v1
	ds_bpermute_b32 v12, v5, v1
	s_waitcnt lgkmcnt(1)
	v_max_f32_e32 v4, v4, v4
	v_max_f32_e32 v2, v2, v4
	ds_bpermute_b32 v4, v6, v2
	s_waitcnt lgkmcnt(1)
	v_max_f32_e32 v12, v12, v12
	v_max_f32_e32 v1, v1, v12
	;; [unrolled: 4-line block ×9, first 2 shown]
	v_ashrrev_i32_e32 v4, 31, v3
	v_lshlrev_b64 v[3:4], 1, v[3:4]
	s_waitcnt lgkmcnt(0)
	v_max_f32_e32 v12, v12, v12
	v_add_co_u32_e32 v3, vcc, s34, v3
	v_addc_co_u32_e32 v4, vcc, v50, v4, vcc
	v_max_f32_e32 v1, v1, v12
	global_load_ushort v12, v[3:4], off
	s_waitcnt vmcnt(0)
	v_cvt_f32_f16_e32 v12, v12
	global_load_ushort v3, v[3:4], off offset:64
	s_waitcnt vmcnt(0)
	s_barrier
	v_add_f32_e32 v71, v72, v12
	v_add_f32_e32 v72, 0x40051340, v71
	v_cvt_f32_f16_e32 v4, v3
	v_add_f32_e32 v74, v13, v4
	v_add_f32_e32 v3, 0x40051340, v74
	v_max3_f32 v3, v67, v72, v3
	v_add_f32_e32 v72, v73, v12
	v_add_f32_e32 v73, v9, v4
	;; [unrolled: 1-line block ×4, first 2 shown]
	v_max3_f32 v4, v65, v12, v4
	ds_bpermute_b32 v13, v5, v3
	ds_bpermute_b32 v5, v5, v4
	s_waitcnt lgkmcnt(1)
	v_max_f32_e32 v13, v13, v13
	s_waitcnt lgkmcnt(0)
	v_max_f32_e32 v5, v5, v5
	v_max_f32_e32 v3, v3, v13
	;; [unrolled: 1-line block ×3, first 2 shown]
	ds_bpermute_b32 v13, v6, v3
	ds_bpermute_b32 v5, v6, v4
	v_sub_f32_e32 v6, v11, v1
	v_cmp_ngt_f32_e32 vcc, s18, v6
	s_waitcnt lgkmcnt(1)
	v_max_f32_e32 v13, v13, v13
	s_waitcnt lgkmcnt(0)
	v_max_f32_e32 v5, v5, v5
	v_max_f32_e32 v3, v3, v13
	;; [unrolled: 1-line block ×3, first 2 shown]
	ds_bpermute_b32 v13, v7, v3
	ds_bpermute_b32 v5, v7, v4
	v_mul_f32_e32 v7, 0x3fb8aa3b, v6
	v_rndne_f32_e32 v9, v7
	s_waitcnt lgkmcnt(1)
	v_max_f32_e32 v13, v13, v13
	s_waitcnt lgkmcnt(0)
	v_max_f32_e32 v5, v5, v5
	v_max_f32_e32 v3, v3, v13
	v_max_f32_e32 v4, v4, v5
	ds_bpermute_b32 v13, v8, v3
	ds_bpermute_b32 v5, v8, v4
	v_fma_f32 v8, v6, s15, -v7
	v_fmac_f32_e32 v8, 0x32a5705f, v6
	v_sub_f32_e32 v7, v7, v9
	v_add_f32_e32 v7, v7, v8
	v_exp_f32_e32 v7, v7
	v_cvt_i32_f32_e32 v8, v9
	s_waitcnt lgkmcnt(1)
	v_max_f32_e32 v13, v13, v13
	s_waitcnt lgkmcnt(0)
	v_max_f32_e32 v5, v5, v5
	v_max_f32_e32 v3, v3, v13
	v_ldexp_f32 v7, v7, v8
	v_sub_f32_e32 v8, v14, v1
	v_max_f32_e32 v4, v4, v5
	v_mul_f32_e32 v9, 0x3fb8aa3b, v8
	ds_bpermute_b32 v13, v10, v3
	ds_bpermute_b32 v5, v10, v4
	v_fma_f32 v10, v8, s15, -v9
	v_rndne_f32_e32 v11, v9
	v_fmac_f32_e32 v10, 0x32a5705f, v8
	v_sub_f32_e32 v9, v9, v11
	v_add_f32_e32 v9, v9, v10
	v_exp_f32_e32 v9, v9
	v_cvt_i32_f32_e32 v10, v11
	v_cndmask_b32_e32 v7, 0, v7, vcc
	v_cmp_nlt_f32_e32 vcc, s19, v6
	v_cndmask_b32_e32 v6, v51, v7, vcc
	v_ldexp_f32 v9, v9, v10
	v_cmp_ngt_f32_e32 vcc, s18, v8
	s_waitcnt lgkmcnt(0)
	v_max_f32_e32 v5, v5, v5
	v_cndmask_b32_e32 v9, 0, v9, vcc
	v_cmp_nlt_f32_e32 vcc, s19, v8
	v_max_f32_e32 v4, v4, v5
	v_sub_f32_e32 v5, v70, v1
	v_cndmask_b32_e32 v8, v51, v9, vcc
	v_cvt_f16_f32_e32 v7, v6
	v_add_f32_e32 v9, v6, v8
	v_mul_f32_e32 v6, 0x3fb8aa3b, v5
	v_cvt_f16_f32_e32 v70, v8
	v_fma_f32 v8, v5, s15, -v6
	v_rndne_f32_e32 v10, v6
	v_fmac_f32_e32 v8, 0x32a5705f, v5
	v_sub_f32_e32 v6, v6, v10
	v_add_f32_e32 v6, v6, v8
	v_exp_f32_e32 v6, v6
	v_cvt_i32_f32_e32 v8, v10
	v_cmp_ngt_f32_e32 vcc, s18, v5
	v_max_f32_e32 v13, v13, v13
	v_max_f32_e32 v3, v3, v13
	v_ldexp_f32 v6, v6, v8
	v_cndmask_b32_e32 v6, 0, v6, vcc
	v_cmp_nlt_f32_e32 vcc, s19, v5
	v_cndmask_b32_e32 v5, v51, v6, vcc
	v_sub_f32_e32 v6, v15, v2
	v_mul_f32_e32 v8, 0x3fb8aa3b, v6
	v_fma_f32 v10, v6, s15, -v8
	v_rndne_f32_e32 v11, v8
	v_fmac_f32_e32 v10, 0x32a5705f, v6
	v_sub_f32_e32 v8, v8, v11
	v_add_f32_e32 v8, v8, v10
	v_exp_f32_e32 v8, v8
	v_cvt_i32_f32_e32 v10, v11
	v_fmac_f32_e32 v9, v68, v5
	v_cvt_f16_f32_e32 v5, v5
	v_cmp_ngt_f32_e32 vcc, s18, v6
	v_ldexp_f32 v8, v8, v10
	v_sub_f32_e32 v10, v16, v2
	v_mul_f32_e32 v11, 0x3fb8aa3b, v10
	v_fma_f32 v13, v10, s15, -v11
	v_rndne_f32_e32 v14, v11
	v_fmac_f32_e32 v13, 0x32a5705f, v10
	v_sub_f32_e32 v11, v11, v14
	v_add_f32_e32 v11, v11, v13
	v_exp_f32_e32 v11, v11
	v_cvt_i32_f32_e32 v13, v14
	v_cndmask_b32_e32 v8, 0, v8, vcc
	v_cmp_nlt_f32_e32 vcc, s19, v6
	v_cndmask_b32_e32 v6, v51, v8, vcc
	v_ldexp_f32 v11, v11, v13
	v_cmp_ngt_f32_e32 vcc, s18, v10
	v_cndmask_b32_e32 v11, 0, v11, vcc
	v_cmp_nlt_f32_e32 vcc, s19, v10
	v_mul_u32_u24_e32 v12, 0x10001, v5
	v_sub_f32_e32 v5, v69, v2
	v_cndmask_b32_e32 v11, v51, v11, vcc
	v_cvt_f16_f32_e32 v8, v6
	v_add_f32_e32 v10, v6, v11
	v_mul_f32_e32 v6, 0x3fb8aa3b, v5
	v_cvt_f16_f32_e32 v16, v11
	v_fma_f32 v11, v5, s15, -v6
	v_rndne_f32_e32 v13, v6
	v_fmac_f32_e32 v11, 0x32a5705f, v5
	v_sub_f32_e32 v6, v6, v13
	v_add_f32_e32 v6, v6, v11
	v_exp_f32_e32 v6, v6
	v_cvt_i32_f32_e32 v11, v13
	v_cmp_ngt_f32_e32 vcc, s18, v5
	v_ldexp_f32 v6, v6, v11
	v_cndmask_b32_e32 v6, 0, v6, vcc
	v_cmp_nlt_f32_e32 vcc, s19, v5
	v_cndmask_b32_e32 v5, v51, v6, vcc
	v_sub_f32_e32 v6, v71, v3
	v_mul_f32_e32 v11, 0x3fb8aa3b, v6
	v_fma_f32 v14, v6, s15, -v11
	v_rndne_f32_e32 v15, v11
	v_fmac_f32_e32 v14, 0x32a5705f, v6
	v_sub_f32_e32 v11, v11, v15
	v_add_f32_e32 v11, v11, v14
	v_exp_f32_e32 v11, v11
	v_cvt_i32_f32_e32 v14, v15
	v_fmac_f32_e32 v10, v66, v5
	v_cvt_f16_f32_e32 v5, v5
	v_cmp_ngt_f32_e32 vcc, s18, v6
	v_ldexp_f32 v11, v11, v14
	v_cndmask_b32_e32 v11, 0, v11, vcc
	v_cmp_nlt_f32_e32 vcc, s19, v6
	v_cndmask_b32_e32 v6, v51, v11, vcc
	v_sub_f32_e32 v11, v74, v3
	v_mul_f32_e32 v14, 0x3fb8aa3b, v11
	v_mul_u32_u24_e32 v13, 0x10001, v5
	v_sub_f32_e32 v5, v67, v3
	v_fma_f32 v15, v11, s15, -v14
	v_rndne_f32_e32 v67, v14
	v_fmac_f32_e32 v15, 0x32a5705f, v11
	v_sub_f32_e32 v14, v14, v67
	v_add_f32_e32 v14, v14, v15
	v_exp_f32_e32 v14, v14
	v_cvt_i32_f32_e32 v15, v67
	v_cmp_ngt_f32_e32 vcc, s18, v11
	v_cvt_f16_f32_e32 v66, v6
	v_ldexp_f32 v14, v14, v15
	v_cndmask_b32_e32 v14, 0, v14, vcc
	v_cmp_nlt_f32_e32 vcc, s19, v11
	v_cndmask_b32_e32 v14, v51, v14, vcc
	v_add_f32_e32 v11, v6, v14
	v_mul_f32_e32 v6, 0x3fb8aa3b, v5
	v_cvt_f16_f32_e32 v67, v14
	v_fma_f32 v14, v5, s15, -v6
	v_rndne_f32_e32 v15, v6
	v_fmac_f32_e32 v14, 0x32a5705f, v5
	v_sub_f32_e32 v6, v6, v15
	v_add_f32_e32 v6, v6, v14
	v_exp_f32_e32 v6, v6
	v_cvt_i32_f32_e32 v14, v15
	v_cmp_ngt_f32_e32 vcc, s18, v5
	v_ldexp_f32 v6, v6, v14
	v_cndmask_b32_e32 v6, 0, v6, vcc
	v_cmp_nlt_f32_e32 vcc, s19, v5
	v_cndmask_b32_e32 v5, v51, v6, vcc
	v_fmac_f32_e32 v11, v64, v5
	v_cvt_f16_f32_e32 v5, v5
	v_sub_f32_e32 v6, v72, v4
	v_mul_f32_e32 v15, 0x3fb8aa3b, v6
	v_fma_f32 v64, v6, s15, -v15
	v_mul_u32_u24_e32 v14, 0x10001, v5
	v_sub_f32_e32 v5, v65, v4
	v_rndne_f32_e32 v65, v15
	v_fmac_f32_e32 v64, 0x32a5705f, v6
	v_sub_f32_e32 v15, v15, v65
	v_add_f32_e32 v15, v15, v64
	v_exp_f32_e32 v15, v15
	v_cvt_i32_f32_e32 v64, v65
	v_cmp_ngt_f32_e32 vcc, s18, v6
	v_ldexp_f32 v15, v15, v64
	v_cndmask_b32_e32 v15, 0, v15, vcc
	v_cmp_nlt_f32_e32 vcc, s19, v6
	v_cndmask_b32_e32 v6, v51, v15, vcc
	v_sub_f32_e32 v15, v73, v4
	v_mul_f32_e32 v65, 0x3fb8aa3b, v15
	v_fma_f32 v68, v15, s15, -v65
	v_rndne_f32_e32 v69, v65
	v_fmac_f32_e32 v68, 0x32a5705f, v15
	v_sub_f32_e32 v65, v65, v69
	v_add_f32_e32 v65, v65, v68
	v_exp_f32_e32 v65, v65
	v_cvt_i32_f32_e32 v68, v69
	v_cmp_ngt_f32_e32 vcc, s18, v15
	v_cvt_f16_f32_e32 v64, v6
	v_ldexp_f32 v65, v65, v68
	v_cndmask_b32_e32 v65, 0, v65, vcc
	v_cmp_nlt_f32_e32 vcc, s19, v15
	v_cndmask_b32_e32 v15, v51, v65, vcc
	v_add_f32_e32 v6, v6, v15
	v_cvt_f16_f32_e32 v65, v15
	v_mul_f32_e32 v15, 0x3fb8aa3b, v5
	v_fma_f32 v68, v5, s15, -v15
	v_rndne_f32_e32 v69, v15
	v_fmac_f32_e32 v68, 0x32a5705f, v5
	v_sub_f32_e32 v15, v15, v69
	v_add_f32_e32 v15, v15, v68
	v_exp_f32_e32 v15, v15
	v_cvt_i32_f32_e32 v68, v69
	v_cmp_ngt_f32_e32 vcc, s18, v5
	v_ldexp_f32 v15, v15, v68
	v_cndmask_b32_e32 v15, 0, v15, vcc
	v_cmp_nlt_f32_e32 vcc, s19, v5
	v_cndmask_b32_e32 v5, v51, v15, vcc
	v_mov_b32_e32 v15, v38
	v_mov_b32_e32 v38, v6
	v_fmac_f32_e32 v38, v15, v5
	v_cvt_f16_f32_e32 v5, v5
	v_pack_b32_f16 v6, v66, v64
	v_mul_u32_u24_e32 v5, 0x10001, v5
	v_pk_mul_f16 v15, v63, v5
	v_pack_b32_f16 v5, v7, v8
	v_pack_b32_f16 v8, v67, v65
	;; [unrolled: 1-line block ×3, first 2 shown]
	ds_write2_b64 v52, v[5:6], v[7:8] offset1:32
	v_add_co_u32_e32 v5, vcc, s25, v21
	v_mov_b32_e32 v6, s26
	v_addc_co_u32_e32 v6, vcc, v6, v22, vcc
	v_add_co_u32_e32 v7, vcc, v5, v49
	v_addc_co_u32_e32 v8, vcc, 0, v6, vcc
	v_add_co_u32_e32 v5, vcc, s25, v23
	v_mov_b32_e32 v6, s26
	v_addc_co_u32_e32 v6, vcc, v6, v24, vcc
	v_add_co_u32_e32 v5, vcc, v5, v49
	v_addc_co_u32_e32 v6, vcc, 0, v6, vcc
	global_load_dwordx4 v[63:66], v[7:8], off
	s_waitcnt vmcnt(0)
	ds_write_b128 v47, v[63:66]
	global_load_dwordx4 v[5:8], v[5:6], off
	s_waitcnt vmcnt(0)
	ds_write_b128 v48, v[5:8]
	s_waitcnt lgkmcnt(0)
	s_barrier
	ds_read2_b32 v[75:76], v39 offset1:32
	ds_read_b128 v[5:8], v46
	ds_read_b128 v[63:66], v46 offset:16
	ds_read_b128 v[67:70], v46 offset:32
	;; [unrolled: 1-line block ×3, first 2 shown]
	s_waitcnt lgkmcnt(3)
	v_mul_u32_u24_sdwa v16, v5, s24 dst_sel:DWORD dst_unused:UNUSED_PAD src0_sel:WORD_0 src1_sel:DWORD
	v_mul_u32_u24_sdwa v5, v5, s24 dst_sel:DWORD dst_unused:UNUSED_PAD src0_sel:WORD_1 src1_sel:DWORD
	v_mul_u32_u24_sdwa v77, v6, s24 dst_sel:DWORD dst_unused:UNUSED_PAD src0_sel:WORD_0 src1_sel:DWORD
	v_pk_mul_f16 v5, v75, v5
	v_mul_u32_u24_sdwa v6, v6, s24 dst_sel:DWORD dst_unused:UNUSED_PAD src0_sel:WORD_1 src1_sel:DWORD
	v_pk_fma_f16 v5, v61, v13, v5
	v_pk_mul_f16 v13, v75, v77
	v_pk_fma_f16 v13, v60, v14, v13
	v_pk_fma_f16 v6, v75, v6, v15
	v_mul_u32_u24_sdwa v14, v7, s24 dst_sel:DWORD dst_unused:UNUSED_PAD src0_sel:WORD_0 src1_sel:DWORD
	v_mul_u32_u24_sdwa v7, v7, s24 dst_sel:DWORD dst_unused:UNUSED_PAD src0_sel:WORD_1 src1_sel:DWORD
	v_mul_u32_u24_sdwa v15, v8, s24 dst_sel:DWORD dst_unused:UNUSED_PAD src0_sel:WORD_0 src1_sel:DWORD
	v_mul_u32_u24_sdwa v8, v8, s24 dst_sel:DWORD dst_unused:UNUSED_PAD src0_sel:WORD_1 src1_sel:DWORD
	v_pk_fma_f16 v7, v76, v7, v5
	v_pk_fma_f16 v8, v76, v8, v6
	ds_read2_b32 v[5:6], v39 offset0:64 offset1:96
	v_pk_mul_f16 v16, v75, v16
	v_pk_fma_f16 v12, v62, v12, v16
	v_pk_fma_f16 v12, v76, v14, v12
	;; [unrolled: 1-line block ×3, first 2 shown]
	s_waitcnt lgkmcnt(3)
	v_mul_u32_u24_sdwa v14, v63, s24 dst_sel:DWORD dst_unused:UNUSED_PAD src0_sel:WORD_0 src1_sel:DWORD
	v_mul_u32_u24_sdwa v15, v63, s24 dst_sel:DWORD dst_unused:UNUSED_PAD src0_sel:WORD_1 src1_sel:DWORD
	v_mul_u32_u24_sdwa v16, v64, s24 dst_sel:DWORD dst_unused:UNUSED_PAD src0_sel:WORD_0 src1_sel:DWORD
	v_mul_u32_u24_sdwa v60, v64, s24 dst_sel:DWORD dst_unused:UNUSED_PAD src0_sel:WORD_1 src1_sel:DWORD
	s_waitcnt lgkmcnt(0)
	v_pk_fma_f16 v12, v5, v14, v12
	v_pk_fma_f16 v7, v5, v15, v7
	v_pk_fma_f16 v13, v5, v16, v13
	v_pk_fma_f16 v5, v5, v60, v8
	v_mul_u32_u24_sdwa v8, v65, s24 dst_sel:DWORD dst_unused:UNUSED_PAD src0_sel:WORD_0 src1_sel:DWORD
	v_mul_u32_u24_sdwa v14, v65, s24 dst_sel:DWORD dst_unused:UNUSED_PAD src0_sel:WORD_1 src1_sel:DWORD
	v_mul_u32_u24_sdwa v15, v66, s24 dst_sel:DWORD dst_unused:UNUSED_PAD src0_sel:WORD_0 src1_sel:DWORD
	v_mul_u32_u24_sdwa v16, v66, s24 dst_sel:DWORD dst_unused:UNUSED_PAD src0_sel:WORD_1 src1_sel:DWORD
	v_pk_fma_f16 v8, v6, v8, v12
	v_pk_fma_f16 v7, v6, v14, v7
	;; [unrolled: 1-line block ×4, first 2 shown]
	ds_read2_b32 v[5:6], v39 offset0:128 offset1:160
	v_mul_u32_u24_sdwa v14, v67, s24 dst_sel:DWORD dst_unused:UNUSED_PAD src0_sel:WORD_0 src1_sel:DWORD
	v_mul_u32_u24_sdwa v15, v67, s24 dst_sel:DWORD dst_unused:UNUSED_PAD src0_sel:WORD_1 src1_sel:DWORD
	v_mul_u32_u24_sdwa v16, v68, s24 dst_sel:DWORD dst_unused:UNUSED_PAD src0_sel:WORD_0 src1_sel:DWORD
	v_mul_u32_u24_sdwa v60, v68, s24 dst_sel:DWORD dst_unused:UNUSED_PAD src0_sel:WORD_1 src1_sel:DWORD
	s_waitcnt lgkmcnt(0)
	v_pk_fma_f16 v8, v5, v14, v8
	v_pk_fma_f16 v7, v5, v15, v7
	;; [unrolled: 1-line block ×4, first 2 shown]
	v_mul_u32_u24_sdwa v13, v69, s24 dst_sel:DWORD dst_unused:UNUSED_PAD src0_sel:WORD_0 src1_sel:DWORD
	v_mul_u32_u24_sdwa v14, v69, s24 dst_sel:DWORD dst_unused:UNUSED_PAD src0_sel:WORD_1 src1_sel:DWORD
	v_mul_u32_u24_sdwa v15, v70, s24 dst_sel:DWORD dst_unused:UNUSED_PAD src0_sel:WORD_0 src1_sel:DWORD
	v_mul_u32_u24_sdwa v16, v70, s24 dst_sel:DWORD dst_unused:UNUSED_PAD src0_sel:WORD_1 src1_sel:DWORD
	v_pk_fma_f16 v8, v6, v13, v8
	v_pk_fma_f16 v7, v6, v14, v7
	;; [unrolled: 1-line block ×4, first 2 shown]
	ds_read2_b32 v[5:6], v39 offset0:192 offset1:224
	v_mul_u32_u24_sdwa v14, v71, s24 dst_sel:DWORD dst_unused:UNUSED_PAD src0_sel:WORD_0 src1_sel:DWORD
	v_mul_u32_u24_sdwa v15, v71, s24 dst_sel:DWORD dst_unused:UNUSED_PAD src0_sel:WORD_1 src1_sel:DWORD
	v_mul_u32_u24_sdwa v16, v72, s24 dst_sel:DWORD dst_unused:UNUSED_PAD src0_sel:WORD_0 src1_sel:DWORD
	v_mul_u32_u24_sdwa v60, v72, s24 dst_sel:DWORD dst_unused:UNUSED_PAD src0_sel:WORD_1 src1_sel:DWORD
	s_waitcnt lgkmcnt(0)
	v_pk_fma_f16 v8, v5, v14, v8
	v_pk_fma_f16 v7, v5, v15, v7
	v_pk_fma_f16 v12, v5, v16, v12
	v_pk_fma_f16 v5, v5, v60, v13
	v_mul_u32_u24_sdwa v13, v73, s24 dst_sel:DWORD dst_unused:UNUSED_PAD src0_sel:WORD_0 src1_sel:DWORD
	v_mul_u32_u24_sdwa v14, v73, s24 dst_sel:DWORD dst_unused:UNUSED_PAD src0_sel:WORD_1 src1_sel:DWORD
	v_mul_u32_u24_sdwa v15, v74, s24 dst_sel:DWORD dst_unused:UNUSED_PAD src0_sel:WORD_0 src1_sel:DWORD
	v_mul_u32_u24_sdwa v16, v74, s24 dst_sel:DWORD dst_unused:UNUSED_PAD src0_sel:WORD_1 src1_sel:DWORD
	v_pk_fma_f16 v60, v6, v13, v8
	v_pk_fma_f16 v14, v6, v14, v7
	;; [unrolled: 1-line block ×4, first 2 shown]
	ds_read2_b32 v[12:13], v53 offset1:32
	ds_read_b128 v[5:8], v46 offset:64
	s_waitcnt lgkmcnt(0)
	v_mul_u32_u24_sdwa v61, v5, s24 dst_sel:DWORD dst_unused:UNUSED_PAD src0_sel:WORD_0 src1_sel:DWORD
	v_mul_u32_u24_sdwa v5, v5, s24 dst_sel:DWORD dst_unused:UNUSED_PAD src0_sel:WORD_1 src1_sel:DWORD
	v_mul_u32_u24_sdwa v62, v6, s24 dst_sel:DWORD dst_unused:UNUSED_PAD src0_sel:WORD_0 src1_sel:DWORD
	v_mul_u32_u24_sdwa v6, v6, s24 dst_sel:DWORD dst_unused:UNUSED_PAD src0_sel:WORD_1 src1_sel:DWORD
	v_pk_fma_f16 v60, v12, v61, v60
	v_pk_fma_f16 v5, v12, v5, v14
	v_pk_fma_f16 v14, v12, v62, v15
	v_pk_fma_f16 v6, v12, v6, v16
	v_mul_u32_u24_sdwa v12, v7, s24 dst_sel:DWORD dst_unused:UNUSED_PAD src0_sel:WORD_0 src1_sel:DWORD
	v_mul_u32_u24_sdwa v7, v7, s24 dst_sel:DWORD dst_unused:UNUSED_PAD src0_sel:WORD_1 src1_sel:DWORD
	v_mul_u32_u24_sdwa v15, v8, s24 dst_sel:DWORD dst_unused:UNUSED_PAD src0_sel:WORD_0 src1_sel:DWORD
	v_mul_u32_u24_sdwa v8, v8, s24 dst_sel:DWORD dst_unused:UNUSED_PAD src0_sel:WORD_1 src1_sel:DWORD
	v_pk_fma_f16 v16, v13, v12, v60
	v_pk_fma_f16 v60, v13, v7, v5
	v_pk_fma_f16 v14, v13, v15, v14
	v_pk_fma_f16 v15, v13, v8, v6
	ds_read2_b32 v[12:13], v53 offset0:64 offset1:96
	ds_read_b128 v[5:8], v46 offset:80
	s_waitcnt lgkmcnt(0)
	v_mul_u32_u24_sdwa v61, v5, s24 dst_sel:DWORD dst_unused:UNUSED_PAD src0_sel:WORD_0 src1_sel:DWORD
	v_mul_u32_u24_sdwa v5, v5, s24 dst_sel:DWORD dst_unused:UNUSED_PAD src0_sel:WORD_1 src1_sel:DWORD
	v_mul_u32_u24_sdwa v62, v6, s24 dst_sel:DWORD dst_unused:UNUSED_PAD src0_sel:WORD_0 src1_sel:DWORD
	v_mul_u32_u24_sdwa v6, v6, s24 dst_sel:DWORD dst_unused:UNUSED_PAD src0_sel:WORD_1 src1_sel:DWORD
	v_pk_fma_f16 v16, v12, v61, v16
	v_pk_fma_f16 v5, v12, v5, v60
	v_pk_fma_f16 v14, v12, v62, v14
	v_pk_fma_f16 v6, v12, v6, v15
	v_mul_u32_u24_sdwa v12, v7, s24 dst_sel:DWORD dst_unused:UNUSED_PAD src0_sel:WORD_0 src1_sel:DWORD
	v_mul_u32_u24_sdwa v7, v7, s24 dst_sel:DWORD dst_unused:UNUSED_PAD src0_sel:WORD_1 src1_sel:DWORD
	v_mul_u32_u24_sdwa v15, v8, s24 dst_sel:DWORD dst_unused:UNUSED_PAD src0_sel:WORD_0 src1_sel:DWORD
	v_mul_u32_u24_sdwa v8, v8, s24 dst_sel:DWORD dst_unused:UNUSED_PAD src0_sel:WORD_1 src1_sel:DWORD
	v_pk_fma_f16 v16, v13, v12, v16
	v_pk_fma_f16 v60, v13, v7, v5
	v_pk_fma_f16 v14, v13, v15, v14
	v_pk_fma_f16 v15, v13, v8, v6
	ds_read2_b32 v[12:13], v53 offset0:128 offset1:160
	ds_read_b128 v[5:8], v46 offset:96
	s_waitcnt lgkmcnt(0)
	v_mul_u32_u24_sdwa v61, v5, s24 dst_sel:DWORD dst_unused:UNUSED_PAD src0_sel:WORD_0 src1_sel:DWORD
	v_mul_u32_u24_sdwa v5, v5, s24 dst_sel:DWORD dst_unused:UNUSED_PAD src0_sel:WORD_1 src1_sel:DWORD
	v_mul_u32_u24_sdwa v62, v6, s24 dst_sel:DWORD dst_unused:UNUSED_PAD src0_sel:WORD_0 src1_sel:DWORD
	v_mul_u32_u24_sdwa v6, v6, s24 dst_sel:DWORD dst_unused:UNUSED_PAD src0_sel:WORD_1 src1_sel:DWORD
	v_pk_fma_f16 v16, v12, v61, v16
	v_pk_fma_f16 v5, v12, v5, v60
	v_pk_fma_f16 v14, v12, v62, v14
	v_pk_fma_f16 v6, v12, v6, v15
	v_mul_u32_u24_sdwa v12, v7, s24 dst_sel:DWORD dst_unused:UNUSED_PAD src0_sel:WORD_0 src1_sel:DWORD
	v_mul_u32_u24_sdwa v7, v7, s24 dst_sel:DWORD dst_unused:UNUSED_PAD src0_sel:WORD_1 src1_sel:DWORD
	v_mul_u32_u24_sdwa v15, v8, s24 dst_sel:DWORD dst_unused:UNUSED_PAD src0_sel:WORD_0 src1_sel:DWORD
	v_mul_u32_u24_sdwa v8, v8, s24 dst_sel:DWORD dst_unused:UNUSED_PAD src0_sel:WORD_1 src1_sel:DWORD
	v_pk_fma_f16 v16, v13, v12, v16
	v_pk_fma_f16 v60, v13, v7, v5
	v_pk_fma_f16 v14, v13, v15, v14
	v_pk_fma_f16 v15, v13, v8, v6
	ds_read2_b32 v[12:13], v53 offset0:192 offset1:224
	ds_read_b128 v[5:8], v46 offset:112
	s_waitcnt lgkmcnt(0)
	v_mul_u32_u24_sdwa v61, v5, s24 dst_sel:DWORD dst_unused:UNUSED_PAD src0_sel:WORD_0 src1_sel:DWORD
	v_mul_u32_u24_sdwa v5, v5, s24 dst_sel:DWORD dst_unused:UNUSED_PAD src0_sel:WORD_1 src1_sel:DWORD
	v_mul_u32_u24_sdwa v62, v6, s24 dst_sel:DWORD dst_unused:UNUSED_PAD src0_sel:WORD_0 src1_sel:DWORD
	v_mul_u32_u24_sdwa v6, v6, s24 dst_sel:DWORD dst_unused:UNUSED_PAD src0_sel:WORD_1 src1_sel:DWORD
	v_pk_fma_f16 v16, v12, v61, v16
	v_pk_fma_f16 v5, v12, v5, v60
	v_pk_fma_f16 v14, v12, v62, v14
	v_pk_fma_f16 v6, v12, v6, v15
	v_mul_u32_u24_sdwa v12, v7, s24 dst_sel:DWORD dst_unused:UNUSED_PAD src0_sel:WORD_0 src1_sel:DWORD
	v_mul_u32_u24_sdwa v7, v7, s24 dst_sel:DWORD dst_unused:UNUSED_PAD src0_sel:WORD_1 src1_sel:DWORD
	v_mul_u32_u24_sdwa v15, v8, s24 dst_sel:DWORD dst_unused:UNUSED_PAD src0_sel:WORD_0 src1_sel:DWORD
	v_mul_u32_u24_sdwa v8, v8, s24 dst_sel:DWORD dst_unused:UNUSED_PAD src0_sel:WORD_1 src1_sel:DWORD
	v_pk_fma_f16 v16, v13, v12, v16
	v_pk_fma_f16 v60, v13, v7, v5
	;; [unrolled: 1-line block ×4, first 2 shown]
	ds_read2_b32 v[12:13], v54 offset1:32
	ds_read_b128 v[5:8], v46 offset:128
	s_waitcnt lgkmcnt(0)
	v_mul_u32_u24_sdwa v61, v5, s24 dst_sel:DWORD dst_unused:UNUSED_PAD src0_sel:WORD_0 src1_sel:DWORD
	v_mul_u32_u24_sdwa v5, v5, s24 dst_sel:DWORD dst_unused:UNUSED_PAD src0_sel:WORD_1 src1_sel:DWORD
	v_mul_u32_u24_sdwa v62, v6, s24 dst_sel:DWORD dst_unused:UNUSED_PAD src0_sel:WORD_0 src1_sel:DWORD
	v_mul_u32_u24_sdwa v6, v6, s24 dst_sel:DWORD dst_unused:UNUSED_PAD src0_sel:WORD_1 src1_sel:DWORD
	v_pk_fma_f16 v16, v12, v61, v16
	v_pk_fma_f16 v5, v12, v5, v60
	v_pk_fma_f16 v14, v12, v62, v14
	v_pk_fma_f16 v6, v12, v6, v15
	v_mul_u32_u24_sdwa v12, v7, s24 dst_sel:DWORD dst_unused:UNUSED_PAD src0_sel:WORD_0 src1_sel:DWORD
	v_mul_u32_u24_sdwa v7, v7, s24 dst_sel:DWORD dst_unused:UNUSED_PAD src0_sel:WORD_1 src1_sel:DWORD
	v_mul_u32_u24_sdwa v15, v8, s24 dst_sel:DWORD dst_unused:UNUSED_PAD src0_sel:WORD_0 src1_sel:DWORD
	v_mul_u32_u24_sdwa v8, v8, s24 dst_sel:DWORD dst_unused:UNUSED_PAD src0_sel:WORD_1 src1_sel:DWORD
	v_pk_fma_f16 v16, v13, v12, v16
	v_pk_fma_f16 v60, v13, v7, v5
	v_pk_fma_f16 v14, v13, v15, v14
	v_pk_fma_f16 v15, v13, v8, v6
	ds_read2_b32 v[12:13], v54 offset0:64 offset1:96
	ds_read_b128 v[5:8], v46 offset:144
	s_waitcnt lgkmcnt(0)
	v_mul_u32_u24_sdwa v61, v5, s24 dst_sel:DWORD dst_unused:UNUSED_PAD src0_sel:WORD_0 src1_sel:DWORD
	v_mul_u32_u24_sdwa v5, v5, s24 dst_sel:DWORD dst_unused:UNUSED_PAD src0_sel:WORD_1 src1_sel:DWORD
	v_mul_u32_u24_sdwa v62, v6, s24 dst_sel:DWORD dst_unused:UNUSED_PAD src0_sel:WORD_0 src1_sel:DWORD
	v_mul_u32_u24_sdwa v6, v6, s24 dst_sel:DWORD dst_unused:UNUSED_PAD src0_sel:WORD_1 src1_sel:DWORD
	v_pk_fma_f16 v16, v12, v61, v16
	v_pk_fma_f16 v5, v12, v5, v60
	v_pk_fma_f16 v14, v12, v62, v14
	v_pk_fma_f16 v6, v12, v6, v15
	v_mul_u32_u24_sdwa v12, v7, s24 dst_sel:DWORD dst_unused:UNUSED_PAD src0_sel:WORD_0 src1_sel:DWORD
	v_mul_u32_u24_sdwa v7, v7, s24 dst_sel:DWORD dst_unused:UNUSED_PAD src0_sel:WORD_1 src1_sel:DWORD
	v_mul_u32_u24_sdwa v15, v8, s24 dst_sel:DWORD dst_unused:UNUSED_PAD src0_sel:WORD_0 src1_sel:DWORD
	v_mul_u32_u24_sdwa v8, v8, s24 dst_sel:DWORD dst_unused:UNUSED_PAD src0_sel:WORD_1 src1_sel:DWORD
	v_pk_fma_f16 v16, v13, v12, v16
	v_pk_fma_f16 v60, v13, v7, v5
	v_pk_fma_f16 v14, v13, v15, v14
	v_pk_fma_f16 v15, v13, v8, v6
	ds_read2_b32 v[12:13], v54 offset0:128 offset1:160
	;; [unrolled: 19-line block ×3, first 2 shown]
	ds_read_b128 v[5:8], v46 offset:176
	s_waitcnt lgkmcnt(0)
	v_mul_u32_u24_sdwa v61, v5, s24 dst_sel:DWORD dst_unused:UNUSED_PAD src0_sel:WORD_0 src1_sel:DWORD
	v_mul_u32_u24_sdwa v5, v5, s24 dst_sel:DWORD dst_unused:UNUSED_PAD src0_sel:WORD_1 src1_sel:DWORD
	v_mul_u32_u24_sdwa v62, v6, s24 dst_sel:DWORD dst_unused:UNUSED_PAD src0_sel:WORD_0 src1_sel:DWORD
	v_mul_u32_u24_sdwa v6, v6, s24 dst_sel:DWORD dst_unused:UNUSED_PAD src0_sel:WORD_1 src1_sel:DWORD
	v_pk_fma_f16 v16, v12, v61, v16
	v_pk_fma_f16 v5, v12, v5, v60
	;; [unrolled: 1-line block ×4, first 2 shown]
	v_mul_u32_u24_sdwa v12, v7, s24 dst_sel:DWORD dst_unused:UNUSED_PAD src0_sel:WORD_0 src1_sel:DWORD
	v_mul_u32_u24_sdwa v7, v7, s24 dst_sel:DWORD dst_unused:UNUSED_PAD src0_sel:WORD_1 src1_sel:DWORD
	v_mul_u32_u24_sdwa v15, v8, s24 dst_sel:DWORD dst_unused:UNUSED_PAD src0_sel:WORD_0 src1_sel:DWORD
	v_mul_u32_u24_sdwa v8, v8, s24 dst_sel:DWORD dst_unused:UNUSED_PAD src0_sel:WORD_1 src1_sel:DWORD
	v_pk_fma_f16 v16, v13, v12, v16
	v_pk_fma_f16 v60, v13, v7, v5
	;; [unrolled: 1-line block ×4, first 2 shown]
	ds_read2_b32 v[12:13], v55 offset1:32
	ds_read_b128 v[5:8], v46 offset:192
	s_waitcnt lgkmcnt(0)
	v_mul_u32_u24_sdwa v61, v5, s24 dst_sel:DWORD dst_unused:UNUSED_PAD src0_sel:WORD_0 src1_sel:DWORD
	v_mul_u32_u24_sdwa v5, v5, s24 dst_sel:DWORD dst_unused:UNUSED_PAD src0_sel:WORD_1 src1_sel:DWORD
	v_mul_u32_u24_sdwa v62, v6, s24 dst_sel:DWORD dst_unused:UNUSED_PAD src0_sel:WORD_0 src1_sel:DWORD
	v_mul_u32_u24_sdwa v6, v6, s24 dst_sel:DWORD dst_unused:UNUSED_PAD src0_sel:WORD_1 src1_sel:DWORD
	v_pk_fma_f16 v16, v12, v61, v16
	v_pk_fma_f16 v5, v12, v5, v60
	v_pk_fma_f16 v14, v12, v62, v14
	v_pk_fma_f16 v6, v12, v6, v15
	v_mul_u32_u24_sdwa v12, v7, s24 dst_sel:DWORD dst_unused:UNUSED_PAD src0_sel:WORD_0 src1_sel:DWORD
	v_mul_u32_u24_sdwa v7, v7, s24 dst_sel:DWORD dst_unused:UNUSED_PAD src0_sel:WORD_1 src1_sel:DWORD
	v_mul_u32_u24_sdwa v15, v8, s24 dst_sel:DWORD dst_unused:UNUSED_PAD src0_sel:WORD_0 src1_sel:DWORD
	v_mul_u32_u24_sdwa v8, v8, s24 dst_sel:DWORD dst_unused:UNUSED_PAD src0_sel:WORD_1 src1_sel:DWORD
	v_pk_fma_f16 v16, v13, v12, v16
	v_pk_fma_f16 v60, v13, v7, v5
	v_pk_fma_f16 v14, v13, v15, v14
	v_pk_fma_f16 v15, v13, v8, v6
	ds_read2_b32 v[12:13], v55 offset0:64 offset1:96
	ds_read_b128 v[5:8], v46 offset:208
	s_waitcnt lgkmcnt(0)
	v_mul_u32_u24_sdwa v61, v5, s24 dst_sel:DWORD dst_unused:UNUSED_PAD src0_sel:WORD_0 src1_sel:DWORD
	v_mul_u32_u24_sdwa v5, v5, s24 dst_sel:DWORD dst_unused:UNUSED_PAD src0_sel:WORD_1 src1_sel:DWORD
	v_mul_u32_u24_sdwa v62, v6, s24 dst_sel:DWORD dst_unused:UNUSED_PAD src0_sel:WORD_0 src1_sel:DWORD
	v_mul_u32_u24_sdwa v6, v6, s24 dst_sel:DWORD dst_unused:UNUSED_PAD src0_sel:WORD_1 src1_sel:DWORD
	v_pk_fma_f16 v16, v12, v61, v16
	v_pk_fma_f16 v5, v12, v5, v60
	v_pk_fma_f16 v14, v12, v62, v14
	v_pk_fma_f16 v6, v12, v6, v15
	v_mul_u32_u24_sdwa v12, v7, s24 dst_sel:DWORD dst_unused:UNUSED_PAD src0_sel:WORD_0 src1_sel:DWORD
	v_mul_u32_u24_sdwa v7, v7, s24 dst_sel:DWORD dst_unused:UNUSED_PAD src0_sel:WORD_1 src1_sel:DWORD
	v_mul_u32_u24_sdwa v15, v8, s24 dst_sel:DWORD dst_unused:UNUSED_PAD src0_sel:WORD_0 src1_sel:DWORD
	v_mul_u32_u24_sdwa v8, v8, s24 dst_sel:DWORD dst_unused:UNUSED_PAD src0_sel:WORD_1 src1_sel:DWORD
	v_pk_fma_f16 v16, v13, v12, v16
	v_pk_fma_f16 v60, v13, v7, v5
	v_pk_fma_f16 v14, v13, v15, v14
	v_pk_fma_f16 v15, v13, v8, v6
	ds_read2_b32 v[12:13], v55 offset0:128 offset1:160
	;; [unrolled: 19-line block ×3, first 2 shown]
	ds_read_b128 v[5:8], v46 offset:240
	s_waitcnt lgkmcnt(0)
	v_mul_u32_u24_sdwa v61, v5, s24 dst_sel:DWORD dst_unused:UNUSED_PAD src0_sel:WORD_0 src1_sel:DWORD
	v_mul_u32_u24_sdwa v5, v5, s24 dst_sel:DWORD dst_unused:UNUSED_PAD src0_sel:WORD_1 src1_sel:DWORD
	v_mul_u32_u24_sdwa v62, v6, s24 dst_sel:DWORD dst_unused:UNUSED_PAD src0_sel:WORD_0 src1_sel:DWORD
	v_mul_u32_u24_sdwa v6, v6, s24 dst_sel:DWORD dst_unused:UNUSED_PAD src0_sel:WORD_1 src1_sel:DWORD
	v_pk_fma_f16 v16, v12, v61, v16
	v_pk_fma_f16 v5, v12, v5, v60
	v_pk_fma_f16 v14, v12, v62, v14
	v_pk_fma_f16 v6, v12, v6, v15
	v_mul_u32_u24_sdwa v12, v7, s24 dst_sel:DWORD dst_unused:UNUSED_PAD src0_sel:WORD_0 src1_sel:DWORD
	v_mul_u32_u24_sdwa v7, v7, s24 dst_sel:DWORD dst_unused:UNUSED_PAD src0_sel:WORD_1 src1_sel:DWORD
	v_mul_u32_u24_sdwa v15, v8, s24 dst_sel:DWORD dst_unused:UNUSED_PAD src0_sel:WORD_0 src1_sel:DWORD
	v_mul_u32_u24_sdwa v8, v8, s24 dst_sel:DWORD dst_unused:UNUSED_PAD src0_sel:WORD_1 src1_sel:DWORD
	v_pk_fma_f16 v16, v13, v12, v16
	v_pk_fma_f16 v60, v13, v7, v5
	;; [unrolled: 1-line block ×4, first 2 shown]
	ds_read2_b32 v[12:13], v56 offset1:32
	ds_read_b128 v[5:8], v46 offset:256
	s_waitcnt lgkmcnt(0)
	v_mul_u32_u24_sdwa v61, v5, s24 dst_sel:DWORD dst_unused:UNUSED_PAD src0_sel:WORD_0 src1_sel:DWORD
	v_mul_u32_u24_sdwa v5, v5, s24 dst_sel:DWORD dst_unused:UNUSED_PAD src0_sel:WORD_1 src1_sel:DWORD
	v_mul_u32_u24_sdwa v62, v6, s24 dst_sel:DWORD dst_unused:UNUSED_PAD src0_sel:WORD_0 src1_sel:DWORD
	v_mul_u32_u24_sdwa v6, v6, s24 dst_sel:DWORD dst_unused:UNUSED_PAD src0_sel:WORD_1 src1_sel:DWORD
	v_pk_fma_f16 v16, v12, v61, v16
	v_pk_fma_f16 v5, v12, v5, v60
	v_pk_fma_f16 v14, v12, v62, v14
	v_pk_fma_f16 v6, v12, v6, v15
	v_mul_u32_u24_sdwa v12, v7, s24 dst_sel:DWORD dst_unused:UNUSED_PAD src0_sel:WORD_0 src1_sel:DWORD
	v_mul_u32_u24_sdwa v7, v7, s24 dst_sel:DWORD dst_unused:UNUSED_PAD src0_sel:WORD_1 src1_sel:DWORD
	v_mul_u32_u24_sdwa v15, v8, s24 dst_sel:DWORD dst_unused:UNUSED_PAD src0_sel:WORD_0 src1_sel:DWORD
	v_mul_u32_u24_sdwa v8, v8, s24 dst_sel:DWORD dst_unused:UNUSED_PAD src0_sel:WORD_1 src1_sel:DWORD
	v_pk_fma_f16 v16, v13, v12, v16
	v_pk_fma_f16 v60, v13, v7, v5
	v_pk_fma_f16 v14, v13, v15, v14
	v_pk_fma_f16 v15, v13, v8, v6
	ds_read2_b32 v[12:13], v56 offset0:64 offset1:96
	ds_read_b128 v[5:8], v46 offset:272
	s_waitcnt lgkmcnt(0)
	v_mul_u32_u24_sdwa v61, v5, s24 dst_sel:DWORD dst_unused:UNUSED_PAD src0_sel:WORD_0 src1_sel:DWORD
	v_mul_u32_u24_sdwa v5, v5, s24 dst_sel:DWORD dst_unused:UNUSED_PAD src0_sel:WORD_1 src1_sel:DWORD
	v_mul_u32_u24_sdwa v62, v6, s24 dst_sel:DWORD dst_unused:UNUSED_PAD src0_sel:WORD_0 src1_sel:DWORD
	v_mul_u32_u24_sdwa v6, v6, s24 dst_sel:DWORD dst_unused:UNUSED_PAD src0_sel:WORD_1 src1_sel:DWORD
	v_pk_fma_f16 v16, v12, v61, v16
	v_pk_fma_f16 v5, v12, v5, v60
	v_pk_fma_f16 v14, v12, v62, v14
	v_pk_fma_f16 v6, v12, v6, v15
	v_mul_u32_u24_sdwa v12, v7, s24 dst_sel:DWORD dst_unused:UNUSED_PAD src0_sel:WORD_0 src1_sel:DWORD
	v_mul_u32_u24_sdwa v7, v7, s24 dst_sel:DWORD dst_unused:UNUSED_PAD src0_sel:WORD_1 src1_sel:DWORD
	v_mul_u32_u24_sdwa v15, v8, s24 dst_sel:DWORD dst_unused:UNUSED_PAD src0_sel:WORD_0 src1_sel:DWORD
	v_mul_u32_u24_sdwa v8, v8, s24 dst_sel:DWORD dst_unused:UNUSED_PAD src0_sel:WORD_1 src1_sel:DWORD
	v_pk_fma_f16 v16, v13, v12, v16
	v_pk_fma_f16 v60, v13, v7, v5
	v_pk_fma_f16 v14, v13, v15, v14
	v_pk_fma_f16 v15, v13, v8, v6
	ds_read2_b32 v[12:13], v56 offset0:128 offset1:160
	;; [unrolled: 19-line block ×3, first 2 shown]
	ds_read_b128 v[5:8], v46 offset:304
	s_waitcnt lgkmcnt(0)
	v_mul_u32_u24_sdwa v61, v5, s24 dst_sel:DWORD dst_unused:UNUSED_PAD src0_sel:WORD_0 src1_sel:DWORD
	v_mul_u32_u24_sdwa v5, v5, s24 dst_sel:DWORD dst_unused:UNUSED_PAD src0_sel:WORD_1 src1_sel:DWORD
	v_mul_u32_u24_sdwa v62, v6, s24 dst_sel:DWORD dst_unused:UNUSED_PAD src0_sel:WORD_0 src1_sel:DWORD
	v_mul_u32_u24_sdwa v6, v6, s24 dst_sel:DWORD dst_unused:UNUSED_PAD src0_sel:WORD_1 src1_sel:DWORD
	v_pk_fma_f16 v16, v12, v61, v16
	v_pk_fma_f16 v5, v12, v5, v60
	;; [unrolled: 1-line block ×4, first 2 shown]
	v_mul_u32_u24_sdwa v12, v7, s24 dst_sel:DWORD dst_unused:UNUSED_PAD src0_sel:WORD_0 src1_sel:DWORD
	v_mul_u32_u24_sdwa v7, v7, s24 dst_sel:DWORD dst_unused:UNUSED_PAD src0_sel:WORD_1 src1_sel:DWORD
	v_mul_u32_u24_sdwa v15, v8, s24 dst_sel:DWORD dst_unused:UNUSED_PAD src0_sel:WORD_0 src1_sel:DWORD
	v_mul_u32_u24_sdwa v8, v8, s24 dst_sel:DWORD dst_unused:UNUSED_PAD src0_sel:WORD_1 src1_sel:DWORD
	v_pk_fma_f16 v16, v13, v12, v16
	v_pk_fma_f16 v60, v13, v7, v5
	;; [unrolled: 1-line block ×4, first 2 shown]
	ds_read2_b32 v[12:13], v57 offset1:32
	ds_read_b128 v[5:8], v46 offset:320
	s_waitcnt lgkmcnt(0)
	v_mul_u32_u24_sdwa v61, v5, s24 dst_sel:DWORD dst_unused:UNUSED_PAD src0_sel:WORD_0 src1_sel:DWORD
	v_mul_u32_u24_sdwa v5, v5, s24 dst_sel:DWORD dst_unused:UNUSED_PAD src0_sel:WORD_1 src1_sel:DWORD
	v_mul_u32_u24_sdwa v62, v6, s24 dst_sel:DWORD dst_unused:UNUSED_PAD src0_sel:WORD_0 src1_sel:DWORD
	v_mul_u32_u24_sdwa v6, v6, s24 dst_sel:DWORD dst_unused:UNUSED_PAD src0_sel:WORD_1 src1_sel:DWORD
	v_pk_fma_f16 v16, v12, v61, v16
	v_pk_fma_f16 v5, v12, v5, v60
	v_pk_fma_f16 v14, v12, v62, v14
	v_pk_fma_f16 v6, v12, v6, v15
	v_mul_u32_u24_sdwa v12, v7, s24 dst_sel:DWORD dst_unused:UNUSED_PAD src0_sel:WORD_0 src1_sel:DWORD
	v_mul_u32_u24_sdwa v7, v7, s24 dst_sel:DWORD dst_unused:UNUSED_PAD src0_sel:WORD_1 src1_sel:DWORD
	v_mul_u32_u24_sdwa v15, v8, s24 dst_sel:DWORD dst_unused:UNUSED_PAD src0_sel:WORD_0 src1_sel:DWORD
	v_mul_u32_u24_sdwa v8, v8, s24 dst_sel:DWORD dst_unused:UNUSED_PAD src0_sel:WORD_1 src1_sel:DWORD
	v_pk_fma_f16 v16, v13, v12, v16
	v_pk_fma_f16 v60, v13, v7, v5
	v_pk_fma_f16 v14, v13, v15, v14
	v_pk_fma_f16 v15, v13, v8, v6
	ds_read2_b32 v[12:13], v57 offset0:64 offset1:96
	ds_read_b128 v[5:8], v46 offset:336
	s_waitcnt lgkmcnt(0)
	v_mul_u32_u24_sdwa v61, v5, s24 dst_sel:DWORD dst_unused:UNUSED_PAD src0_sel:WORD_0 src1_sel:DWORD
	v_mul_u32_u24_sdwa v5, v5, s24 dst_sel:DWORD dst_unused:UNUSED_PAD src0_sel:WORD_1 src1_sel:DWORD
	v_mul_u32_u24_sdwa v62, v6, s24 dst_sel:DWORD dst_unused:UNUSED_PAD src0_sel:WORD_0 src1_sel:DWORD
	v_mul_u32_u24_sdwa v6, v6, s24 dst_sel:DWORD dst_unused:UNUSED_PAD src0_sel:WORD_1 src1_sel:DWORD
	v_pk_fma_f16 v16, v12, v61, v16
	v_pk_fma_f16 v5, v12, v5, v60
	v_pk_fma_f16 v14, v12, v62, v14
	v_pk_fma_f16 v6, v12, v6, v15
	v_mul_u32_u24_sdwa v12, v7, s24 dst_sel:DWORD dst_unused:UNUSED_PAD src0_sel:WORD_0 src1_sel:DWORD
	v_mul_u32_u24_sdwa v7, v7, s24 dst_sel:DWORD dst_unused:UNUSED_PAD src0_sel:WORD_1 src1_sel:DWORD
	v_mul_u32_u24_sdwa v15, v8, s24 dst_sel:DWORD dst_unused:UNUSED_PAD src0_sel:WORD_0 src1_sel:DWORD
	v_mul_u32_u24_sdwa v8, v8, s24 dst_sel:DWORD dst_unused:UNUSED_PAD src0_sel:WORD_1 src1_sel:DWORD
	v_pk_fma_f16 v16, v13, v12, v16
	v_pk_fma_f16 v60, v13, v7, v5
	v_pk_fma_f16 v14, v13, v15, v14
	v_pk_fma_f16 v15, v13, v8, v6
	ds_read2_b32 v[12:13], v57 offset0:128 offset1:160
	;; [unrolled: 19-line block ×3, first 2 shown]
	ds_read_b128 v[5:8], v46 offset:368
	s_waitcnt lgkmcnt(0)
	v_mul_u32_u24_sdwa v61, v5, s24 dst_sel:DWORD dst_unused:UNUSED_PAD src0_sel:WORD_0 src1_sel:DWORD
	v_mul_u32_u24_sdwa v5, v5, s24 dst_sel:DWORD dst_unused:UNUSED_PAD src0_sel:WORD_1 src1_sel:DWORD
	v_mul_u32_u24_sdwa v62, v6, s24 dst_sel:DWORD dst_unused:UNUSED_PAD src0_sel:WORD_0 src1_sel:DWORD
	v_mul_u32_u24_sdwa v6, v6, s24 dst_sel:DWORD dst_unused:UNUSED_PAD src0_sel:WORD_1 src1_sel:DWORD
	v_pk_fma_f16 v16, v12, v61, v16
	v_pk_fma_f16 v5, v12, v5, v60
	;; [unrolled: 1-line block ×4, first 2 shown]
	v_mul_u32_u24_sdwa v12, v7, s24 dst_sel:DWORD dst_unused:UNUSED_PAD src0_sel:WORD_0 src1_sel:DWORD
	v_mul_u32_u24_sdwa v7, v7, s24 dst_sel:DWORD dst_unused:UNUSED_PAD src0_sel:WORD_1 src1_sel:DWORD
	v_mul_u32_u24_sdwa v15, v8, s24 dst_sel:DWORD dst_unused:UNUSED_PAD src0_sel:WORD_0 src1_sel:DWORD
	v_mul_u32_u24_sdwa v8, v8, s24 dst_sel:DWORD dst_unused:UNUSED_PAD src0_sel:WORD_1 src1_sel:DWORD
	v_pk_fma_f16 v16, v13, v12, v16
	v_pk_fma_f16 v60, v13, v7, v5
	;; [unrolled: 1-line block ×4, first 2 shown]
	ds_read2_b32 v[12:13], v58 offset1:32
	ds_read_b128 v[5:8], v46 offset:384
	s_waitcnt lgkmcnt(0)
	v_mul_u32_u24_sdwa v61, v5, s24 dst_sel:DWORD dst_unused:UNUSED_PAD src0_sel:WORD_0 src1_sel:DWORD
	v_mul_u32_u24_sdwa v5, v5, s24 dst_sel:DWORD dst_unused:UNUSED_PAD src0_sel:WORD_1 src1_sel:DWORD
	v_mul_u32_u24_sdwa v62, v6, s24 dst_sel:DWORD dst_unused:UNUSED_PAD src0_sel:WORD_0 src1_sel:DWORD
	v_mul_u32_u24_sdwa v6, v6, s24 dst_sel:DWORD dst_unused:UNUSED_PAD src0_sel:WORD_1 src1_sel:DWORD
	v_pk_fma_f16 v16, v12, v61, v16
	v_pk_fma_f16 v5, v12, v5, v60
	v_pk_fma_f16 v14, v12, v62, v14
	v_pk_fma_f16 v6, v12, v6, v15
	v_mul_u32_u24_sdwa v12, v7, s24 dst_sel:DWORD dst_unused:UNUSED_PAD src0_sel:WORD_0 src1_sel:DWORD
	v_mul_u32_u24_sdwa v7, v7, s24 dst_sel:DWORD dst_unused:UNUSED_PAD src0_sel:WORD_1 src1_sel:DWORD
	v_mul_u32_u24_sdwa v15, v8, s24 dst_sel:DWORD dst_unused:UNUSED_PAD src0_sel:WORD_0 src1_sel:DWORD
	v_mul_u32_u24_sdwa v8, v8, s24 dst_sel:DWORD dst_unused:UNUSED_PAD src0_sel:WORD_1 src1_sel:DWORD
	v_pk_fma_f16 v16, v13, v12, v16
	v_pk_fma_f16 v60, v13, v7, v5
	v_pk_fma_f16 v14, v13, v15, v14
	v_pk_fma_f16 v15, v13, v8, v6
	ds_read2_b32 v[12:13], v58 offset0:64 offset1:96
	ds_read_b128 v[5:8], v46 offset:400
	s_waitcnt lgkmcnt(0)
	v_mul_u32_u24_sdwa v61, v5, s24 dst_sel:DWORD dst_unused:UNUSED_PAD src0_sel:WORD_0 src1_sel:DWORD
	v_mul_u32_u24_sdwa v5, v5, s24 dst_sel:DWORD dst_unused:UNUSED_PAD src0_sel:WORD_1 src1_sel:DWORD
	v_mul_u32_u24_sdwa v62, v6, s24 dst_sel:DWORD dst_unused:UNUSED_PAD src0_sel:WORD_0 src1_sel:DWORD
	v_mul_u32_u24_sdwa v6, v6, s24 dst_sel:DWORD dst_unused:UNUSED_PAD src0_sel:WORD_1 src1_sel:DWORD
	v_pk_fma_f16 v16, v12, v61, v16
	v_pk_fma_f16 v5, v12, v5, v60
	v_pk_fma_f16 v14, v12, v62, v14
	v_pk_fma_f16 v6, v12, v6, v15
	v_mul_u32_u24_sdwa v12, v7, s24 dst_sel:DWORD dst_unused:UNUSED_PAD src0_sel:WORD_0 src1_sel:DWORD
	v_mul_u32_u24_sdwa v7, v7, s24 dst_sel:DWORD dst_unused:UNUSED_PAD src0_sel:WORD_1 src1_sel:DWORD
	v_mul_u32_u24_sdwa v15, v8, s24 dst_sel:DWORD dst_unused:UNUSED_PAD src0_sel:WORD_0 src1_sel:DWORD
	v_mul_u32_u24_sdwa v8, v8, s24 dst_sel:DWORD dst_unused:UNUSED_PAD src0_sel:WORD_1 src1_sel:DWORD
	v_pk_fma_f16 v16, v13, v12, v16
	v_pk_fma_f16 v60, v13, v7, v5
	v_pk_fma_f16 v14, v13, v15, v14
	v_pk_fma_f16 v15, v13, v8, v6
	ds_read2_b32 v[12:13], v58 offset0:128 offset1:160
	;; [unrolled: 19-line block ×3, first 2 shown]
	ds_read_b128 v[5:8], v46 offset:432
	s_waitcnt lgkmcnt(0)
	v_mul_u32_u24_sdwa v61, v5, s24 dst_sel:DWORD dst_unused:UNUSED_PAD src0_sel:WORD_0 src1_sel:DWORD
	v_mul_u32_u24_sdwa v5, v5, s24 dst_sel:DWORD dst_unused:UNUSED_PAD src0_sel:WORD_1 src1_sel:DWORD
	v_mul_u32_u24_sdwa v62, v6, s24 dst_sel:DWORD dst_unused:UNUSED_PAD src0_sel:WORD_0 src1_sel:DWORD
	v_mul_u32_u24_sdwa v6, v6, s24 dst_sel:DWORD dst_unused:UNUSED_PAD src0_sel:WORD_1 src1_sel:DWORD
	v_pk_fma_f16 v16, v12, v61, v16
	v_pk_fma_f16 v5, v12, v5, v60
	;; [unrolled: 1-line block ×4, first 2 shown]
	v_mul_u32_u24_sdwa v12, v7, s24 dst_sel:DWORD dst_unused:UNUSED_PAD src0_sel:WORD_0 src1_sel:DWORD
	v_mul_u32_u24_sdwa v7, v7, s24 dst_sel:DWORD dst_unused:UNUSED_PAD src0_sel:WORD_1 src1_sel:DWORD
	v_mul_u32_u24_sdwa v15, v8, s24 dst_sel:DWORD dst_unused:UNUSED_PAD src0_sel:WORD_0 src1_sel:DWORD
	v_mul_u32_u24_sdwa v8, v8, s24 dst_sel:DWORD dst_unused:UNUSED_PAD src0_sel:WORD_1 src1_sel:DWORD
	v_pk_fma_f16 v16, v13, v12, v16
	v_pk_fma_f16 v60, v13, v7, v5
	;; [unrolled: 1-line block ×4, first 2 shown]
	ds_read2_b32 v[12:13], v59 offset1:32
	ds_read_b128 v[5:8], v46 offset:448
	s_waitcnt lgkmcnt(0)
	v_mul_u32_u24_sdwa v61, v5, s24 dst_sel:DWORD dst_unused:UNUSED_PAD src0_sel:WORD_0 src1_sel:DWORD
	v_mul_u32_u24_sdwa v5, v5, s24 dst_sel:DWORD dst_unused:UNUSED_PAD src0_sel:WORD_1 src1_sel:DWORD
	v_mul_u32_u24_sdwa v62, v6, s24 dst_sel:DWORD dst_unused:UNUSED_PAD src0_sel:WORD_0 src1_sel:DWORD
	v_mul_u32_u24_sdwa v6, v6, s24 dst_sel:DWORD dst_unused:UNUSED_PAD src0_sel:WORD_1 src1_sel:DWORD
	v_pk_fma_f16 v16, v12, v61, v16
	v_pk_fma_f16 v5, v12, v5, v60
	v_pk_fma_f16 v14, v12, v62, v14
	v_pk_fma_f16 v6, v12, v6, v15
	v_mul_u32_u24_sdwa v12, v7, s24 dst_sel:DWORD dst_unused:UNUSED_PAD src0_sel:WORD_0 src1_sel:DWORD
	v_mul_u32_u24_sdwa v7, v7, s24 dst_sel:DWORD dst_unused:UNUSED_PAD src0_sel:WORD_1 src1_sel:DWORD
	v_mul_u32_u24_sdwa v15, v8, s24 dst_sel:DWORD dst_unused:UNUSED_PAD src0_sel:WORD_0 src1_sel:DWORD
	v_mul_u32_u24_sdwa v8, v8, s24 dst_sel:DWORD dst_unused:UNUSED_PAD src0_sel:WORD_1 src1_sel:DWORD
	v_pk_fma_f16 v16, v13, v12, v16
	v_pk_fma_f16 v60, v13, v7, v5
	v_pk_fma_f16 v14, v13, v15, v14
	v_pk_fma_f16 v15, v13, v8, v6
	ds_read2_b32 v[12:13], v59 offset0:64 offset1:96
	ds_read_b128 v[5:8], v46 offset:464
	s_waitcnt lgkmcnt(0)
	v_mul_u32_u24_sdwa v61, v5, s24 dst_sel:DWORD dst_unused:UNUSED_PAD src0_sel:WORD_0 src1_sel:DWORD
	v_mul_u32_u24_sdwa v5, v5, s24 dst_sel:DWORD dst_unused:UNUSED_PAD src0_sel:WORD_1 src1_sel:DWORD
	v_mul_u32_u24_sdwa v62, v6, s24 dst_sel:DWORD dst_unused:UNUSED_PAD src0_sel:WORD_0 src1_sel:DWORD
	v_mul_u32_u24_sdwa v6, v6, s24 dst_sel:DWORD dst_unused:UNUSED_PAD src0_sel:WORD_1 src1_sel:DWORD
	v_pk_fma_f16 v16, v12, v61, v16
	v_pk_fma_f16 v5, v12, v5, v60
	v_pk_fma_f16 v14, v12, v62, v14
	v_pk_fma_f16 v6, v12, v6, v15
	v_mul_u32_u24_sdwa v12, v7, s24 dst_sel:DWORD dst_unused:UNUSED_PAD src0_sel:WORD_0 src1_sel:DWORD
	v_mul_u32_u24_sdwa v7, v7, s24 dst_sel:DWORD dst_unused:UNUSED_PAD src0_sel:WORD_1 src1_sel:DWORD
	v_mul_u32_u24_sdwa v15, v8, s24 dst_sel:DWORD dst_unused:UNUSED_PAD src0_sel:WORD_0 src1_sel:DWORD
	v_mul_u32_u24_sdwa v8, v8, s24 dst_sel:DWORD dst_unused:UNUSED_PAD src0_sel:WORD_1 src1_sel:DWORD
	v_pk_fma_f16 v16, v13, v12, v16
	v_pk_fma_f16 v60, v13, v7, v5
	v_pk_fma_f16 v14, v13, v15, v14
	v_pk_fma_f16 v15, v13, v8, v6
	ds_read2_b32 v[12:13], v59 offset0:128 offset1:160
	;; [unrolled: 19-line block ×3, first 2 shown]
	ds_read_b128 v[60:63], v46 offset:496
	s_waitcnt lgkmcnt(0)
	s_barrier
	s_load_dword s25, s[0:1], 0x4
	v_mul_u32_u24_sdwa v14, v60, s24 dst_sel:DWORD dst_unused:UNUSED_PAD src0_sel:WORD_0 src1_sel:DWORD
	v_mul_u32_u24_sdwa v15, v60, s24 dst_sel:DWORD dst_unused:UNUSED_PAD src0_sel:WORD_1 src1_sel:DWORD
	v_mul_u32_u24_sdwa v16, v61, s24 dst_sel:DWORD dst_unused:UNUSED_PAD src0_sel:WORD_0 src1_sel:DWORD
	v_mul_u32_u24_sdwa v60, v61, s24 dst_sel:DWORD dst_unused:UNUSED_PAD src0_sel:WORD_1 src1_sel:DWORD
	s_waitcnt lgkmcnt(0)
	s_lshl_b32 s25, s25, 6
	v_pk_fma_f16 v7, v5, v14, v7
	v_pk_fma_f16 v8, v5, v15, v8
	;; [unrolled: 1-line block ×4, first 2 shown]
	v_mul_u32_u24_sdwa v13, v62, s24 dst_sel:DWORD dst_unused:UNUSED_PAD src0_sel:WORD_0 src1_sel:DWORD
	v_mul_u32_u24_sdwa v14, v62, s24 dst_sel:DWORD dst_unused:UNUSED_PAD src0_sel:WORD_1 src1_sel:DWORD
	v_mul_u32_u24_sdwa v15, v63, s24 dst_sel:DWORD dst_unused:UNUSED_PAD src0_sel:WORD_0 src1_sel:DWORD
	v_mul_u32_u24_sdwa v16, v63, s24 dst_sel:DWORD dst_unused:UNUSED_PAD src0_sel:WORD_1 src1_sel:DWORD
	s_add_i32 s6, s25, s6
	v_pk_fma_f16 v62, v6, v13, v7
	v_pk_fma_f16 v61, v6, v14, v8
	;; [unrolled: 1-line block ×4, first 2 shown]
	s_cmp_ge_i32 s6, s30
	s_cbranch_scc0 .LBB37_9
.LBB37_10:
	v_cmp_lt_i32_e32 vcc, v37, v32
	v_cndmask_b32_e32 v5, v31, v37, vcc
	v_lshlrev_b32_e32 v5, 2, v5
	ds_bpermute_b32 v6, v5, v9
	ds_bpermute_b32 v14, v5, v10
	ds_bpermute_b32 v16, v5, v11
	ds_bpermute_b32 v5, v5, v38
	v_cmp_lt_i32_e32 vcc, v36, v32
	v_cndmask_b32_e32 v7, v31, v36, vcc
	v_lshlrev_b32_e32 v7, 2, v7
	s_waitcnt lgkmcnt(3)
	v_add_f32_e32 v6, v9, v6
	s_waitcnt lgkmcnt(2)
	v_add_f32_e32 v10, v10, v14
	s_waitcnt lgkmcnt(1)
	v_add_f32_e32 v11, v11, v16
	s_waitcnt lgkmcnt(0)
	v_add_f32_e32 v5, v38, v5
	ds_bpermute_b32 v8, v7, v6
	ds_bpermute_b32 v14, v7, v10
	ds_bpermute_b32 v16, v7, v11
	ds_bpermute_b32 v7, v7, v5
	v_cmp_lt_i32_e32 vcc, v35, v32
	v_cndmask_b32_e32 v9, v31, v35, vcc
	v_lshlrev_b32_e32 v9, 2, v9
	s_waitcnt lgkmcnt(3)
	v_add_f32_e32 v6, v6, v8
	s_waitcnt lgkmcnt(2)
	v_add_f32_e32 v10, v10, v14
	s_waitcnt lgkmcnt(1)
	v_add_f32_e32 v11, v11, v16
	s_waitcnt lgkmcnt(0)
	v_add_f32_e32 v5, v5, v7
	;; [unrolled: 15-line block ×4, first 2 shown]
	ds_bpermute_b32 v8, v13, v6
	ds_bpermute_b32 v10, v13, v9
	;; [unrolled: 1-line block ×4, first 2 shown]
	s_cmp_lg_u64 s[16:17], 0
	s_cselect_b64 s[0:1], -1, 0
	s_cmp_eq_u32 s7, 0
	s_cselect_b64 s[8:9], -1, 0
	s_and_b64 s[0:1], s[8:9], s[0:1]
	v_lshlrev_b32_e32 v15, 1, v0
	s_waitcnt lgkmcnt(3)
	v_add_f32_e32 v5, v6, v8
	s_waitcnt lgkmcnt(2)
	v_add_f32_e32 v6, v9, v10
	;; [unrolled: 2-line block ×4, first 2 shown]
	s_and_b64 vcc, exec, s[0:1]
	s_cbranch_vccz .LBB37_13
; %bb.11:
	s_ashr_i32 s29, s28, 31
	s_lshl_b64 s[0:1], s[28:29], 2
	s_add_u32 s0, s16, s0
	s_addc_u32 s1, s17, s1
	v_mov_b32_e32 v9, 0
	global_load_dwordx2 v[11:12], v9, s[0:1]
	v_max_f32_e32 v9, v1, v1
	v_max_f32_e32 v10, v2, v2
	;; [unrolled: 1-line block ×3, first 2 shown]
	s_mov_b32 s6, 0x3fb8aa3b
	s_mov_b32 s1, 0xc2ce8ed0
	;; [unrolled: 1-line block ×3, first 2 shown]
	v_mov_b32_e32 v13, 0x7f800000
	s_waitcnt vmcnt(0)
	v_max_f32_e32 v18, v11, v11
	v_max_f32_e32 v16, v9, v18
	;; [unrolled: 1-line block ×3, first 2 shown]
	v_sub_f32_e32 v1, v1, v16
	v_max_f32_e32 v17, v10, v19
	v_max_f32_e32 v18, v14, v18
	v_sub_f32_e32 v9, v11, v16
	v_mul_f32_e32 v14, 0x3fb8aa3b, v1
	v_sub_f32_e32 v2, v2, v17
	v_mul_f32_e32 v20, 0x3fb8aa3b, v9
	v_fma_f32 v31, v1, s6, -v14
	v_rndne_f32_e32 v32, v14
	v_sub_f32_e32 v10, v12, v17
	v_mul_f32_e32 v21, 0x3fb8aa3b, v2
	v_fma_f32 v33, v9, s6, -v20
	v_rndne_f32_e32 v34, v20
	v_fmac_f32_e32 v31, 0x32a5705f, v1
	v_sub_f32_e32 v14, v14, v32
	v_sub_f32_e32 v3, v3, v18
	v_mul_f32_e32 v22, 0x3fb8aa3b, v10
	v_fma_f32 v35, v2, s6, -v21
	v_rndne_f32_e32 v36, v21
	v_fmac_f32_e32 v33, 0x32a5705f, v9
	v_sub_f32_e32 v20, v20, v34
	v_add_f32_e32 v14, v14, v31
	v_mul_f32_e32 v23, 0x3fb8aa3b, v3
	v_fma_f32 v37, v10, s6, -v22
	v_rndne_f32_e32 v38, v22
	v_cvt_i32_f32_e32 v32, v32
	v_fmac_f32_e32 v35, 0x32a5705f, v2
	v_sub_f32_e32 v21, v21, v36
	v_add_f32_e32 v20, v20, v33
	v_exp_f32_e32 v14, v14
	v_fma_f32 v39, v3, s6, -v23
	v_rndne_f32_e32 v40, v23
	v_cvt_i32_f32_e32 v34, v34
	v_fmac_f32_e32 v37, 0x32a5705f, v10
	v_sub_f32_e32 v22, v22, v38
	v_add_f32_e32 v21, v21, v35
	v_exp_f32_e32 v20, v20
	v_cvt_i32_f32_e32 v36, v36
	v_fmac_f32_e32 v39, 0x32a5705f, v3
	v_sub_f32_e32 v23, v23, v40
	v_add_f32_e32 v22, v22, v37
	v_exp_f32_e32 v21, v21
	v_cvt_i32_f32_e32 v38, v38
	v_add_f32_e32 v23, v23, v39
	v_exp_f32_e32 v22, v22
	v_cvt_i32_f32_e32 v40, v40
	v_exp_f32_e32 v23, v23
	v_ldexp_f32 v14, v14, v32
	v_cmp_ngt_f32_e32 vcc, s1, v1
	v_ldexp_f32 v20, v20, v34
	v_cndmask_b32_e32 v14, 0, v14, vcc
	v_cmp_ngt_f32_e32 vcc, s1, v9
	v_ldexp_f32 v21, v21, v36
	v_cndmask_b32_e32 v20, 0, v20, vcc
	;; [unrolled: 3-line block ×4, first 2 shown]
	v_cmp_ngt_f32_e32 vcc, s1, v3
	v_sub_f32_e32 v11, v11, v18
	v_cndmask_b32_e32 v23, 0, v23, vcc
	v_cmp_nlt_f32_e32 vcc, s0, v1
	v_mul_f32_e32 v24, 0x3fb8aa3b, v11
	v_cndmask_b32_e32 v1, v13, v14, vcc
	v_cmp_nlt_f32_e32 vcc, s0, v9
	v_fma_f32 v41, v11, s6, -v24
	v_rndne_f32_e32 v42, v24
	v_cndmask_b32_e32 v9, v13, v20, vcc
	v_cmp_nlt_f32_e32 vcc, s0, v2
	v_fmac_f32_e32 v41, 0x32a5705f, v11
	v_sub_f32_e32 v24, v24, v42
	v_cndmask_b32_e32 v2, v13, v21, vcc
	v_add_f32_e32 v24, v24, v41
	v_cmp_nlt_f32_e32 vcc, s0, v10
	v_cvt_f16_f32_e32 v14, v1
	v_cvt_f16_f32_e32 v20, v2
	v_cvt_i32_f32_e32 v42, v42
	v_exp_f32_e32 v24, v24
	v_cndmask_b32_e32 v10, v13, v22, vcc
	v_cmp_nlt_f32_e32 vcc, s0, v3
	v_max_f32_e32 v3, v4, v4
	v_max_f32_e32 v19, v3, v19
	v_sub_f32_e32 v3, v4, v19
	v_fmac_f32_e32 v9, v5, v1
	v_fmac_f32_e32 v10, v6, v2
	v_mul_u32_u24_e32 v1, 0x10001, v14
	v_mul_u32_u24_e32 v2, 0x10001, v20
	v_mul_f32_e32 v4, 0x3fb8aa3b, v3
	v_pk_mul_f16 v62, v62, v1
	v_pk_mul_f16 v61, v61, v2
	v_cndmask_b32_e32 v1, v13, v23, vcc
	v_ldexp_f32 v2, v24, v42
	v_cmp_ngt_f32_e32 vcc, s1, v11
	v_fma_f32 v5, v3, s6, -v4
	v_rndne_f32_e32 v6, v4
	v_cndmask_b32_e32 v2, 0, v2, vcc
	v_cmp_nlt_f32_e32 vcc, s0, v11
	v_fmac_f32_e32 v5, 0x32a5705f, v3
	v_sub_f32_e32 v4, v4, v6
	v_cndmask_b32_e32 v11, v13, v2, vcc
	v_cvt_f16_f32_e32 v2, v1
	v_add_f32_e32 v4, v4, v5
	v_exp_f32_e32 v4, v4
	v_cvt_i32_f32_e32 v5, v6
	v_fmac_f32_e32 v11, v7, v1
	v_mul_u32_u24_e32 v1, 0x10001, v2
	v_sub_f32_e32 v2, v12, v19
	v_pk_mul_f16 v60, v60, v1
	v_ldexp_f32 v1, v4, v5
	v_mul_f32_e32 v4, 0x3fb8aa3b, v2
	v_fma_f32 v5, v2, s6, -v4
	v_rndne_f32_e32 v6, v4
	v_fmac_f32_e32 v5, 0x32a5705f, v2
	v_sub_f32_e32 v4, v4, v6
	v_add_f32_e32 v4, v4, v5
	v_exp_f32_e32 v4, v4
	v_cvt_i32_f32_e32 v5, v6
	v_cmp_ngt_f32_e32 vcc, s1, v3
	v_cndmask_b32_e32 v1, 0, v1, vcc
	v_cmp_nlt_f32_e32 vcc, s0, v3
	v_cndmask_b32_e32 v1, v13, v1, vcc
	v_ldexp_f32 v3, v4, v5
	v_cvt_f16_f32_e32 v4, v1
	v_cmp_ngt_f32_e32 vcc, s1, v2
	v_cndmask_b32_e32 v3, 0, v3, vcc
	v_cmp_nlt_f32_e32 vcc, s0, v2
	v_cndmask_b32_e32 v12, v13, v3, vcc
	v_fmac_f32_e32 v12, v8, v1
	v_mul_u32_u24_e32 v1, 0x10001, v4
	v_pk_mul_f16 v63, v63, v1
	v_mov_b32_e32 v1, v16
	v_mov_b32_e32 v2, v17
	;; [unrolled: 1-line block ×8, first 2 shown]
	v_cmp_gt_i32_e32 vcc, s2, v30
	s_and_saveexec_b64 s[0:1], vcc
	s_cbranch_execnz .LBB37_14
.LBB37_12:
	s_endpgm
.LBB37_13:
	v_mov_b32_e32 v12, v8
	v_mov_b32_e32 v11, v7
	;; [unrolled: 1-line block ×4, first 2 shown]
	v_cmp_gt_i32_e32 vcc, s2, v30
	s_and_saveexec_b64 s[0:1], vcc
	s_cbranch_execz .LBB37_12
.LBB37_14:
	s_load_dword s6, s[4:5], 0xd4
	v_mov_b32_e32 v13, 1.0
	s_waitcnt lgkmcnt(0)
	s_cmp_lg_u32 s6, 1
	s_cselect_b64 s[4:5], -1, 0
	s_cmp_eq_u32 s6, 1
	s_cselect_b64 s[8:9], -1, 0
	s_and_b64 vcc, exec, s[4:5]
	s_cbranch_vccnz .LBB37_16
; %bb.15:
	v_div_scale_f32 v13, s[0:1], v5, v5, 1.0
	v_div_scale_f32 v14, vcc, 1.0, v5, 1.0
	v_rcp_f32_e32 v16, v13
	v_fma_f32 v17, -v13, v16, 1.0
	v_fmac_f32_e32 v16, v17, v16
	v_mul_f32_e32 v17, v14, v16
	v_fma_f32 v18, -v13, v17, v14
	v_fmac_f32_e32 v17, v18, v16
	v_fma_f32 v13, -v13, v17, v14
	v_div_fmas_f32 v13, v13, v16, v17
	v_div_fixup_f32 v13, v13, v5, 1.0
.LBB37_16:
	s_mul_i32 s10, s33, s2
	s_add_i32 s10, s10, s14
	v_add_u32_e32 v5, s10, v29
	v_mul_lo_u32 v5, v5, s3
	v_cmp_eq_u32_e32 vcc, 0, v0
	v_cvt_f32_f16_e32 v0, v62
	v_cvt_f32_f16_sdwa v14, v62 dst_sel:DWORD dst_unused:UNUSED_PAD src0_sel:WORD_1
	v_add_u32_e32 v16, s28, v5
	v_mul_lo_u32 v16, s6, v16
	v_mul_f32_e32 v18, v13, v0
	v_mul_f32_e32 v19, v13, v14
	v_mov_b32_e32 v17, 0
	v_add_u32_e32 v13, s7, v16
	v_lshl_add_u32 v16, v13, 6, v15
	v_lshlrev_b64 v[16:17], 2, v[16:17]
	v_mov_b32_e32 v0, s21
	v_add_co_u32_e64 v16, s[0:1], s20, v16
	v_addc_co_u32_e64 v17, s[0:1], v0, v17, s[0:1]
	s_and_b64 s[4:5], vcc, s[4:5]
	global_store_dwordx2 v[16:17], v[18:19], off
	s_and_saveexec_b64 s[0:1], s[4:5]
	s_cbranch_execz .LBB37_18
; %bb.17:
	v_ashrrev_i32_e32 v14, 31, v13
	v_lshlrev_b64 v[13:14], 3, v[13:14]
	v_mov_b32_e32 v0, s23
	v_add_co_u32_e32 v13, vcc, s22, v13
	v_addc_co_u32_e32 v14, vcc, v0, v14, vcc
	v_mov_b32_e32 v0, v1
	v_mov_b32_e32 v1, v9
	global_store_dwordx2 v[13:14], v[0:1], off
.LBB37_18:
	s_or_b64 exec, exec, s[0:1]
	v_cndmask_b32_e64 v0, 0, 1, s[8:9]
	v_cmp_ne_u32_e64 s[0:1], 1, v0
	s_andn2_b64 vcc, exec, s[8:9]
	v_mov_b32_e32 v1, 1.0
	s_cbranch_vccnz .LBB37_20
; %bb.19:
	v_div_scale_f32 v0, s[8:9], v6, v6, 1.0
	v_div_scale_f32 v1, vcc, 1.0, v6, 1.0
	v_rcp_f32_e32 v9, v0
	v_fma_f32 v13, -v0, v9, 1.0
	v_fmac_f32_e32 v9, v13, v9
	v_mul_f32_e32 v13, v1, v9
	v_fma_f32 v14, -v0, v13, v1
	v_fmac_f32_e32 v13, v14, v9
	v_fma_f32 v0, -v0, v13, v1
	v_div_fmas_f32 v0, v0, v9, v13
	v_div_fixup_f32 v1, v0, v6, 1.0
.LBB37_20:
	s_add_i32 s11, s28, 1
	v_add_u32_e32 v0, s11, v5
	v_mul_lo_u32 v0, s6, v0
	v_cvt_f32_f16_e32 v5, v61
	v_cvt_f32_f16_sdwa v6, v61 dst_sel:DWORD dst_unused:UNUSED_PAD src0_sel:WORD_1
	v_mov_b32_e32 v14, 0
	v_add_u32_e32 v0, s7, v0
	v_lshl_add_u32 v13, v0, 6, v15
	v_lshlrev_b64 v[13:14], 2, v[13:14]
	v_mul_f32_e32 v5, v1, v5
	v_mul_f32_e32 v6, v1, v6
	v_mov_b32_e32 v1, s21
	v_add_co_u32_e32 v13, vcc, s20, v13
	v_addc_co_u32_e32 v14, vcc, v1, v14, vcc
	global_store_dwordx2 v[13:14], v[5:6], off
	s_and_saveexec_b64 s[8:9], s[4:5]
	s_cbranch_execz .LBB37_22
; %bb.21:
	v_ashrrev_i32_e32 v1, 31, v0
	v_lshlrev_b64 v[0:1], 3, v[0:1]
	v_mov_b32_e32 v5, s23
	v_add_co_u32_e32 v0, vcc, s22, v0
	v_addc_co_u32_e32 v1, vcc, v5, v1, vcc
	v_mov_b32_e32 v9, v2
	global_store_dwordx2 v[0:1], v[9:10], off
.LBB37_22:
	s_or_b64 exec, exec, s[8:9]
	v_cmp_gt_i32_e32 vcc, s2, v28
	s_and_b64 exec, exec, vcc
	s_cbranch_execz .LBB37_12
; %bb.23:
	s_and_b64 vcc, exec, s[0:1]
	v_mov_b32_e32 v0, 1.0
	s_cbranch_vccnz .LBB37_25
; %bb.24:
	v_div_scale_f32 v0, s[8:9], v7, v7, 1.0
	v_div_scale_f32 v1, vcc, 1.0, v7, 1.0
	v_rcp_f32_e32 v2, v0
	v_fma_f32 v5, -v0, v2, 1.0
	v_fmac_f32_e32 v2, v5, v2
	v_mul_f32_e32 v5, v1, v2
	v_fma_f32 v6, -v0, v5, v1
	v_fmac_f32_e32 v5, v6, v2
	v_fma_f32 v0, -v0, v5, v1
	v_div_fmas_f32 v0, v0, v2, v5
	v_div_fixup_f32 v0, v0, v7, 1.0
.LBB37_25:
	v_add_u32_e32 v1, s10, v27
	v_mul_lo_u32 v1, v1, s3
	v_cvt_f32_f16_e32 v5, v60
	v_cvt_f32_f16_sdwa v6, v60 dst_sel:DWORD dst_unused:UNUSED_PAD src0_sel:WORD_1
	v_mov_b32_e32 v2, 0
	v_add_u32_e32 v1, s28, v1
	v_mul_lo_u32 v1, s6, v1
	v_mul_f32_e32 v5, v0, v5
	v_mul_f32_e32 v6, v0, v6
	v_mov_b32_e32 v7, s21
	v_add_u32_e32 v0, s7, v1
	v_lshl_add_u32 v1, v0, 6, v15
	v_lshlrev_b64 v[1:2], 2, v[1:2]
	v_add_co_u32_e32 v1, vcc, s20, v1
	v_addc_co_u32_e32 v2, vcc, v7, v2, vcc
	global_store_dwordx2 v[1:2], v[5:6], off
	s_and_saveexec_b64 s[8:9], s[4:5]
	s_cbranch_execz .LBB37_27
; %bb.26:
	v_ashrrev_i32_e32 v1, 31, v0
	v_lshlrev_b64 v[0:1], 3, v[0:1]
	v_mov_b32_e32 v2, s23
	v_add_co_u32_e32 v0, vcc, s22, v0
	v_addc_co_u32_e32 v1, vcc, v2, v1, vcc
	v_mov_b32_e32 v10, v3
	global_store_dwordx2 v[0:1], v[10:11], off
.LBB37_27:
	s_or_b64 exec, exec, s[8:9]
	v_cmp_gt_i32_e32 vcc, s2, v26
	s_and_b64 exec, exec, vcc
	s_cbranch_execz .LBB37_12
; %bb.28:
	s_and_b64 vcc, exec, s[0:1]
	v_mov_b32_e32 v0, 1.0
	s_cbranch_vccnz .LBB37_30
; %bb.29:
	v_div_scale_f32 v0, s[0:1], v8, v8, 1.0
	v_div_scale_f32 v1, vcc, 1.0, v8, 1.0
	v_rcp_f32_e32 v2, v0
	v_fma_f32 v3, -v0, v2, 1.0
	v_fmac_f32_e32 v2, v3, v2
	v_mul_f32_e32 v3, v1, v2
	v_fma_f32 v5, -v0, v3, v1
	v_fmac_f32_e32 v3, v5, v2
	v_fma_f32 v0, -v0, v3, v1
	v_div_fmas_f32 v0, v0, v2, v3
	v_div_fixup_f32 v0, v0, v8, 1.0
.LBB37_30:
	v_add_u32_e32 v1, s10, v25
	v_mul_lo_u32 v1, v1, s3
	v_cvt_f32_f16_e32 v3, v63
	v_cvt_f32_f16_sdwa v6, v63 dst_sel:DWORD dst_unused:UNUSED_PAD src0_sel:WORD_1
	v_mov_b32_e32 v2, 0
	v_add_u32_e32 v1, s11, v1
	v_mul_lo_u32 v1, s6, v1
	v_mul_f32_e32 v5, v0, v3
	v_mul_f32_e32 v6, v0, v6
	v_mov_b32_e32 v7, s21
	v_add_u32_e32 v0, s7, v1
	v_lshl_add_u32 v1, v0, 6, v15
	v_lshlrev_b64 v[1:2], 2, v[1:2]
	v_add_co_u32_e32 v1, vcc, s20, v1
	v_addc_co_u32_e32 v2, vcc, v7, v2, vcc
	global_store_dwordx2 v[1:2], v[5:6], off
	s_and_b64 exec, exec, s[4:5]
	s_cbranch_execz .LBB37_12
; %bb.31:
	v_ashrrev_i32_e32 v1, 31, v0
	v_lshlrev_b64 v[0:1], 3, v[0:1]
	v_mov_b32_e32 v2, s23
	v_add_co_u32_e32 v0, vcc, s22, v0
	v_addc_co_u32_e32 v1, vcc, v2, v1, vcc
	v_mov_b32_e32 v11, v4
	global_store_dwordx2 v[0:1], v[11:12], off
	s_endpgm
	.section	.rodata,"a",@progbits
	.p2align	6, 0x0
	.amdhsa_kernel _ZL15flash_attn_tileILi64ELi64ELi16ELi2ELb0EEvPKcS1_S1_S1_S1_PKiPfP15HIP_vector_typeIfLj2EEffffjfiS5_IjLj3EEiiiiiiiiiiiliiliiiiil
		.amdhsa_group_segment_fixed_size 17408
		.amdhsa_private_segment_fixed_size 0
		.amdhsa_kernarg_size 464
		.amdhsa_user_sgpr_count 6
		.amdhsa_user_sgpr_private_segment_buffer 1
		.amdhsa_user_sgpr_dispatch_ptr 0
		.amdhsa_user_sgpr_queue_ptr 0
		.amdhsa_user_sgpr_kernarg_segment_ptr 1
		.amdhsa_user_sgpr_dispatch_id 0
		.amdhsa_user_sgpr_flat_scratch_init 0
		.amdhsa_user_sgpr_private_segment_size 0
		.amdhsa_uses_dynamic_stack 0
		.amdhsa_system_sgpr_private_segment_wavefront_offset 0
		.amdhsa_system_sgpr_workgroup_id_x 1
		.amdhsa_system_sgpr_workgroup_id_y 1
		.amdhsa_system_sgpr_workgroup_id_z 1
		.amdhsa_system_sgpr_workgroup_info 0
		.amdhsa_system_vgpr_workitem_id 1
		.amdhsa_next_free_vgpr 93
		.amdhsa_next_free_sgpr 98
		.amdhsa_reserve_vcc 1
		.amdhsa_reserve_flat_scratch 0
		.amdhsa_float_round_mode_32 0
		.amdhsa_float_round_mode_16_64 0
		.amdhsa_float_denorm_mode_32 3
		.amdhsa_float_denorm_mode_16_64 3
		.amdhsa_dx10_clamp 1
		.amdhsa_ieee_mode 1
		.amdhsa_fp16_overflow 0
		.amdhsa_exception_fp_ieee_invalid_op 0
		.amdhsa_exception_fp_denorm_src 0
		.amdhsa_exception_fp_ieee_div_zero 0
		.amdhsa_exception_fp_ieee_overflow 0
		.amdhsa_exception_fp_ieee_underflow 0
		.amdhsa_exception_fp_ieee_inexact 0
		.amdhsa_exception_int_div_zero 0
	.end_amdhsa_kernel
	.section	.text._ZL15flash_attn_tileILi64ELi64ELi16ELi2ELb0EEvPKcS1_S1_S1_S1_PKiPfP15HIP_vector_typeIfLj2EEffffjfiS5_IjLj3EEiiiiiiiiiiiliiliiiiil,"axG",@progbits,_ZL15flash_attn_tileILi64ELi64ELi16ELi2ELb0EEvPKcS1_S1_S1_S1_PKiPfP15HIP_vector_typeIfLj2EEffffjfiS5_IjLj3EEiiiiiiiiiiiliiliiiiil,comdat
.Lfunc_end37:
	.size	_ZL15flash_attn_tileILi64ELi64ELi16ELi2ELb0EEvPKcS1_S1_S1_S1_PKiPfP15HIP_vector_typeIfLj2EEffffjfiS5_IjLj3EEiiiiiiiiiiiliiliiiiil, .Lfunc_end37-_ZL15flash_attn_tileILi64ELi64ELi16ELi2ELb0EEvPKcS1_S1_S1_S1_PKiPfP15HIP_vector_typeIfLj2EEffffjfiS5_IjLj3EEiiiiiiiiiiiliiliiiiil
                                        ; -- End function
	.set _ZL15flash_attn_tileILi64ELi64ELi16ELi2ELb0EEvPKcS1_S1_S1_S1_PKiPfP15HIP_vector_typeIfLj2EEffffjfiS5_IjLj3EEiiiiiiiiiiiliiliiiiil.num_vgpr, 93
	.set _ZL15flash_attn_tileILi64ELi64ELi16ELi2ELb0EEvPKcS1_S1_S1_S1_PKiPfP15HIP_vector_typeIfLj2EEffffjfiS5_IjLj3EEiiiiiiiiiiiliiliiiiil.num_agpr, 0
	.set _ZL15flash_attn_tileILi64ELi64ELi16ELi2ELb0EEvPKcS1_S1_S1_S1_PKiPfP15HIP_vector_typeIfLj2EEffffjfiS5_IjLj3EEiiiiiiiiiiiliiliiiiil.numbered_sgpr, 42
	.set _ZL15flash_attn_tileILi64ELi64ELi16ELi2ELb0EEvPKcS1_S1_S1_S1_PKiPfP15HIP_vector_typeIfLj2EEffffjfiS5_IjLj3EEiiiiiiiiiiiliiliiiiil.num_named_barrier, 0
	.set _ZL15flash_attn_tileILi64ELi64ELi16ELi2ELb0EEvPKcS1_S1_S1_S1_PKiPfP15HIP_vector_typeIfLj2EEffffjfiS5_IjLj3EEiiiiiiiiiiiliiliiiiil.private_seg_size, 0
	.set _ZL15flash_attn_tileILi64ELi64ELi16ELi2ELb0EEvPKcS1_S1_S1_S1_PKiPfP15HIP_vector_typeIfLj2EEffffjfiS5_IjLj3EEiiiiiiiiiiiliiliiiiil.uses_vcc, 1
	.set _ZL15flash_attn_tileILi64ELi64ELi16ELi2ELb0EEvPKcS1_S1_S1_S1_PKiPfP15HIP_vector_typeIfLj2EEffffjfiS5_IjLj3EEiiiiiiiiiiiliiliiiiil.uses_flat_scratch, 0
	.set _ZL15flash_attn_tileILi64ELi64ELi16ELi2ELb0EEvPKcS1_S1_S1_S1_PKiPfP15HIP_vector_typeIfLj2EEffffjfiS5_IjLj3EEiiiiiiiiiiiliiliiiiil.has_dyn_sized_stack, 0
	.set _ZL15flash_attn_tileILi64ELi64ELi16ELi2ELb0EEvPKcS1_S1_S1_S1_PKiPfP15HIP_vector_typeIfLj2EEffffjfiS5_IjLj3EEiiiiiiiiiiiliiliiiiil.has_recursion, 0
	.set _ZL15flash_attn_tileILi64ELi64ELi16ELi2ELb0EEvPKcS1_S1_S1_S1_PKiPfP15HIP_vector_typeIfLj2EEffffjfiS5_IjLj3EEiiiiiiiiiiiliiliiiiil.has_indirect_call, 0
	.section	.AMDGPU.csdata,"",@progbits
; Kernel info:
; codeLenInByte = 13500
; TotalNumSgprs: 46
; NumVgprs: 93
; ScratchSize: 0
; MemoryBound: 0
; FloatMode: 240
; IeeeMode: 1
; LDSByteSize: 17408 bytes/workgroup (compile time only)
; SGPRBlocks: 12
; VGPRBlocks: 23
; NumSGPRsForWavesPerEU: 102
; NumVGPRsForWavesPerEU: 93
; Occupancy: 2
; WaveLimiterHint : 1
; COMPUTE_PGM_RSRC2:SCRATCH_EN: 0
; COMPUTE_PGM_RSRC2:USER_SGPR: 6
; COMPUTE_PGM_RSRC2:TRAP_HANDLER: 0
; COMPUTE_PGM_RSRC2:TGID_X_EN: 1
; COMPUTE_PGM_RSRC2:TGID_Y_EN: 1
; COMPUTE_PGM_RSRC2:TGID_Z_EN: 1
; COMPUTE_PGM_RSRC2:TIDIG_COMP_CNT: 1
	.section	.text._ZL33flash_attn_stream_k_fixup_uniformILi64ELi16ELi2EEvPfPK15HIP_vector_typeIfLj2EEiiiiiiS1_IjLj3EES5_S5_,"axG",@progbits,_ZL33flash_attn_stream_k_fixup_uniformILi64ELi16ELi2EEvPfPK15HIP_vector_typeIfLj2EEiiiiiiS1_IjLj3EES5_S5_,comdat
	.globl	_ZL33flash_attn_stream_k_fixup_uniformILi64ELi16ELi2EEvPfPK15HIP_vector_typeIfLj2EEiiiiiiS1_IjLj3EES5_S5_ ; -- Begin function _ZL33flash_attn_stream_k_fixup_uniformILi64ELi16ELi2EEvPfPK15HIP_vector_typeIfLj2EEiiiiiiS1_IjLj3EES5_S5_
	.p2align	8
	.type	_ZL33flash_attn_stream_k_fixup_uniformILi64ELi16ELi2EEvPfPK15HIP_vector_typeIfLj2EEiiiiiiS1_IjLj3EES5_S5_,@function
_ZL33flash_attn_stream_k_fixup_uniformILi64ELi16ELi2EEvPfPK15HIP_vector_typeIfLj2EEiiiiiiS1_IjLj3EES5_S5_: ; @_ZL33flash_attn_stream_k_fixup_uniformILi64ELi16ELi2EEvPfPK15HIP_vector_typeIfLj2EEiiiiiiS1_IjLj3EES5_S5_
; %bb.0:
	s_load_dwordx8 s[12:19], s[4:5], 0x1c
	s_load_dwordx2 s[10:11], s[4:5], 0x10
	s_load_dwordx4 s[0:3], s[4:5], 0x3c
	s_waitcnt lgkmcnt(0)
	s_mul_hi_u32 s9, s15, s6
	s_add_i32 s9, s6, s9
	s_lshr_b32 s9, s9, s16
	s_mul_i32 s15, s9, s17
	s_sub_i32 s15, s6, s15
	s_mul_hi_u32 s16, s15, s18
	s_add_i32 s16, s15, s16
	s_lshr_b32 s16, s16, s19
	s_mul_i32 s0, s16, s0
	s_sub_i32 s0, s15, s0
	;; [unrolled: 5-line block ×3, first 2 shown]
	s_lshl_b32 s0, s17, 4
	s_lshl_b32 s15, s1, 1
	s_add_i32 s0, s0, s7
	s_cmp_lt_i32 s0, s10
	s_cselect_b64 s[0:1], -1, 0
	s_add_i32 s2, s15, s8
	s_cmp_lt_i32 s2, s13
	s_cselect_b64 s[2:3], -1, 0
	s_and_b64 s[0:1], s[0:1], s[2:3]
	s_andn2_b64 vcc, exec, s[0:1]
	s_cbranch_vccnz .LBB38_6
; %bb.1:
	s_load_dwordx4 s[0:3], s[4:5], 0x0
	s_mul_i32 s4, s9, s10
	s_add_i32 s4, s4, s7
	s_mul_i32 s4, s4, s11
	s_mul_i32 s16, s16, s13
	s_add_i32 s4, s4, s8
	s_add_i32 s4, s4, s16
	s_mul_i32 s5, s11, s17
	s_add_i32 s4, s4, s15
	s_lshl_b32 s5, s5, 10
	s_lshl_b32 s4, s4, 6
	s_add_i32 s5, s5, s4
	v_or_b32_e32 v1, s5, v0
	v_ashrrev_i32_e32 v2, 31, v1
	v_lshlrev_b64 v[1:2], 2, v[1:2]
	s_waitcnt lgkmcnt(0)
	v_mov_b32_e32 v3, s1
	v_add_co_u32_e32 v1, vcc, s0, v1
	v_addc_co_u32_e32 v2, vcc, v3, v2, vcc
	global_load_dword v8, v[1:2], off
	s_mul_i32 s9, s14, s6
	s_lshl_b32 s4, s7, 1
	s_add_i32 s11, s9, s14
	s_add_i32 s0, s4, s8
	s_lshl_b32 s1, s11, 5
	s_add_i32 s0, s0, s1
	s_sub_i32 s0, s0, 32
	s_ashr_i32 s1, s0, 31
	s_lshl_b64 s[0:1], s[0:1], 3
	s_add_u32 s0, s2, s0
	s_addc_u32 s1, s3, s1
	s_load_dword s5, s[0:1], 0x4
	s_add_i32 s10, s11, -2
	s_cmp_lt_i32 s10, s9
	s_cbranch_scc1 .LBB38_4
; %bb.2:
	s_lshl_b32 s16, s12, 7
	s_ashr_i32 s17, s16, 31
	s_lshl_b64 s[16:17], s[16:17], 2
	s_add_u32 s10, s2, s16
	s_addc_u32 s13, s3, s17
	s_add_i32 s6, s6, 1
	s_load_dword s0, s[0:1], 0x0
	s_mul_i32 s1, s14, s6
	s_lshl_b32 s7, s7, 7
	s_lshl_b32 s14, s8, 6
	;; [unrolled: 1-line block ×3, first 2 shown]
	s_add_i32 s7, s14, s7
	s_lshl_b32 s1, s1, 5
	s_add_i32 s7, s7, s6
	s_add_i32 s1, s8, s1
	s_lshl_b32 s6, s12, 5
	s_add_i32 s1, s1, s6
	v_or_b32_e32 v0, s7, v0
	s_add_i32 s1, s1, s4
	s_add_i32 s11, s11, -1
	v_add_u32_e32 v3, 0xfffff000, v0
	s_sub_i32 s4, s1, 64
	s_waitcnt lgkmcnt(0)
	v_mov_b32_e32 v7, s5
	v_mov_b32_e32 v6, s0
	;; [unrolled: 1-line block ×3, first 2 shown]
	s_mov_b32 s6, 0x3fb8aa3b
	s_mov_b32 s7, 0xc2ce8ed0
	;; [unrolled: 1-line block ×3, first 2 shown]
	v_mov_b32_e32 v5, 0x7f800000
	s_mov_b32 s12, 0xc1a00000
.LBB38_3:                               ; =>This Inner Loop Header: Depth=1
	v_ashrrev_i32_e32 v4, 31, v3
	v_lshlrev_b64 v[9:10], 2, v[3:4]
	s_ashr_i32 s5, s4, 31
	v_add_co_u32_e32 v9, vcc, s10, v9
	v_addc_co_u32_e32 v10, vcc, v0, v10, vcc
	global_load_dword v4, v[9:10], off
	s_lshl_b64 s[0:1], s[4:5], 3
	s_add_u32 s0, s2, s0
	s_addc_u32 s1, s3, s1
	s_load_dwordx2 s[14:15], s[0:1], 0x0
	s_waitcnt vmcnt(1)
	v_mov_b32_e32 v9, v8
	v_max_f32_e32 v8, v6, v6
	v_mov_b32_e32 v10, v7
	s_add_i32 s11, s11, -1
	s_waitcnt lgkmcnt(0)
	v_max_f32_e64 v7, s14, s14
	v_max_f32_e32 v7, v8, v7
	v_sub_f32_e32 v11, s14, v7
	v_sub_f32_e32 v8, v6, v7
	v_mul_f32_e32 v12, 0x3fb8aa3b, v11
	v_mov_b32_e32 v6, v7
	v_mul_f32_e32 v7, 0x3fb8aa3b, v8
	v_fma_f32 v15, v11, s6, -v12
	v_rndne_f32_e32 v16, v12
	v_fma_f32 v13, v8, s6, -v7
	v_rndne_f32_e32 v14, v7
	v_fmac_f32_e32 v15, 0x32a5705f, v11
	v_sub_f32_e32 v12, v12, v16
	v_fmac_f32_e32 v13, 0x32a5705f, v8
	v_sub_f32_e32 v7, v7, v14
	v_add_f32_e32 v12, v12, v15
	v_cvt_i32_f32_e32 v16, v16
	v_add_f32_e32 v7, v7, v13
	v_exp_f32_e32 v12, v12
	v_cvt_i32_f32_e32 v14, v14
	v_exp_f32_e32 v7, v7
	v_cmp_ngt_f32_e32 vcc, s7, v11
	v_ldexp_f32 v12, v12, v16
	v_cmp_ngt_f32_e64 s[0:1], s7, v8
	v_ldexp_f32 v7, v7, v14
	v_cndmask_b32_e32 v12, 0, v12, vcc
	v_cmp_nlt_f32_e32 vcc, s8, v11
	v_cndmask_b32_e64 v7, 0, v7, s[0:1]
	v_cmp_nlt_f32_e64 s[0:1], s8, v8
	v_cndmask_b32_e32 v12, v5, v12, vcc
	v_cmp_le_f32_e32 vcc, s12, v11
	v_cndmask_b32_e64 v7, v5, v7, s[0:1]
	v_cmp_le_f32_e64 s[0:1], s12, v8
	v_cndmask_b32_e32 v8, 0, v12, vcc
	s_sub_i32 s4, s4, 32
	v_cndmask_b32_e64 v11, 0, v7, s[0:1]
	v_mul_f32_e32 v7, s15, v8
	v_add_u32_e32 v3, 0xfffff800, v3
	s_cmp_le_i32 s11, s9
	v_fmac_f32_e32 v7, v10, v11
	s_waitcnt vmcnt(0)
	v_mul_f32_e32 v8, v4, v8
	v_fmac_f32_e32 v8, v9, v11
	s_cbranch_scc0 .LBB38_3
	s_branch .LBB38_5
.LBB38_4:
	s_waitcnt lgkmcnt(0)
	v_mov_b32_e32 v7, s5
.LBB38_5:
	s_waitcnt vmcnt(0)
	v_div_scale_f32 v0, s[0:1], v7, v7, v8
	v_div_scale_f32 v3, vcc, v8, v7, v8
	v_rcp_f32_e32 v4, v0
	v_fma_f32 v5, -v0, v4, 1.0
	v_fmac_f32_e32 v4, v5, v4
	v_mul_f32_e32 v5, v3, v4
	v_fma_f32 v6, -v0, v5, v3
	v_fmac_f32_e32 v5, v6, v4
	v_fma_f32 v0, -v0, v5, v3
	v_div_fmas_f32 v0, v0, v4, v5
	v_div_fixup_f32 v0, v0, v7, v8
	global_store_dword v[1:2], v0, off
.LBB38_6:
	s_endpgm
	.section	.rodata,"a",@progbits
	.p2align	6, 0x0
	.amdhsa_kernel _ZL33flash_attn_stream_k_fixup_uniformILi64ELi16ELi2EEvPfPK15HIP_vector_typeIfLj2EEiiiiiiS1_IjLj3EES5_S5_
		.amdhsa_group_segment_fixed_size 0
		.amdhsa_private_segment_fixed_size 0
		.amdhsa_kernarg_size 76
		.amdhsa_user_sgpr_count 6
		.amdhsa_user_sgpr_private_segment_buffer 1
		.amdhsa_user_sgpr_dispatch_ptr 0
		.amdhsa_user_sgpr_queue_ptr 0
		.amdhsa_user_sgpr_kernarg_segment_ptr 1
		.amdhsa_user_sgpr_dispatch_id 0
		.amdhsa_user_sgpr_flat_scratch_init 0
		.amdhsa_user_sgpr_private_segment_size 0
		.amdhsa_uses_dynamic_stack 0
		.amdhsa_system_sgpr_private_segment_wavefront_offset 0
		.amdhsa_system_sgpr_workgroup_id_x 1
		.amdhsa_system_sgpr_workgroup_id_y 1
		.amdhsa_system_sgpr_workgroup_id_z 1
		.amdhsa_system_sgpr_workgroup_info 0
		.amdhsa_system_vgpr_workitem_id 0
		.amdhsa_next_free_vgpr 17
		.amdhsa_next_free_sgpr 20
		.amdhsa_reserve_vcc 1
		.amdhsa_reserve_flat_scratch 0
		.amdhsa_float_round_mode_32 0
		.amdhsa_float_round_mode_16_64 0
		.amdhsa_float_denorm_mode_32 3
		.amdhsa_float_denorm_mode_16_64 3
		.amdhsa_dx10_clamp 1
		.amdhsa_ieee_mode 1
		.amdhsa_fp16_overflow 0
		.amdhsa_exception_fp_ieee_invalid_op 0
		.amdhsa_exception_fp_denorm_src 0
		.amdhsa_exception_fp_ieee_div_zero 0
		.amdhsa_exception_fp_ieee_overflow 0
		.amdhsa_exception_fp_ieee_underflow 0
		.amdhsa_exception_fp_ieee_inexact 0
		.amdhsa_exception_int_div_zero 0
	.end_amdhsa_kernel
	.section	.text._ZL33flash_attn_stream_k_fixup_uniformILi64ELi16ELi2EEvPfPK15HIP_vector_typeIfLj2EEiiiiiiS1_IjLj3EES5_S5_,"axG",@progbits,_ZL33flash_attn_stream_k_fixup_uniformILi64ELi16ELi2EEvPfPK15HIP_vector_typeIfLj2EEiiiiiiS1_IjLj3EES5_S5_,comdat
.Lfunc_end38:
	.size	_ZL33flash_attn_stream_k_fixup_uniformILi64ELi16ELi2EEvPfPK15HIP_vector_typeIfLj2EEiiiiiiS1_IjLj3EES5_S5_, .Lfunc_end38-_ZL33flash_attn_stream_k_fixup_uniformILi64ELi16ELi2EEvPfPK15HIP_vector_typeIfLj2EEiiiiiiS1_IjLj3EES5_S5_
                                        ; -- End function
	.set _ZL33flash_attn_stream_k_fixup_uniformILi64ELi16ELi2EEvPfPK15HIP_vector_typeIfLj2EEiiiiiiS1_IjLj3EES5_S5_.num_vgpr, 17
	.set _ZL33flash_attn_stream_k_fixup_uniformILi64ELi16ELi2EEvPfPK15HIP_vector_typeIfLj2EEiiiiiiS1_IjLj3EES5_S5_.num_agpr, 0
	.set _ZL33flash_attn_stream_k_fixup_uniformILi64ELi16ELi2EEvPfPK15HIP_vector_typeIfLj2EEiiiiiiS1_IjLj3EES5_S5_.numbered_sgpr, 20
	.set _ZL33flash_attn_stream_k_fixup_uniformILi64ELi16ELi2EEvPfPK15HIP_vector_typeIfLj2EEiiiiiiS1_IjLj3EES5_S5_.num_named_barrier, 0
	.set _ZL33flash_attn_stream_k_fixup_uniformILi64ELi16ELi2EEvPfPK15HIP_vector_typeIfLj2EEiiiiiiS1_IjLj3EES5_S5_.private_seg_size, 0
	.set _ZL33flash_attn_stream_k_fixup_uniformILi64ELi16ELi2EEvPfPK15HIP_vector_typeIfLj2EEiiiiiiS1_IjLj3EES5_S5_.uses_vcc, 1
	.set _ZL33flash_attn_stream_k_fixup_uniformILi64ELi16ELi2EEvPfPK15HIP_vector_typeIfLj2EEiiiiiiS1_IjLj3EES5_S5_.uses_flat_scratch, 0
	.set _ZL33flash_attn_stream_k_fixup_uniformILi64ELi16ELi2EEvPfPK15HIP_vector_typeIfLj2EEiiiiiiS1_IjLj3EES5_S5_.has_dyn_sized_stack, 0
	.set _ZL33flash_attn_stream_k_fixup_uniformILi64ELi16ELi2EEvPfPK15HIP_vector_typeIfLj2EEiiiiiiS1_IjLj3EES5_S5_.has_recursion, 0
	.set _ZL33flash_attn_stream_k_fixup_uniformILi64ELi16ELi2EEvPfPK15HIP_vector_typeIfLj2EEiiiiiiS1_IjLj3EES5_S5_.has_indirect_call, 0
	.section	.AMDGPU.csdata,"",@progbits
; Kernel info:
; codeLenInByte = 856
; TotalNumSgprs: 24
; NumVgprs: 17
; ScratchSize: 0
; MemoryBound: 0
; FloatMode: 240
; IeeeMode: 1
; LDSByteSize: 0 bytes/workgroup (compile time only)
; SGPRBlocks: 2
; VGPRBlocks: 4
; NumSGPRsForWavesPerEU: 24
; NumVGPRsForWavesPerEU: 17
; Occupancy: 10
; WaveLimiterHint : 0
; COMPUTE_PGM_RSRC2:SCRATCH_EN: 0
; COMPUTE_PGM_RSRC2:USER_SGPR: 6
; COMPUTE_PGM_RSRC2:TRAP_HANDLER: 0
; COMPUTE_PGM_RSRC2:TGID_X_EN: 1
; COMPUTE_PGM_RSRC2:TGID_Y_EN: 1
; COMPUTE_PGM_RSRC2:TGID_Z_EN: 1
; COMPUTE_PGM_RSRC2:TIDIG_COMP_CNT: 0
	.section	.text._ZL33flash_attn_stream_k_fixup_generalILi64ELi16ELi2EEvPfPK15HIP_vector_typeIfLj2EEiiiiS1_IjLj3EES5_S5_S5_,"axG",@progbits,_ZL33flash_attn_stream_k_fixup_generalILi64ELi16ELi2EEvPfPK15HIP_vector_typeIfLj2EEiiiiS1_IjLj3EES5_S5_S5_,comdat
	.globl	_ZL33flash_attn_stream_k_fixup_generalILi64ELi16ELi2EEvPfPK15HIP_vector_typeIfLj2EEiiiiS1_IjLj3EES5_S5_S5_ ; -- Begin function _ZL33flash_attn_stream_k_fixup_generalILi64ELi16ELi2EEvPfPK15HIP_vector_typeIfLj2EEiiiiS1_IjLj3EES5_S5_S5_
	.p2align	8
	.type	_ZL33flash_attn_stream_k_fixup_generalILi64ELi16ELi2EEvPfPK15HIP_vector_typeIfLj2EEiiiiS1_IjLj3EES5_S5_S5_,@function
_ZL33flash_attn_stream_k_fixup_generalILi64ELi16ELi2EEvPfPK15HIP_vector_typeIfLj2EEiiiiS1_IjLj3EES5_S5_S5_: ; @_ZL33flash_attn_stream_k_fixup_generalILi64ELi16ELi2EEvPfPK15HIP_vector_typeIfLj2EEiiiiS1_IjLj3EES5_S5_S5_
; %bb.0:
	s_load_dwordx4 s[0:3], s[4:5], 0x10
	s_load_dword s22, s[4:5], 0x50
	s_mov_b32 s12, 0
	s_waitcnt lgkmcnt(0)
	s_mul_hi_i32 s13, s3, s6
	s_cmp_lg_u64 s[12:13], 0
	s_mul_i32 s9, s3, s6
	s_cbranch_scc0 .LBB39_20
; %bb.1:
	s_add_u32 s10, s22, 0
	s_addc_u32 s11, 0, 0
	s_xor_b64 s[10:11], s[10:11], 0
	v_cvt_f32_u32_e32 v1, s10
	v_cvt_f32_u32_e32 v2, s11
	s_sub_u32 s12, 0, s10
	s_subb_u32 s18, 0, s11
	v_madmk_f32 v1, v2, 0x4f800000, v1
	v_rcp_f32_e32 v1, v1
	v_mul_f32_e32 v1, 0x5f7ffffc, v1
	v_mul_f32_e32 v2, 0x2f800000, v1
	v_trunc_f32_e32 v2, v2
	v_madmk_f32 v1, v2, 0xcf800000, v1
	v_cvt_u32_f32_e32 v2, v2
	v_cvt_u32_f32_e32 v1, v1
	v_readfirstlane_b32 s19, v2
	v_readfirstlane_b32 s14, v1
	s_mul_i32 s15, s12, s19
	s_mul_hi_u32 s21, s12, s14
	s_mul_i32 s20, s18, s14
	s_add_i32 s15, s21, s15
	s_add_i32 s15, s15, s20
	s_mul_i32 s23, s12, s14
	s_mul_i32 s21, s14, s15
	s_mul_hi_u32 s24, s14, s23
	s_mul_hi_u32 s20, s14, s15
	s_add_u32 s21, s24, s21
	s_addc_u32 s20, 0, s20
	s_mul_hi_u32 s25, s19, s23
	s_mul_i32 s23, s19, s23
	s_add_u32 s21, s21, s23
	s_mul_hi_u32 s24, s19, s15
	s_addc_u32 s20, s20, s25
	s_addc_u32 s21, s24, 0
	s_mul_i32 s15, s19, s15
	s_add_u32 s15, s20, s15
	s_addc_u32 s20, 0, s21
	s_add_u32 s21, s14, s15
	s_cselect_b64 s[14:15], -1, 0
	s_cmp_lg_u64 s[14:15], 0
	s_addc_u32 s19, s19, s20
	s_mul_i32 s14, s12, s19
	s_mul_hi_u32 s15, s12, s21
	s_add_i32 s14, s15, s14
	s_mul_i32 s18, s18, s21
	s_add_i32 s14, s14, s18
	s_mul_i32 s12, s12, s21
	s_mul_hi_u32 s18, s19, s12
	s_mul_i32 s20, s19, s12
	s_mul_i32 s24, s21, s14
	s_mul_hi_u32 s12, s21, s12
	s_mul_hi_u32 s23, s21, s14
	s_add_u32 s12, s12, s24
	s_addc_u32 s23, 0, s23
	s_add_u32 s12, s12, s20
	s_mul_hi_u32 s15, s19, s14
	s_addc_u32 s12, s23, s18
	s_addc_u32 s15, s15, 0
	s_mul_i32 s14, s19, s14
	s_add_u32 s12, s12, s14
	s_addc_u32 s18, 0, s15
	s_add_u32 s20, s21, s12
	s_cselect_b64 s[14:15], -1, 0
	s_cmp_lg_u64 s[14:15], 0
	s_addc_u32 s18, s19, s18
	s_ashr_i32 s14, s13, 31
	s_add_u32 s12, s9, s14
	s_mov_b32 s15, s14
	s_addc_u32 s13, s13, s14
	s_xor_b64 s[12:13], s[12:13], s[14:15]
	s_mul_i32 s21, s12, s18
	s_mul_hi_u32 s23, s12, s20
	s_mul_hi_u32 s19, s12, s18
	s_add_u32 s21, s23, s21
	s_addc_u32 s19, 0, s19
	s_mul_hi_u32 s24, s13, s20
	s_mul_i32 s20, s13, s20
	s_add_u32 s20, s21, s20
	s_mul_hi_u32 s23, s13, s18
	s_addc_u32 s19, s19, s24
	s_addc_u32 s20, s23, 0
	s_mul_i32 s18, s13, s18
	s_add_u32 s23, s19, s18
	s_addc_u32 s24, 0, s20
	s_mul_i32 s18, s10, s24
	s_mul_hi_u32 s19, s10, s23
	s_add_i32 s18, s19, s18
	s_mul_i32 s19, s11, s23
	s_add_i32 s25, s18, s19
	s_sub_i32 s20, s13, s25
	s_mul_i32 s18, s10, s23
	s_sub_u32 s12, s12, s18
	s_cselect_b64 s[18:19], -1, 0
	s_cmp_lg_u64 s[18:19], 0
	s_subb_u32 s26, s20, s11
	s_sub_u32 s27, s12, s10
	s_cselect_b64 s[20:21], -1, 0
	s_cmp_lg_u64 s[20:21], 0
	s_subb_u32 s20, s26, 0
	s_cmp_ge_u32 s20, s11
	s_cselect_b32 s21, -1, 0
	s_cmp_ge_u32 s27, s10
	s_cselect_b32 s26, -1, 0
	s_cmp_eq_u32 s20, s11
	s_cselect_b32 s20, s26, s21
	s_add_u32 s21, s23, 1
	s_addc_u32 s26, s24, 0
	s_add_u32 s27, s23, 2
	s_addc_u32 s28, s24, 0
	s_cmp_lg_u32 s20, 0
	s_cselect_b32 s20, s27, s21
	s_cselect_b32 s21, s28, s26
	s_cmp_lg_u64 s[18:19], 0
	s_subb_u32 s13, s13, s25
	s_cmp_ge_u32 s13, s11
	s_cselect_b32 s18, -1, 0
	s_cmp_ge_u32 s12, s10
	s_cselect_b32 s10, -1, 0
	s_cmp_eq_u32 s13, s11
	s_cselect_b32 s10, s10, s18
	s_cmp_lg_u32 s10, 0
	s_cselect_b32 s11, s21, s24
	s_cselect_b32 s10, s20, s23
	s_xor_b64 s[12:13], s[14:15], 0
	s_xor_b64 s[10:11], s[10:11], s[12:13]
	s_sub_u32 s10, s10, s12
	s_load_dwordx4 s[12:15], s[4:5], 0x44
	s_cbranch_execnz .LBB39_3
.LBB39_2:
	v_cvt_f32_u32_e32 v1, s22
	s_sub_i32 s10, 0, s22
	v_rcp_iflag_f32_e32 v1, v1
	v_mul_f32_e32 v1, 0x4f7ffffe, v1
	v_cvt_u32_f32_e32 v1, v1
	v_readfirstlane_b32 s11, v1
	s_mul_i32 s10, s10, s11
	s_mul_hi_u32 s10, s11, s10
	s_add_i32 s11, s11, s10
	s_mul_hi_u32 s10, s9, s11
	s_waitcnt lgkmcnt(0)
	s_mul_i32 s15, s10, s22
	s_sub_i32 s9, s9, s15
	s_add_i32 s11, s10, 1
	s_sub_i32 s15, s9, s22
	s_cmp_ge_u32 s9, s22
	s_cselect_b32 s10, s11, s10
	s_cselect_b32 s9, s15, s9
	s_add_i32 s11, s10, 1
	s_cmp_ge_u32 s9, s22
	s_cselect_b32 s10, s11, s10
.LBB39_3:
	s_add_i32 s9, s6, 1
	s_mul_hi_i32 s21, s3, s9
	s_mov_b32 s20, 0
	s_cmp_lg_u64 s[20:21], 0
	s_mul_i32 s9, s3, s9
	s_cbranch_scc0 .LBB39_21
; %bb.4:
	s_add_u32 s16, s22, 0
	s_addc_u32 s17, 0, 0
	s_xor_b64 s[18:19], s[16:17], 0
	v_cvt_f32_u32_e32 v1, s18
	v_cvt_f32_u32_e32 v2, s19
	s_sub_u32 s11, 0, s18
	s_waitcnt lgkmcnt(0)
	s_subb_u32 s15, 0, s19
	v_madmk_f32 v1, v2, 0x4f800000, v1
	v_rcp_f32_e32 v1, v1
	v_mul_f32_e32 v1, 0x5f7ffffc, v1
	v_mul_f32_e32 v2, 0x2f800000, v1
	v_trunc_f32_e32 v2, v2
	v_madmk_f32 v1, v2, 0xcf800000, v1
	v_cvt_u32_f32_e32 v2, v2
	v_cvt_u32_f32_e32 v1, v1
	v_readfirstlane_b32 s20, v2
	v_readfirstlane_b32 s23, v1
	s_mul_i32 s24, s11, s20
	s_mul_hi_u32 s26, s11, s23
	s_mul_i32 s25, s15, s23
	s_add_i32 s24, s26, s24
	s_add_i32 s24, s24, s25
	s_mul_i32 s27, s11, s23
	s_mul_i32 s26, s23, s24
	s_mul_hi_u32 s28, s23, s27
	s_mul_hi_u32 s25, s23, s24
	s_add_u32 s26, s28, s26
	s_addc_u32 s25, 0, s25
	s_mul_hi_u32 s29, s20, s27
	s_mul_i32 s27, s20, s27
	s_add_u32 s26, s26, s27
	s_mul_hi_u32 s28, s20, s24
	s_addc_u32 s25, s25, s29
	s_addc_u32 s26, s28, 0
	s_mul_i32 s24, s20, s24
	s_add_u32 s24, s25, s24
	s_addc_u32 s26, 0, s26
	s_add_u32 s23, s23, s24
	s_cselect_b64 s[24:25], -1, 0
	s_cmp_lg_u64 s[24:25], 0
	s_addc_u32 s20, s20, s26
	s_mul_i32 s24, s11, s20
	s_mul_hi_u32 s25, s11, s23
	s_add_i32 s24, s25, s24
	s_mul_i32 s15, s15, s23
	s_add_i32 s24, s24, s15
	s_mul_i32 s11, s11, s23
	s_mul_hi_u32 s25, s20, s11
	s_mul_i32 s26, s20, s11
	s_mul_i32 s28, s23, s24
	s_mul_hi_u32 s11, s23, s11
	s_mul_hi_u32 s27, s23, s24
	s_add_u32 s11, s11, s28
	s_addc_u32 s27, 0, s27
	s_add_u32 s11, s11, s26
	s_mul_hi_u32 s15, s20, s24
	s_addc_u32 s11, s27, s25
	s_addc_u32 s15, s15, 0
	s_mul_i32 s24, s20, s24
	s_add_u32 s11, s11, s24
	s_addc_u32 s15, 0, s15
	s_add_u32 s11, s23, s11
	s_cselect_b64 s[24:25], -1, 0
	s_cmp_lg_u64 s[24:25], 0
	s_addc_u32 s15, s20, s15
	s_ashr_i32 s24, s21, 31
	s_add_u32 s20, s9, s24
	s_mov_b32 s25, s24
	s_addc_u32 s21, s21, s24
	s_xor_b64 s[20:21], s[20:21], s[24:25]
	s_mul_i32 s26, s20, s15
	s_mul_hi_u32 s27, s20, s11
	s_mul_hi_u32 s23, s20, s15
	s_add_u32 s26, s27, s26
	s_addc_u32 s23, 0, s23
	s_mul_hi_u32 s28, s21, s11
	s_mul_i32 s11, s21, s11
	s_add_u32 s11, s26, s11
	s_mul_hi_u32 s27, s21, s15
	s_addc_u32 s11, s23, s28
	s_addc_u32 s23, s27, 0
	s_mul_i32 s15, s21, s15
	s_add_u32 s11, s11, s15
	s_addc_u32 s15, 0, s23
	s_mul_i32 s23, s18, s15
	s_mul_hi_u32 s26, s18, s11
	s_add_i32 s23, s26, s23
	s_mul_i32 s26, s19, s11
	s_add_i32 s23, s23, s26
	s_sub_i32 s28, s21, s23
	s_mul_i32 s26, s18, s11
	s_sub_u32 s20, s20, s26
	s_cselect_b64 s[26:27], -1, 0
	s_cmp_lg_u64 s[26:27], 0
	s_subb_u32 s30, s28, s19
	s_sub_u32 s31, s20, s18
	s_cselect_b64 s[28:29], -1, 0
	s_cmp_lg_u64 s[28:29], 0
	s_subb_u32 s28, s30, 0
	s_cmp_ge_u32 s28, s19
	s_cselect_b32 s29, -1, 0
	s_cmp_ge_u32 s31, s18
	s_cselect_b32 s30, -1, 0
	s_cmp_eq_u32 s28, s19
	s_cselect_b32 s28, s30, s29
	s_add_u32 s29, s11, 1
	s_addc_u32 s30, s15, 0
	s_add_u32 s31, s11, 2
	s_addc_u32 s33, s15, 0
	s_cmp_lg_u32 s28, 0
	s_cselect_b32 s28, s31, s29
	s_cselect_b32 s29, s33, s30
	s_cmp_lg_u64 s[26:27], 0
	s_subb_u32 s21, s21, s23
	s_cmp_ge_u32 s21, s19
	s_cselect_b32 s23, -1, 0
	s_cmp_ge_u32 s20, s18
	s_cselect_b32 s18, -1, 0
	s_cmp_eq_u32 s21, s19
	s_cselect_b32 s18, s18, s23
	s_cmp_lg_u32 s18, 0
	s_cselect_b32 s19, s29, s15
	s_cselect_b32 s18, s28, s11
	s_xor_b64 s[20:21], s[24:25], 0
	s_xor_b64 s[18:19], s[18:19], s[20:21]
	s_sub_u32 s18, s18, s20
	s_cbranch_execnz .LBB39_6
.LBB39_5:
	v_cvt_f32_u32_e32 v1, s22
	s_sub_i32 s11, 0, s22
	v_rcp_iflag_f32_e32 v1, v1
	v_mul_f32_e32 v1, 0x4f7ffffe, v1
	v_cvt_u32_f32_e32 v1, v1
	s_waitcnt lgkmcnt(0)
	v_readfirstlane_b32 s15, v1
	s_mul_i32 s11, s11, s15
	s_mul_hi_u32 s11, s15, s11
	s_add_i32 s15, s15, s11
	s_mul_hi_u32 s11, s9, s15
	s_mul_i32 s16, s11, s22
	s_sub_i32 s9, s9, s16
	s_add_i32 s15, s11, 1
	s_sub_i32 s16, s9, s22
	s_cmp_ge_u32 s9, s22
	s_cselect_b32 s11, s15, s11
	s_cselect_b32 s9, s16, s9
	s_add_i32 s15, s11, 1
	s_cmp_ge_u32 s9, s22
	s_cselect_b32 s18, s15, s11
.LBB39_6:
	s_cmp_eq_u32 s10, s18
	s_waitcnt lgkmcnt(0)
	s_mul_hi_u32 s9, s10, s12
	s_cselect_b64 s[16:17], -1, 0
	s_add_i32 s9, s9, s10
	s_lshr_b32 s11, s9, s13
	s_mul_i32 s9, s11, s14
	s_cmp_eq_u32 s9, s10
	s_mul_hi_u32 s9, s18, s12
	s_cselect_b64 s[20:21], -1, 0
	s_add_i32 s9, s9, s18
	s_lshr_b32 s9, s9, s13
	s_cmp_eq_u32 s11, s9
	s_mul_i32 s9, s9, s14
	s_cselect_b64 s[24:25], -1, 0
	s_cmp_lg_u32 s9, s18
	s_cselect_b64 s[18:19], -1, 0
	s_and_b64 s[18:19], s[24:25], s[18:19]
	s_or_b64 s[16:17], s[16:17], s[20:21]
	s_or_b64 s[16:17], s[16:17], s[18:19]
	s_and_b64 vcc, exec, s[16:17]
	s_cbranch_vccnz .LBB39_23
; %bb.7:
	s_load_dwordx8 s[24:31], s[4:5], 0x20
	s_load_dword s15, s[4:5], 0x40
	s_waitcnt lgkmcnt(0)
	s_mul_hi_u32 s9, s10, s24
	s_add_i32 s9, s9, s10
	s_lshr_b32 s9, s9, s25
	s_mul_i32 s16, s9, s26
	s_sub_i32 s16, s10, s16
	s_mul_hi_u32 s17, s16, s27
	s_add_i32 s17, s16, s17
	s_lshr_b32 s23, s17, s28
	s_mul_i32 s17, s23, s29
	s_sub_i32 s16, s16, s17
	;; [unrolled: 5-line block ×3, first 2 shown]
	s_mul_hi_u32 s16, s15, s12
	s_add_i32 s15, s15, s16
	s_lshr_b32 s25, s15, s13
	s_lshl_b32 s15, s25, 4
	s_lshl_b32 s24, s17, 1
	s_add_i32 s15, s15, s7
	s_cmp_lt_i32 s15, s0
	s_cselect_b64 s[16:17], -1, 0
	s_add_i32 s15, s24, s8
	s_cmp_lt_i32 s15, s2
	s_cselect_b64 s[18:19], -1, 0
	s_and_b64 s[16:17], s[16:17], s[18:19]
	s_andn2_b64 vcc, exec, s[16:17]
	s_cbranch_vccnz .LBB39_23
; %bb.8:
	s_load_dwordx4 s[16:19], s[4:5], 0x0
	s_mov_b32 s4, 0
	s_lshl_b32 s15, s7, 1
	s_lshl_b32 s20, s22, 7
	s_mov_b32 s21, s4
	s_add_i32 s15, s15, s8
	s_lshl_b64 s[20:21], s[20:21], 2
	s_waitcnt lgkmcnt(0)
	s_add_u32 s20, s18, s20
	s_mul_i32 s0, s9, s0
	s_addc_u32 s21, s19, s21
	s_add_i32 s0, s0, s7
	s_mul_i32 s0, s0, s1
	s_mul_i32 s23, s23, s2
	s_add_i32 s0, s0, s8
	s_add_i32 s0, s0, s23
	s_mul_i32 s2, s1, s25
	s_add_i32 s0, s0, s24
	s_lshl_b32 s2, s2, 10
	s_lshl_b32 s0, s0, 6
	s_add_i32 s2, s2, s0
	v_or_b32_e32 v1, s2, v0
	v_ashrrev_i32_e32 v2, 31, v1
	v_lshlrev_b64 v[1:2], 2, v[1:2]
	v_mov_b32_e32 v3, s17
	v_add_co_u32_e32 v1, vcc, s16, v1
	v_addc_co_u32_e32 v2, vcc, v3, v2, vcc
	global_load_dword v3, v[1:2], off
	v_cvt_f32_u32_e32 v4, s22
	s_lshl_b32 s0, s6, 5
	s_add_i32 s0, s15, s0
	s_ashr_i32 s1, s0, 31
	s_lshl_b64 s[0:1], s[0:1], 3
	v_rcp_iflag_f32_e32 v4, v4
	s_add_u32 s0, s18, s0
	s_addc_u32 s1, s19, s1
	s_load_dwordx2 s[0:1], s[0:1], 0x0
	v_mul_f32_e32 v4, 0x4f7ffffe, v4
	v_cvt_u32_f32_e32 v4, v4
	s_add_i32 s24, s6, -1
	v_lshl_or_b32 v0, s15, 6, v0
	s_waitcnt lgkmcnt(0)
	v_mov_b32_e32 v6, s1
	v_mov_b32_e32 v7, s0
	s_mov_b32 s2, 0x3fb8aa3b
	s_mov_b32 s16, 0xc2ce8ed0
	;; [unrolled: 1-line block ×4, first 2 shown]
	v_mov_b32_e32 v5, 0x7f800000
	s_mul_hi_i32 s5, s24, s3
	s_cmp_lg_u64 s[4:5], 0
	s_mul_i32 s8, s24, s3
	s_cbranch_scc0 .LBB39_19
.LBB39_9:
	s_add_u32 s0, s22, 0
	s_addc_u32 s1, 0, 0
	s_xor_b64 s[0:1], s[0:1], 0
	v_cvt_f32_u32_e32 v8, s0
	v_cvt_f32_u32_e32 v9, s1
	s_sub_u32 s9, 0, s0
	s_subb_u32 s25, 0, s1
	v_mac_f32_e32 v8, 0x4f800000, v9
	v_rcp_f32_e32 v8, v8
	v_mul_f32_e32 v8, 0x5f7ffffc, v8
	v_mul_f32_e32 v9, 0x2f800000, v8
	v_trunc_f32_e32 v9, v9
	v_mac_f32_e32 v8, 0xcf800000, v9
	v_cvt_u32_f32_e32 v9, v9
	v_cvt_u32_f32_e32 v8, v8
	v_readfirstlane_b32 s26, v9
	v_readfirstlane_b32 s6, v8
	s_mul_i32 s7, s9, s26
	s_mul_hi_u32 s28, s9, s6
	s_mul_i32 s27, s25, s6
	s_add_i32 s7, s28, s7
	s_mul_i32 s29, s9, s6
	s_add_i32 s7, s7, s27
	s_mul_i32 s28, s6, s7
	s_mul_hi_u32 s30, s6, s29
	s_mul_hi_u32 s27, s6, s7
	s_add_u32 s28, s30, s28
	s_addc_u32 s27, 0, s27
	s_mul_hi_u32 s31, s26, s29
	s_mul_i32 s29, s26, s29
	s_add_u32 s28, s28, s29
	s_mul_hi_u32 s30, s26, s7
	s_addc_u32 s27, s27, s31
	s_addc_u32 s28, s30, 0
	s_mul_i32 s7, s26, s7
	s_add_u32 s7, s27, s7
	s_addc_u32 s27, 0, s28
	s_add_u32 s28, s6, s7
	s_cselect_b64 s[6:7], -1, 0
	s_cmp_lg_u64 s[6:7], 0
	s_addc_u32 s26, s26, s27
	s_mul_i32 s6, s9, s26
	s_mul_hi_u32 s7, s9, s28
	s_add_i32 s6, s7, s6
	s_mul_i32 s25, s25, s28
	s_add_i32 s6, s6, s25
	s_mul_i32 s9, s9, s28
	s_mul_hi_u32 s25, s26, s9
	s_mul_i32 s27, s26, s9
	s_mul_i32 s30, s28, s6
	s_mul_hi_u32 s9, s28, s9
	s_mul_hi_u32 s29, s28, s6
	s_add_u32 s9, s9, s30
	s_addc_u32 s29, 0, s29
	s_add_u32 s9, s9, s27
	s_mul_hi_u32 s7, s26, s6
	s_addc_u32 s9, s29, s25
	s_addc_u32 s7, s7, 0
	s_mul_i32 s6, s26, s6
	s_add_u32 s6, s9, s6
	s_addc_u32 s9, 0, s7
	s_add_u32 s25, s28, s6
	s_cselect_b64 s[6:7], -1, 0
	s_cmp_lg_u64 s[6:7], 0
	s_addc_u32 s9, s26, s9
	s_ashr_i32 s6, s5, 31
	s_add_u32 s26, s8, s6
	s_mov_b32 s7, s6
	s_addc_u32 s27, s5, s6
	s_xor_b64 s[26:27], s[26:27], s[6:7]
	s_mul_i32 s28, s26, s9
	s_mul_hi_u32 s29, s26, s25
	s_mul_hi_u32 s5, s26, s9
	s_add_u32 s28, s29, s28
	s_addc_u32 s5, 0, s5
	s_mul_hi_u32 s30, s27, s25
	s_mul_i32 s25, s27, s25
	s_add_u32 s25, s28, s25
	s_mul_hi_u32 s29, s27, s9
	s_addc_u32 s5, s5, s30
	s_addc_u32 s25, s29, 0
	s_mul_i32 s9, s27, s9
	s_add_u32 s5, s5, s9
	s_addc_u32 s9, 0, s25
	s_mul_i32 s25, s0, s9
	s_mul_hi_u32 s28, s0, s5
	s_add_i32 s25, s28, s25
	s_mul_i32 s28, s1, s5
	s_add_i32 s25, s25, s28
	s_sub_i32 s30, s27, s25
	s_mul_i32 s28, s0, s5
	s_sub_u32 s26, s26, s28
	s_cselect_b64 s[28:29], -1, 0
	s_cmp_lg_u64 s[28:29], 0
	s_subb_u32 s33, s30, s1
	s_sub_u32 s34, s26, s0
	s_cselect_b64 s[30:31], -1, 0
	s_cmp_lg_u64 s[30:31], 0
	s_subb_u32 s30, s33, 0
	s_cmp_ge_u32 s30, s1
	s_cselect_b32 s31, -1, 0
	s_cmp_ge_u32 s34, s0
	s_cselect_b32 s33, -1, 0
	s_cmp_eq_u32 s30, s1
	s_cselect_b32 s30, s33, s31
	s_add_u32 s31, s5, 1
	s_addc_u32 s33, s9, 0
	s_add_u32 s34, s5, 2
	s_addc_u32 s35, s9, 0
	s_cmp_lg_u32 s30, 0
	s_cselect_b32 s30, s34, s31
	s_cselect_b32 s31, s35, s33
	s_cmp_lg_u64 s[28:29], 0
	s_subb_u32 s25, s27, s25
	s_cmp_ge_u32 s25, s1
	s_cselect_b32 s27, -1, 0
	s_cmp_ge_u32 s26, s0
	s_cselect_b32 s0, -1, 0
	s_cmp_eq_u32 s25, s1
	s_cselect_b32 s0, s0, s27
	s_cmp_lg_u32 s0, 0
	s_cselect_b32 s1, s31, s9
	s_cselect_b32 s0, s30, s5
	s_xor_b64 s[6:7], s[6:7], 0
	s_xor_b64 s[0:1], s[0:1], s[6:7]
	s_sub_u32 s6, s0, s6
	s_cbranch_execnz .LBB39_11
.LBB39_10:
	s_sub_i32 s0, 0, s22
	v_readfirstlane_b32 s1, v4
	s_mul_i32 s0, s0, s1
	s_mul_hi_u32 s0, s1, s0
	s_add_i32 s1, s1, s0
	s_mul_hi_u32 s0, s8, s1
	s_mul_i32 s5, s0, s22
	s_sub_i32 s5, s8, s5
	s_add_i32 s1, s0, 1
	s_sub_i32 s6, s5, s22
	s_cmp_ge_u32 s5, s22
	s_cselect_b32 s0, s1, s0
	s_cselect_b32 s5, s6, s5
	s_add_i32 s1, s0, 1
	s_cmp_ge_u32 s5, s22
	s_cselect_b32 s6, s1, s0
.LBB39_11:
	s_cmp_lg_u32 s10, s6
	s_mov_b64 s[8:9], -1
                                        ; implicit-def: $sgpr0_sgpr1
                                        ; implicit-def: $vgpr10
                                        ; implicit-def: $vgpr8
                                        ; implicit-def: $vgpr9
                                        ; implicit-def: $sgpr5
                                        ; implicit-def: $sgpr7
	s_cbranch_scc1 .LBB39_14
; %bb.12:
	s_andn2_b64 vcc, exec, s[8:9]
	s_cbranch_vccz .LBB39_17
.LBB39_13:
	s_andn2_b64 vcc, exec, s[0:1]
	s_cbranch_vccnz .LBB39_18
	s_branch .LBB39_22
.LBB39_14:
	s_add_i32 s0, s24, s22
	s_lshl_b32 s0, s0, 5
	s_add_i32 s0, s0, s15
	s_mov_b32 s1, s4
	s_lshl_b64 s[0:1], s[0:1], 3
	s_add_u32 s8, s18, s0
	s_mul_hi_u32 s0, s6, s12
	s_addc_u32 s9, s19, s1
	s_add_i32 s0, s0, s6
	s_lshr_b32 s5, s0, s13
	s_mul_i32 s0, s5, s14
	s_cmp_eq_u32 s0, s6
	s_cselect_b64 s[0:1], -1, 0
	s_cmp_lt_u32 s5, s11
	s_cselect_b64 s[26:27], -1, 0
	s_or_b64 s[26:27], s[26:27], s[0:1]
	s_mov_b64 s[0:1], -1
	s_and_b64 vcc, exec, s[26:27]
	s_mov_b32 s5, s24
	s_mov_b32 s7, s10
	s_cbranch_vccnz .LBB39_16
; %bb.15:
	s_add_i32 s5, s24, -1
	s_mov_b64 s[0:1], 0
	s_mov_b32 s7, s6
.LBB39_16:
	v_lshl_add_u32 v8, s24, 11, v0
	v_ashrrev_i32_e32 v9, 31, v8
	v_lshlrev_b64 v[8:9], 2, v[8:9]
	v_mov_b32_e32 v10, s21
	v_add_co_u32_e32 v8, vcc, s20, v8
	v_addc_co_u32_e32 v9, vcc, v10, v9, vcc
	global_load_dword v10, v[8:9], off
	s_load_dwordx2 s[8:9], s[8:9], 0x0
	v_max_f32_e32 v8, v7, v7
	s_waitcnt lgkmcnt(0)
	v_max_f32_e64 v9, s8, s8
	v_max_f32_e32 v8, v8, v9
	v_sub_f32_e32 v9, v7, v8
	v_sub_f32_e32 v11, s8, v8
	v_mul_f32_e32 v12, 0x3fb8aa3b, v9
	v_mul_f32_e32 v13, 0x3fb8aa3b, v11
	v_fma_f32 v14, v9, s2, -v12
	v_rndne_f32_e32 v15, v12
	v_fma_f32 v16, v11, s2, -v13
	v_rndne_f32_e32 v17, v13
	v_fmac_f32_e32 v14, 0x32a5705f, v9
	v_sub_f32_e32 v12, v12, v15
	v_fmac_f32_e32 v16, 0x32a5705f, v11
	v_sub_f32_e32 v13, v13, v17
	v_add_f32_e32 v12, v12, v14
	v_cvt_i32_f32_e32 v15, v15
	v_add_f32_e32 v13, v13, v16
	v_exp_f32_e32 v12, v12
	v_cvt_i32_f32_e32 v17, v17
	v_exp_f32_e32 v13, v13
	v_cmp_ngt_f32_e32 vcc, s16, v9
	v_ldexp_f32 v12, v12, v15
	v_cndmask_b32_e32 v12, 0, v12, vcc
	v_ldexp_f32 v13, v13, v17
	v_cmp_ngt_f32_e32 vcc, s16, v11
	v_cndmask_b32_e32 v13, 0, v13, vcc
	v_cmp_nlt_f32_e32 vcc, s17, v9
	v_cndmask_b32_e32 v12, v5, v12, vcc
	v_cmp_nlt_f32_e32 vcc, s17, v11
	v_cndmask_b32_e32 v13, v5, v13, vcc
	v_cmp_le_f32_e32 vcc, s23, v9
	v_cndmask_b32_e32 v12, 0, v12, vcc
	v_cmp_le_f32_e32 vcc, s23, v11
	v_cndmask_b32_e32 v11, 0, v13, vcc
	v_mul_f32_e32 v9, s9, v11
	v_fmac_f32_e32 v9, v6, v12
	s_waitcnt vmcnt(0)
	v_mul_f32_e32 v10, v10, v11
	v_fmac_f32_e32 v10, v3, v12
	s_cbranch_execnz .LBB39_13
.LBB39_17:
	s_add_i32 s5, s24, -1
	s_mov_b32 s7, s10
	v_mov_b32_e32 v9, v6
	v_mov_b32_e32 v8, v7
	s_waitcnt vmcnt(0)
	v_mov_b32_e32 v10, v3
	s_cbranch_execz .LBB39_22
.LBB39_18:
	s_mov_b32 s10, s7
	s_mov_b32 s24, s5
	v_mov_b32_e32 v6, v9
	v_mov_b32_e32 v7, v8
	s_waitcnt vmcnt(0)
	v_mov_b32_e32 v3, v10
	s_mul_hi_i32 s5, s24, s3
	s_cmp_lg_u64 s[4:5], 0
	s_mul_i32 s8, s24, s3
	s_cbranch_scc1 .LBB39_9
.LBB39_19:
                                        ; implicit-def: $sgpr6_sgpr7
	s_branch .LBB39_10
.LBB39_20:
                                        ; implicit-def: $sgpr10_sgpr11
	s_load_dwordx4 s[12:15], s[4:5], 0x44
	s_branch .LBB39_2
.LBB39_21:
                                        ; implicit-def: $sgpr18_sgpr19
	s_branch .LBB39_5
.LBB39_22:
	v_div_scale_f32 v0, s[0:1], v9, v9, v10
	s_waitcnt vmcnt(0)
	v_div_scale_f32 v3, vcc, v10, v9, v10
	v_rcp_f32_e32 v4, v0
	v_fma_f32 v5, -v0, v4, 1.0
	v_fmac_f32_e32 v4, v5, v4
	v_mul_f32_e32 v5, v3, v4
	v_fma_f32 v6, -v0, v5, v3
	v_fmac_f32_e32 v5, v6, v4
	v_fma_f32 v0, -v0, v5, v3
	v_div_fmas_f32 v0, v0, v4, v5
	v_div_fixup_f32 v0, v0, v9, v10
	global_store_dword v[1:2], v0, off
.LBB39_23:
	s_endpgm
	.section	.rodata,"a",@progbits
	.p2align	6, 0x0
	.amdhsa_kernel _ZL33flash_attn_stream_k_fixup_generalILi64ELi16ELi2EEvPfPK15HIP_vector_typeIfLj2EEiiiiS1_IjLj3EES5_S5_S5_
		.amdhsa_group_segment_fixed_size 0
		.amdhsa_private_segment_fixed_size 0
		.amdhsa_kernarg_size 336
		.amdhsa_user_sgpr_count 6
		.amdhsa_user_sgpr_private_segment_buffer 1
		.amdhsa_user_sgpr_dispatch_ptr 0
		.amdhsa_user_sgpr_queue_ptr 0
		.amdhsa_user_sgpr_kernarg_segment_ptr 1
		.amdhsa_user_sgpr_dispatch_id 0
		.amdhsa_user_sgpr_flat_scratch_init 0
		.amdhsa_user_sgpr_private_segment_size 0
		.amdhsa_uses_dynamic_stack 0
		.amdhsa_system_sgpr_private_segment_wavefront_offset 0
		.amdhsa_system_sgpr_workgroup_id_x 1
		.amdhsa_system_sgpr_workgroup_id_y 1
		.amdhsa_system_sgpr_workgroup_id_z 1
		.amdhsa_system_sgpr_workgroup_info 0
		.amdhsa_system_vgpr_workitem_id 0
		.amdhsa_next_free_vgpr 18
		.amdhsa_next_free_sgpr 36
		.amdhsa_reserve_vcc 1
		.amdhsa_reserve_flat_scratch 0
		.amdhsa_float_round_mode_32 0
		.amdhsa_float_round_mode_16_64 0
		.amdhsa_float_denorm_mode_32 3
		.amdhsa_float_denorm_mode_16_64 3
		.amdhsa_dx10_clamp 1
		.amdhsa_ieee_mode 1
		.amdhsa_fp16_overflow 0
		.amdhsa_exception_fp_ieee_invalid_op 0
		.amdhsa_exception_fp_denorm_src 0
		.amdhsa_exception_fp_ieee_div_zero 0
		.amdhsa_exception_fp_ieee_overflow 0
		.amdhsa_exception_fp_ieee_underflow 0
		.amdhsa_exception_fp_ieee_inexact 0
		.amdhsa_exception_int_div_zero 0
	.end_amdhsa_kernel
	.section	.text._ZL33flash_attn_stream_k_fixup_generalILi64ELi16ELi2EEvPfPK15HIP_vector_typeIfLj2EEiiiiS1_IjLj3EES5_S5_S5_,"axG",@progbits,_ZL33flash_attn_stream_k_fixup_generalILi64ELi16ELi2EEvPfPK15HIP_vector_typeIfLj2EEiiiiS1_IjLj3EES5_S5_S5_,comdat
.Lfunc_end39:
	.size	_ZL33flash_attn_stream_k_fixup_generalILi64ELi16ELi2EEvPfPK15HIP_vector_typeIfLj2EEiiiiS1_IjLj3EES5_S5_S5_, .Lfunc_end39-_ZL33flash_attn_stream_k_fixup_generalILi64ELi16ELi2EEvPfPK15HIP_vector_typeIfLj2EEiiiiS1_IjLj3EES5_S5_S5_
                                        ; -- End function
	.set _ZL33flash_attn_stream_k_fixup_generalILi64ELi16ELi2EEvPfPK15HIP_vector_typeIfLj2EEiiiiS1_IjLj3EES5_S5_S5_.num_vgpr, 18
	.set _ZL33flash_attn_stream_k_fixup_generalILi64ELi16ELi2EEvPfPK15HIP_vector_typeIfLj2EEiiiiS1_IjLj3EES5_S5_S5_.num_agpr, 0
	.set _ZL33flash_attn_stream_k_fixup_generalILi64ELi16ELi2EEvPfPK15HIP_vector_typeIfLj2EEiiiiS1_IjLj3EES5_S5_S5_.numbered_sgpr, 36
	.set _ZL33flash_attn_stream_k_fixup_generalILi64ELi16ELi2EEvPfPK15HIP_vector_typeIfLj2EEiiiiS1_IjLj3EES5_S5_S5_.num_named_barrier, 0
	.set _ZL33flash_attn_stream_k_fixup_generalILi64ELi16ELi2EEvPfPK15HIP_vector_typeIfLj2EEiiiiS1_IjLj3EES5_S5_S5_.private_seg_size, 0
	.set _ZL33flash_attn_stream_k_fixup_generalILi64ELi16ELi2EEvPfPK15HIP_vector_typeIfLj2EEiiiiS1_IjLj3EES5_S5_S5_.uses_vcc, 1
	.set _ZL33flash_attn_stream_k_fixup_generalILi64ELi16ELi2EEvPfPK15HIP_vector_typeIfLj2EEiiiiS1_IjLj3EES5_S5_S5_.uses_flat_scratch, 0
	.set _ZL33flash_attn_stream_k_fixup_generalILi64ELi16ELi2EEvPfPK15HIP_vector_typeIfLj2EEiiiiS1_IjLj3EES5_S5_S5_.has_dyn_sized_stack, 0
	.set _ZL33flash_attn_stream_k_fixup_generalILi64ELi16ELi2EEvPfPK15HIP_vector_typeIfLj2EEiiiiS1_IjLj3EES5_S5_S5_.has_recursion, 0
	.set _ZL33flash_attn_stream_k_fixup_generalILi64ELi16ELi2EEvPfPK15HIP_vector_typeIfLj2EEiiiiS1_IjLj3EES5_S5_S5_.has_indirect_call, 0
	.section	.AMDGPU.csdata,"",@progbits
; Kernel info:
; codeLenInByte = 2940
; TotalNumSgprs: 40
; NumVgprs: 18
; ScratchSize: 0
; MemoryBound: 0
; FloatMode: 240
; IeeeMode: 1
; LDSByteSize: 0 bytes/workgroup (compile time only)
; SGPRBlocks: 4
; VGPRBlocks: 4
; NumSGPRsForWavesPerEU: 40
; NumVGPRsForWavesPerEU: 18
; Occupancy: 10
; WaveLimiterHint : 0
; COMPUTE_PGM_RSRC2:SCRATCH_EN: 0
; COMPUTE_PGM_RSRC2:USER_SGPR: 6
; COMPUTE_PGM_RSRC2:TRAP_HANDLER: 0
; COMPUTE_PGM_RSRC2:TGID_X_EN: 1
; COMPUTE_PGM_RSRC2:TGID_Y_EN: 1
; COMPUTE_PGM_RSRC2:TGID_Z_EN: 1
; COMPUTE_PGM_RSRC2:TIDIG_COMP_CNT: 0
	.section	.text._ZL15flash_attn_tileILi64ELi64ELi8ELi2ELb0EEvPKcS1_S1_S1_S1_PKiPfP15HIP_vector_typeIfLj2EEffffjfiS5_IjLj3EEiiiiiiiiiiiliiliiiiil,"axG",@progbits,_ZL15flash_attn_tileILi64ELi64ELi8ELi2ELb0EEvPKcS1_S1_S1_S1_PKiPfP15HIP_vector_typeIfLj2EEffffjfiS5_IjLj3EEiiiiiiiiiiiliiliiiiil,comdat
	.globl	_ZL15flash_attn_tileILi64ELi64ELi8ELi2ELb0EEvPKcS1_S1_S1_S1_PKiPfP15HIP_vector_typeIfLj2EEffffjfiS5_IjLj3EEiiiiiiiiiiiliiliiiiil ; -- Begin function _ZL15flash_attn_tileILi64ELi64ELi8ELi2ELb0EEvPKcS1_S1_S1_S1_PKiPfP15HIP_vector_typeIfLj2EEffffjfiS5_IjLj3EEiiiiiiiiiiiliiliiiiil
	.p2align	8
	.type	_ZL15flash_attn_tileILi64ELi64ELi8ELi2ELb0EEvPKcS1_S1_S1_S1_PKiPfP15HIP_vector_typeIfLj2EEffffjfiS5_IjLj3EEiiiiiiiiiiiliiliiiiil,@function
_ZL15flash_attn_tileILi64ELi64ELi8ELi2ELb0EEvPKcS1_S1_S1_S1_PKiPfP15HIP_vector_typeIfLj2EEffffjfiS5_IjLj3EEiiiiiiiiiiiliiliiiiil: ; @_ZL15flash_attn_tileILi64ELi64ELi8ELi2ELb0EEvPKcS1_S1_S1_S1_PKiPfP15HIP_vector_typeIfLj2EEffffjfiS5_IjLj3EEiiiiiiiiiiiliiliiiiil
; %bb.0:
	s_load_dwordx4 s[0:3], s[4:5], 0x5c
	s_load_dwordx2 s[30:31], s[4:5], 0x80
	s_load_dwordx2 s[36:37], s[4:5], 0xb8
	s_mov_b64 s[34:35], 0
	s_waitcnt lgkmcnt(0)
	s_lshr_b32 s9, s3, 31
	s_add_i32 s9, s3, s9
	s_ashr_i32 s9, s9, 1
	v_cvt_f32_u32_e32 v2, s9
	s_sub_i32 s10, 0, s9
	v_rcp_iflag_f32_e32 v2, v2
	v_mul_f32_e32 v2, 0x4f7ffffe, v2
	v_cvt_u32_f32_e32 v2, v2
	v_readfirstlane_b32 s11, v2
	s_mul_i32 s10, s10, s11
	s_mul_hi_u32 s10, s11, s10
	s_add_i32 s11, s11, s10
	s_mul_hi_u32 s10, s8, s11
	s_mul_i32 s11, s10, s9
	s_sub_i32 s11, s8, s11
	s_add_i32 s12, s10, 1
	s_sub_i32 s13, s11, s9
	s_cmp_ge_u32 s11, s9
	s_cselect_b32 s10, s12, s10
	s_cselect_b32 s11, s13, s11
	s_add_i32 s12, s10, 1
	s_cmp_ge_u32 s11, s9
	s_cselect_b32 s33, s12, s10
	s_abs_i32 s9, s31
	v_cvt_f32_u32_e32 v2, s9
	s_lshl_b32 s8, s8, 1
	s_mul_i32 s12, s33, s3
	s_sub_i32 s13, 0, s9
	v_rcp_iflag_f32_e32 v2, v2
	s_sub_i32 s28, s8, s12
	s_abs_i32 s11, s3
	s_xor_b32 s10, s3, s31
	v_mul_f32_e32 v2, 0x4f7ffffe, v2
	v_cvt_u32_f32_e32 v2, v2
	s_ashr_i32 s10, s10, 31
	v_readfirstlane_b32 s8, v2
	s_mul_i32 s13, s13, s8
	s_mul_hi_u32 s12, s8, s13
	s_add_i32 s8, s8, s12
	s_mul_hi_u32 s8, s11, s8
	s_mul_i32 s12, s8, s9
	s_sub_i32 s11, s11, s12
	s_add_i32 s13, s8, 1
	s_sub_i32 s12, s11, s9
	s_cmp_ge_u32 s11, s9
	s_cselect_b32 s8, s13, s8
	s_cselect_b32 s11, s12, s11
	s_add_i32 s12, s8, 1
	s_cmp_ge_u32 s11, s9
	s_cselect_b32 s8, s12, s8
	s_xor_b32 s8, s8, s10
	s_sub_i32 s31, s8, s10
	s_abs_i32 s29, s31
	v_cvt_f32_u32_e32 v2, s29
	s_load_dwordx16 s[8:23], s[4:5], 0x0
	v_rcp_iflag_f32_e32 v2, v2
	s_waitcnt lgkmcnt(0)
	s_cmp_eq_u64 s[14:15], 0
	v_mul_f32_e32 v2, 0x4f7ffffe, v2
	v_cvt_u32_f32_e32 v2, v2
	v_readfirstlane_b32 s38, v2
	s_cbranch_scc1 .LBB40_2
; %bb.1:
	s_abs_i32 s26, s36
	v_cvt_f32_u32_e32 v2, s26
	s_sub_i32 s35, 0, s26
	s_abs_i32 s34, s33
	s_ashr_i32 s27, s33, 31
	v_rcp_iflag_f32_e32 v2, v2
	s_load_dwordx2 s[24:25], s[4:5], 0xc8
	v_mul_f32_e32 v2, 0x4f7ffffe, v2
	v_cvt_u32_f32_e32 v2, v2
	v_readfirstlane_b32 s36, v2
	s_mul_i32 s35, s35, s36
	s_mul_hi_u32 s35, s36, s35
	s_add_i32 s36, s36, s35
	s_mul_hi_u32 s35, s34, s36
	s_mul_i32 s35, s35, s26
	s_sub_i32 s34, s34, s35
	s_sub_i32 s35, s34, s26
	s_cmp_ge_u32 s34, s26
	s_cselect_b32 s34, s35, s34
	s_sub_i32 s35, s34, s26
	s_cmp_ge_u32 s34, s26
	s_cselect_b32 s26, s35, s34
	s_xor_b32 s26, s26, s27
	s_sub_i32 s26, s26, s27
	s_ashr_i32 s27, s26, 31
	s_waitcnt lgkmcnt(0)
	s_mul_hi_u32 s34, s24, s26
	s_mul_i32 s27, s24, s27
	s_mul_i32 s25, s25, s26
	s_add_i32 s27, s34, s27
	s_add_i32 s27, s27, s25
	s_mul_i32 s24, s24, s26
	s_add_u32 s34, s14, s24
	s_addc_u32 s35, s15, s27
.LBB40_2:
	s_load_dwordx4 s[24:27], s[4:5], 0x70
	v_lshl_add_u32 v30, s6, 3, v1
	v_mul_hi_u32 v2, s0, v30
	s_waitcnt lgkmcnt(0)
	s_mul_i32 s0, s33, s26
	v_add_u32_e32 v2, v30, v2
	s_ashr_i32 s15, s0, 31
	v_lshrrev_b32_e32 v2, s1, v2
	s_mul_i32 s14, s28, s25
	s_add_u32 s0, s8, s0
	v_mul_lo_u32 v2, v2, s2
	s_addc_u32 s8, s9, s15
	s_ashr_i32 s1, s14, 31
	s_add_u32 s14, s0, s14
	s_addc_u32 s15, s8, s1
	s_ashr_i32 s1, s24, 31
	s_mov_b32 s0, s24
	v_sub_u32_e32 v2, v30, v2
	s_lshr_b64 s[8:9], s[0:1], 2
	v_mad_u64_u32 v[3:4], s[8:9], s8, v2, 0
	s_lshr_b32 s0, s1, 2
	v_mad_u64_u32 v[4:5], s[0:1], s0, v2, v[4:5]
	v_mov_b32_e32 v5, s15
	s_ashr_i32 s0, s25, 31
	v_lshlrev_b64 v[3:4], 2, v[3:4]
	s_and_b32 s1, s25, -4
	v_add_co_u32_e32 v3, vcc, s14, v3
	v_addc_co_u32_e32 v4, vcc, v5, v4, vcc
	v_lshlrev_b32_e32 v5, 3, v0
	v_add_co_u32_e32 v3, vcc, v3, v5
	v_addc_co_u32_e32 v4, vcc, 0, v4, vcc
	global_load_dwordx2 v[5:6], v[3:4], off
	v_mov_b32_e32 v7, s0
	v_add_co_u32_e32 v3, vcc, s1, v3
	v_addc_co_u32_e32 v4, vcc, v4, v7, vcc
	global_load_dwordx2 v[3:4], v[3:4], off
	s_load_dword s0, s[4:5], 0x40
	v_mov_b32_e32 v7, 0x5800
	v_lshl_add_u32 v31, v1, 8, v7
	v_lshl_add_u32 v7, v0, 2, v31
	s_cmp_eq_u64 s[18:19], 0
	s_waitcnt vmcnt(1) lgkmcnt(0)
	v_fma_mixlo_f16 v6, s0, v6, 0
	v_fma_mixlo_f16 v5, s0, v5, 0
	v_lshlrev_b32_e32 v6, 16, v6
	v_or_b32_sdwa v5, v6, v5 dst_sel:DWORD dst_unused:UNUSED_PAD src0_sel:DWORD src1_sel:WORD_0
	s_waitcnt vmcnt(0)
	v_fma_mixlo_f16 v4, s0, v4, 0
	v_fma_mixlo_f16 v3, s0, v3, 0
	v_lshlrev_b32_e32 v4, 16, v4
	v_or_b32_sdwa v3, v4, v3 dst_sel:DWORD dst_unused:UNUSED_PAD src0_sel:DWORD src1_sel:WORD_0
	ds_write2_b32 v7, v5, v3 offset1:32
	s_waitcnt lgkmcnt(0)
	s_barrier
	s_cbranch_scc1 .LBB40_4
; %bb.3:
	s_load_dword s0, s[4:5], 0xd0
	s_mov_b32 s1, 0
	s_waitcnt lgkmcnt(0)
	s_mul_i32 s0, s0, s33
	s_add_i32 s0, s0, s6
	s_lshl_b64 s[0:1], s[0:1], 2
	s_add_u32 s0, s18, s0
	s_addc_u32 s1, s19, s1
	s_load_dword s30, s[0:1], 0x0
.LBB40_4:
	s_lshl_b32 s6, s7, 7
	s_waitcnt lgkmcnt(0)
	s_cmp_lt_i32 s6, s30
	v_mbcnt_lo_u32_b32 v3, -1, 0
	s_cbranch_scc1 .LBB40_7
; %bb.5:
	v_mbcnt_hi_u32_b32 v32, -1, v3
	v_and_b32_e32 v4, 0x60, v32
	v_add_u32_e32 v33, 32, v4
	v_xor_b32_e32 v38, 16, v32
	v_xor_b32_e32 v37, 8, v32
	;; [unrolled: 1-line block ×5, first 2 shown]
	s_cbranch_execz .LBB40_8
; %bb.6:
	v_mov_b32_e32 v71, 0
	v_mov_b32_e32 v45, 0
	;; [unrolled: 1-line block ×6, first 2 shown]
	s_branch .LBB40_10
.LBB40_7:
                                        ; implicit-def: $vgpr32
                                        ; implicit-def: $vgpr33
                                        ; implicit-def: $vgpr38
                                        ; implicit-def: $vgpr37
                                        ; implicit-def: $vgpr36
                                        ; implicit-def: $vgpr35
                                        ; implicit-def: $vgpr34
.LBB40_8:
	s_sub_i32 s0, 0, s29
	s_mul_i32 s0, s0, s38
	s_mul_hi_u32 s0, s38, s0
	s_add_i32 s38, s38, s0
	s_load_dwordx2 s[0:1], s[4:5], 0x8c
	s_load_dwordx4 s[24:27], s[4:5], 0x98
	s_abs_i32 s18, s28
	s_mul_hi_u32 s19, s18, s38
	s_ashr_i32 s36, s28, 31
	s_waitcnt lgkmcnt(0)
	s_ashr_i32 s9, s0, 2
	s_ashr_i32 s0, s33, 31
	;; [unrolled: 1-line block ×4, first 2 shown]
	s_mul_hi_u32 s37, s24, s33
	s_mul_i32 s38, s24, s0
	s_add_i32 s37, s37, s38
	s_mul_i32 s25, s25, s33
	s_ashr_i32 s31, s31, 31
	s_add_i32 s37, s37, s25
	s_mul_i32 s24, s24, s33
	s_add_u32 s10, s10, s24
	s_mul_i32 s25, s19, s29
	s_addc_u32 s11, s11, s37
	s_sub_i32 s18, s18, s25
	s_xor_b32 s24, s36, s31
	s_add_i32 s25, s19, 1
	s_sub_i32 s31, s18, s29
	s_cmp_ge_u32 s18, s29
	s_cselect_b32 s19, s25, s19
	s_cselect_b32 s18, s31, s18
	s_add_i32 s25, s19, 1
	s_cmp_ge_u32 s18, s29
	s_load_dwordx2 s[14:15], s[4:5], 0xa8
	s_cselect_b32 s18, s25, s19
	s_xor_b32 s18, s18, s24
	s_sub_i32 s18, s18, s24
	s_mul_i32 s1, s18, s1
	s_ashr_i32 s19, s1, 31
	s_add_u32 s10, s10, s1
	s_waitcnt lgkmcnt(0)
	s_mul_hi_u32 s1, s14, s33
	s_mul_i32 s0, s14, s0
	s_addc_u32 s11, s11, s19
	s_add_i32 s0, s1, s0
	s_mul_i32 s1, s15, s33
	s_add_i32 s0, s0, s1
	s_mul_i32 s1, s14, s33
	v_lshrrev_b32_e32 v4, 3, v0
	s_add_u32 s1, s12, s1
	s_mul_i32 s18, s18, s27
	v_lshl_add_u32 v4, v1, 2, v4
	s_addc_u32 s0, s13, s0
	s_ashr_i32 s13, s18, 31
	v_lshlrev_b32_e32 v39, 2, v0
	v_mul_lo_u32 v6, s9, v4
	s_add_u32 s12, s1, s18
	v_and_b32_e32 v12, 28, v39
	s_addc_u32 s13, s0, s13
	v_lshlrev_b32_e32 v5, 2, v12
	s_movk_i32 s0, 0x90
	v_mad_u32_u24 v40, v4, s0, v5
	s_lshl_b32 s0, s9, 5
	v_add_u32_e32 v8, s0, v6
	v_mul_lo_u32 v22, s8, v4
	v_add_u32_e32 v10, s0, v8
	v_add_u32_e32 v20, s0, v10
	v_mad_u64_u32 v[13:14], s[0:1], v2, s26, v[0:1]
	v_mov_b32_e32 v2, 0x4800
	s_lshl_b32 s0, s8, 5
	v_lshl_add_u32 v46, v1, 9, v2
	v_add_u32_e32 v1, s0, v22
	v_add_u32_e32 v26, s0, v1
	;; [unrolled: 1-line block ×3, first 2 shown]
	v_ashrrev_i32_e32 v7, 31, v6
	v_ashrrev_i32_e32 v9, 31, v8
	;; [unrolled: 1-line block ×8, first 2 shown]
	v_mbcnt_hi_u32_b32 v32, -1, v3
	v_lshl_or_b32 v47, v4, 7, v5
	s_add_u32 s0, s4, 0xd0
	v_lshlrev_b64 v[14:15], 2, v[6:7]
	v_lshlrev_b64 v[16:17], 2, v[8:9]
	;; [unrolled: 1-line block ×4, first 2 shown]
	v_and_b32_e32 v3, 0x60, v32
	v_lshlrev_b64 v[22:23], 2, v[22:23]
	v_lshlrev_b64 v[24:25], 2, v[1:2]
	;; [unrolled: 1-line block ×4, first 2 shown]
	v_mov_b32_e32 v70, 0
	v_add_u32_e32 v41, 0x1200, v40
	v_add_u32_e32 v42, 0x2400, v40
	;; [unrolled: 1-line block ×3, first 2 shown]
	v_mul_u32_u24_e32 v44, 0x90, v0
	v_add_u32_e32 v48, 0x1000, v47
	v_add_u32_e32 v49, 0x2000, v47
	;; [unrolled: 1-line block ×3, first 2 shown]
	s_addc_u32 s1, s5, 0
	v_mov_b32_e32 v5, 0xfeffffff
	v_lshlrev_b32_e32 v51, 2, v12
	v_add_u32_e32 v33, 32, v3
	v_xor_b32_e32 v38, 16, v32
	v_xor_b32_e32 v37, 8, v32
	v_xor_b32_e32 v36, 4, v32
	v_xor_b32_e32 v35, 2, v32
	v_xor_b32_e32 v34, 1, v32
	v_mov_b32_e32 v52, s35
	s_mov_b32 s14, 0x3fb8aa3b
	s_mov_b32 s15, 0xc2ce8ed0
	;; [unrolled: 1-line block ×3, first 2 shown]
	v_mov_b32_e32 v53, 0x7f800000
	s_mov_b32 s19, 0x10001
	v_add_u32_e32 v54, v46, v39
	v_add_u32_e32 v55, 0x400, v39
	;; [unrolled: 1-line block ×16, first 2 shown]
	v_mov_b32_e32 v71, 0
	v_mov_b32_e32 v6, 0xfeffffff
	;; [unrolled: 1-line block ×4, first 2 shown]
.LBB40_9:                               ; =>This Inner Loop Header: Depth=1
	s_mul_hi_i32 s25, s6, s9
	s_mul_i32 s24, s6, s9
	s_lshl_b64 s[24:25], s[24:25], 2
	s_add_u32 s24, s10, s24
	s_addc_u32 s25, s11, s25
	v_add_co_u32_e32 v1, vcc, s24, v14
	v_mov_b32_e32 v2, s25
	v_addc_co_u32_e32 v2, vcc, v2, v15, vcc
	v_add_co_u32_e32 v1, vcc, v1, v51
	v_addc_co_u32_e32 v2, vcc, 0, v2, vcc
	global_load_dwordx4 v[1:4], v[1:2], off
	v_mov_b32_e32 v73, v11
	v_mov_b32_e32 v72, v6
	;; [unrolled: 1-line block ×5, first 2 shown]
	s_waitcnt vmcnt(0)
	ds_write_b128 v40, v[1:4]
	v_add_co_u32_e32 v1, vcc, s24, v16
	v_mov_b32_e32 v2, s25
	v_addc_co_u32_e32 v2, vcc, v2, v17, vcc
	v_add_co_u32_e32 v1, vcc, v1, v51
	v_addc_co_u32_e32 v2, vcc, 0, v2, vcc
	global_load_dwordx4 v[1:4], v[1:2], off
	s_waitcnt vmcnt(0)
	ds_write_b128 v41, v[1:4]
	v_add_co_u32_e32 v1, vcc, s24, v18
	v_mov_b32_e32 v2, s25
	v_addc_co_u32_e32 v2, vcc, v2, v19, vcc
	v_add_co_u32_e32 v1, vcc, v1, v51
	v_addc_co_u32_e32 v2, vcc, 0, v2, vcc
	global_load_dwordx4 v[1:4], v[1:2], off
	;; [unrolled: 8-line block ×3, first 2 shown]
	v_cmp_lt_i32_e32 vcc, v38, v33
	s_mul_hi_i32 s25, s6, s8
	s_mul_i32 s24, s6, s8
	s_lshl_b64 s[24:25], s[24:25], 2
	s_add_u32 s24, s12, s24
	s_addc_u32 s25, s13, s25
	s_waitcnt vmcnt(0)
	ds_write_b128 v43, v[1:4]
	s_waitcnt lgkmcnt(0)
	s_barrier
	ds_read_b128 v[77:80], v44
	ds_read_b128 v[81:84], v44 offset:4608
	ds_read_b128 v[85:88], v44 offset:9216
	;; [unrolled: 1-line block ×3, first 2 shown]
	ds_read_b128 v[9:12], v31
	ds_read_b128 v[5:8], v31 offset:128
	s_waitcnt lgkmcnt(1)
	;;#ASMSTART
	v_dot2_f32_f16 v76, v77, v9, v76
	;;#ASMEND
	;;#ASMSTART
	v_dot2_f32_f16 v76, v78, v10, v76
	;;#ASMEND
	;; [unrolled: 3-line block ×4, first 2 shown]
	s_waitcnt lgkmcnt(0)
	;;#ASMSTART
	v_dot2_f32_f16 v75, v77, v5, v75
	;;#ASMEND
	;;#ASMSTART
	v_dot2_f32_f16 v75, v78, v6, v75
	;;#ASMEND
	;;#ASMSTART
	v_dot2_f32_f16 v75, v79, v7, v75
	;;#ASMEND
	v_mov_b32_e32 v78, 0
	;;#ASMSTART
	v_dot2_f32_f16 v75, v80, v8, v75
	;;#ASMEND
	;;#ASMSTART
	v_dot2_f32_f16 v78, v81, v9, v78
	;;#ASMEND
	;;#ASMSTART
	v_dot2_f32_f16 v78, v82, v10, v78
	;;#ASMEND
	;;#ASMSTART
	v_dot2_f32_f16 v78, v83, v11, v78
	;;#ASMEND
	v_mov_b32_e32 v77, 0
	;;#ASMSTART
	v_dot2_f32_f16 v78, v84, v12, v78
	;;#ASMEND
	;;#ASMSTART
	v_dot2_f32_f16 v77, v81, v5, v77
	;;#ASMEND
	;;#ASMSTART
	v_dot2_f32_f16 v77, v82, v6, v77
	;;#ASMEND
	;;#ASMSTART
	v_dot2_f32_f16 v77, v83, v7, v77
	;;#ASMEND
	v_mov_b32_e32 v80, 0
	;;#ASMSTART
	v_dot2_f32_f16 v77, v84, v8, v77
	;;#ASMEND
	;;#ASMSTART
	v_dot2_f32_f16 v80, v85, v9, v80
	;;#ASMEND
	;;#ASMSTART
	v_dot2_f32_f16 v80, v86, v10, v80
	;;#ASMEND
	;;#ASMSTART
	v_dot2_f32_f16 v80, v87, v11, v80
	;;#ASMEND
	v_mov_b32_e32 v79, 0
	;;#ASMSTART
	v_dot2_f32_f16 v80, v88, v12, v80
	;;#ASMEND
	;;#ASMSTART
	v_dot2_f32_f16 v79, v85, v5, v79
	;;#ASMEND
	;;#ASMSTART
	v_dot2_f32_f16 v79, v86, v6, v79
	;;#ASMEND
	;;#ASMSTART
	v_dot2_f32_f16 v79, v87, v7, v79
	;;#ASMEND
	v_mov_b32_e32 v81, 0
	;;#ASMSTART
	v_dot2_f32_f16 v79, v88, v8, v79
	;;#ASMEND
	;;#ASMSTART
	v_dot2_f32_f16 v81, v1, v9, v81
	;;#ASMEND
	;;#ASMSTART
	v_dot2_f32_f16 v81, v2, v10, v81
	;;#ASMEND
	;;#ASMSTART
	v_dot2_f32_f16 v81, v3, v11, v81
	;;#ASMEND
	v_mov_b32_e32 v9, 0
	;;#ASMSTART
	v_dot2_f32_f16 v81, v4, v12, v81
	;;#ASMEND
	;;#ASMSTART
	v_dot2_f32_f16 v9, v1, v5, v9
	;;#ASMEND
	;;#ASMSTART
	v_dot2_f32_f16 v9, v2, v6, v9
	;;#ASMEND
	;; [unrolled: 3-line block ×4, first 2 shown]
	ds_read_b128 v[1:4], v44 offset:16
	ds_read_b128 v[5:8], v44 offset:4624
	;; [unrolled: 1-line block ×6, first 2 shown]
	s_waitcnt lgkmcnt(1)
	;;#ASMSTART
	v_dot2_f32_f16 v76, v1, v90, v76
	;;#ASMEND
	;;#ASMSTART
	v_dot2_f32_f16 v76, v2, v91, v76
	;;#ASMEND
	;; [unrolled: 3-line block ×4, first 2 shown]
	s_waitcnt lgkmcnt(0)
	;;#ASMSTART
	v_dot2_f32_f16 v75, v1, v94, v75
	;;#ASMEND
	;;#ASMSTART
	v_dot2_f32_f16 v75, v2, v95, v75
	;;#ASMEND
	;; [unrolled: 3-line block ×28, first 2 shown]
	ds_read_b128 v[1:4], v44 offset:32
	ds_read_b128 v[5:8], v44 offset:4640
	;; [unrolled: 1-line block ×6, first 2 shown]
	s_waitcnt lgkmcnt(1)
	;;#ASMSTART
	v_dot2_f32_f16 v76, v1, v90, v76
	;;#ASMEND
	;;#ASMSTART
	v_dot2_f32_f16 v76, v2, v91, v76
	;;#ASMEND
	;; [unrolled: 3-line block ×4, first 2 shown]
	s_waitcnt lgkmcnt(0)
	;;#ASMSTART
	v_dot2_f32_f16 v75, v1, v94, v75
	;;#ASMEND
	;;#ASMSTART
	v_dot2_f32_f16 v75, v2, v95, v75
	;;#ASMEND
	;; [unrolled: 3-line block ×28, first 2 shown]
	ds_read_b128 v[1:4], v44 offset:48
	ds_read_b128 v[5:8], v44 offset:4656
	ds_read_b128 v[82:85], v44 offset:9264
	ds_read_b128 v[86:89], v44 offset:13872
	ds_read_b128 v[90:93], v31 offset:48
	ds_read_b128 v[94:97], v31 offset:176
	s_waitcnt lgkmcnt(1)
	;;#ASMSTART
	v_dot2_f32_f16 v76, v1, v90, v76
	;;#ASMEND
	;;#ASMSTART
	v_dot2_f32_f16 v76, v2, v91, v76
	;;#ASMEND
	;; [unrolled: 3-line block ×4, first 2 shown]
	s_waitcnt lgkmcnt(0)
	;;#ASMSTART
	v_dot2_f32_f16 v75, v1, v94, v75
	;;#ASMEND
	;;#ASMSTART
	v_dot2_f32_f16 v75, v2, v95, v75
	;;#ASMEND
	;; [unrolled: 3-line block ×28, first 2 shown]
	ds_read_b128 v[1:4], v44 offset:64
	ds_read_b128 v[5:8], v44 offset:4672
	;; [unrolled: 1-line block ×6, first 2 shown]
	s_waitcnt lgkmcnt(1)
	;;#ASMSTART
	v_dot2_f32_f16 v76, v1, v90, v76
	;;#ASMEND
	;;#ASMSTART
	v_dot2_f32_f16 v76, v2, v91, v76
	;;#ASMEND
	;; [unrolled: 3-line block ×4, first 2 shown]
	s_waitcnt lgkmcnt(0)
	;;#ASMSTART
	v_dot2_f32_f16 v75, v1, v94, v75
	;;#ASMEND
	;;#ASMSTART
	v_dot2_f32_f16 v75, v2, v95, v75
	;;#ASMEND
	;; [unrolled: 3-line block ×28, first 2 shown]
	ds_read_b128 v[1:4], v44 offset:80
	ds_read_b128 v[5:8], v44 offset:4688
	;; [unrolled: 1-line block ×6, first 2 shown]
	s_waitcnt lgkmcnt(1)
	;;#ASMSTART
	v_dot2_f32_f16 v76, v1, v90, v76
	;;#ASMEND
	;;#ASMSTART
	v_dot2_f32_f16 v76, v2, v91, v76
	;;#ASMEND
	;; [unrolled: 3-line block ×4, first 2 shown]
	s_waitcnt lgkmcnt(0)
	;;#ASMSTART
	v_dot2_f32_f16 v75, v1, v94, v75
	;;#ASMEND
	;;#ASMSTART
	v_dot2_f32_f16 v75, v2, v95, v75
	;;#ASMEND
	;; [unrolled: 3-line block ×28, first 2 shown]
	ds_read_b128 v[1:4], v44 offset:96
	ds_read_b128 v[5:8], v44 offset:4704
	;; [unrolled: 1-line block ×6, first 2 shown]
	s_waitcnt lgkmcnt(1)
	;;#ASMSTART
	v_dot2_f32_f16 v76, v1, v90, v76
	;;#ASMEND
	;;#ASMSTART
	v_dot2_f32_f16 v76, v2, v91, v76
	;;#ASMEND
	;; [unrolled: 3-line block ×4, first 2 shown]
	s_waitcnt lgkmcnt(0)
	;;#ASMSTART
	v_dot2_f32_f16 v75, v1, v94, v75
	;;#ASMEND
	;;#ASMSTART
	v_dot2_f32_f16 v75, v2, v95, v75
	;;#ASMEND
	;; [unrolled: 3-line block ×28, first 2 shown]
	ds_read_b128 v[1:4], v44 offset:112
	ds_read_b128 v[5:8], v44 offset:4720
	;; [unrolled: 1-line block ×6, first 2 shown]
	s_waitcnt lgkmcnt(1)
	;;#ASMSTART
	v_dot2_f32_f16 v76, v1, v90, v76
	;;#ASMEND
	;;#ASMSTART
	v_dot2_f32_f16 v76, v2, v91, v76
	;;#ASMEND
	;; [unrolled: 3-line block ×4, first 2 shown]
	s_waitcnt lgkmcnt(0)
	;;#ASMSTART
	v_dot2_f32_f16 v75, v1, v94, v75
	;;#ASMEND
	;;#ASMSTART
	v_dot2_f32_f16 v75, v2, v95, v75
	;;#ASMEND
	;;#ASMSTART
	v_dot2_f32_f16 v75, v3, v96, v75
	;;#ASMEND
	;;#ASMSTART
	v_dot2_f32_f16 v75, v4, v97, v75
	;;#ASMEND
	;;#ASMSTART
	v_dot2_f32_f16 v78, v5, v90, v78
	;;#ASMEND
	;;#ASMSTART
	v_dot2_f32_f16 v78, v6, v91, v78
	;;#ASMEND
	;;#ASMSTART
	v_dot2_f32_f16 v78, v7, v92, v78
	;;#ASMEND
	;;#ASMSTART
	v_dot2_f32_f16 v78, v8, v93, v78
	;;#ASMEND
	;;#ASMSTART
	v_dot2_f32_f16 v77, v5, v94, v77
	;;#ASMEND
	;;#ASMSTART
	v_dot2_f32_f16 v77, v6, v95, v77
	;;#ASMEND
	;;#ASMSTART
	v_dot2_f32_f16 v77, v7, v96, v77
	;;#ASMEND
	;;#ASMSTART
	v_dot2_f32_f16 v77, v8, v97, v77
	;;#ASMEND
	;;#ASMSTART
	v_dot2_f32_f16 v80, v82, v90, v80
	;;#ASMEND
	;;#ASMSTART
	v_dot2_f32_f16 v80, v83, v91, v80
	;;#ASMEND
	;;#ASMSTART
	v_dot2_f32_f16 v80, v84, v92, v80
	;;#ASMEND
	v_cndmask_b32_e32 v2, v32, v38, vcc
	v_cmp_lt_i32_e32 vcc, v37, v33
	;;#ASMSTART
	v_dot2_f32_f16 v80, v85, v93, v80
	;;#ASMEND
	;;#ASMSTART
	v_dot2_f32_f16 v79, v82, v94, v79
	;;#ASMEND
	v_lshlrev_b32_e32 v3, 2, v2
	v_cndmask_b32_e32 v2, v32, v37, vcc
	v_cmp_lt_i32_e32 vcc, v36, v33
	;;#ASMSTART
	v_dot2_f32_f16 v79, v83, v95, v79
	;;#ASMEND
	v_lshlrev_b32_e32 v4, 2, v2
	v_cndmask_b32_e32 v2, v32, v36, vcc
	v_cmp_lt_i32_e32 vcc, v35, v33
	;; [unrolled: 6-line block ×3, first 2 shown]
	;;#ASMSTART
	v_dot2_f32_f16 v79, v85, v97, v79
	;;#ASMEND
	;;#ASMSTART
	v_dot2_f32_f16 v81, v86, v90, v81
	;;#ASMEND
	v_add_u32_e32 v1, s6, v13
	v_lshlrev_b32_e32 v7, 2, v2
	v_cndmask_b32_e32 v2, v32, v34, vcc
	;;#ASMSTART
	v_dot2_f32_f16 v81, v87, v91, v81
	;;#ASMEND
	v_lshlrev_b32_e32 v8, 2, v2
	v_ashrrev_i32_e32 v2, 31, v1
	;;#ASMSTART
	v_dot2_f32_f16 v81, v88, v92, v81
	;;#ASMEND
	v_lshlrev_b64 v[1:2], 1, v[1:2]
	;;#ASMSTART
	v_dot2_f32_f16 v81, v89, v93, v81
	;;#ASMEND
	;;#ASMSTART
	v_dot2_f32_f16 v9, v86, v94, v9
	;;#ASMEND
	;; [unrolled: 3-line block ×3, first 2 shown]
	v_add_co_u32_e32 v1, vcc, s34, v1
	;;#ASMSTART
	v_dot2_f32_f16 v9, v88, v96, v9
	;;#ASMEND
	v_addc_co_u32_e32 v2, vcc, v52, v2, vcc
	;;#ASMSTART
	v_dot2_f32_f16 v9, v89, v97, v9
	;;#ASMEND
	global_load_ushort v5, v[1:2], off
	global_load_ushort v12, v[1:2], off offset:64
	s_waitcnt vmcnt(1)
	v_cvt_f32_f16_e32 v10, v5
	s_waitcnt vmcnt(0)
	v_cvt_f32_f16_e32 v12, v12
	v_add_f32_e32 v11, v76, v10
	v_add_f32_e32 v76, v78, v12
	v_add_f32_e32 v5, 0x40051340, v11
	v_add_f32_e32 v78, 0x40051340, v76
	v_max3_f32 v5, v74, v5, v78
	global_load_ushort v78, v[1:2], off offset:128
	v_add_f32_e32 v10, v75, v10
	global_load_ushort v1, v[1:2], off offset:192
	v_add_f32_e32 v77, v77, v12
	v_add_f32_e32 v75, 0x40051340, v10
	;; [unrolled: 1-line block ×3, first 2 shown]
	v_max3_f32 v12, v72, v75, v12
	s_waitcnt vmcnt(0)
	s_barrier
	v_cvt_f32_f16_e32 v78, v78
	v_cvt_f32_f16_e32 v1, v1
	v_add_f32_e32 v80, v80, v78
	v_add_f32_e32 v82, 0x40051340, v80
	;; [unrolled: 1-line block ×6, first 2 shown]
	v_max3_f32 v5, v5, v82, v81
	v_add_f32_e32 v78, 0x40051340, v75
	v_add_f32_e32 v9, 0x40051340, v1
	ds_bpermute_b32 v81, v3, v5
	v_max3_f32 v9, v12, v78, v9
	ds_bpermute_b32 v3, v3, v9
	s_waitcnt lgkmcnt(1)
	v_max_f32_e32 v81, v81, v81
	v_max_f32_e32 v5, v5, v81
	s_waitcnt lgkmcnt(0)
	v_max_f32_e32 v3, v3, v3
	ds_bpermute_b32 v81, v4, v5
	v_max_f32_e32 v3, v9, v3
	ds_bpermute_b32 v4, v4, v3
	s_waitcnt lgkmcnt(1)
	v_max_f32_e32 v81, v81, v81
	v_max_f32_e32 v5, v5, v81
	s_waitcnt lgkmcnt(0)
	v_max_f32_e32 v4, v4, v4
	ds_bpermute_b32 v81, v6, v5
	v_max_f32_e32 v3, v3, v4
	;; [unrolled: 8-line block ×4, first 2 shown]
	ds_bpermute_b32 v4, v8, v3
	s_waitcnt lgkmcnt(1)
	v_max_f32_e32 v81, v81, v81
	v_max_f32_e32 v5, v5, v81
	s_waitcnt lgkmcnt(0)
	v_max_f32_e32 v4, v4, v4
	v_max_f32_e32 v6, v3, v4
	v_sub_f32_e32 v4, v11, v5
	v_mul_f32_e32 v7, 0x3fb8aa3b, v4
	v_fma_f32 v8, v4, s14, -v7
	v_rndne_f32_e32 v9, v7
	v_fmac_f32_e32 v8, 0x32a5705f, v4
	v_sub_f32_e32 v7, v7, v9
	v_add_f32_e32 v7, v7, v8
	v_exp_f32_e32 v7, v7
	v_cvt_i32_f32_e32 v8, v9
	v_cmp_ngt_f32_e32 vcc, s15, v4
	v_sub_f32_e32 v3, v74, v5
	v_sub_f32_e32 v2, v2, v5
	v_ldexp_f32 v7, v7, v8
	v_sub_f32_e32 v8, v76, v5
	v_mul_f32_e32 v9, 0x3fb8aa3b, v8
	v_fma_f32 v11, v8, s14, -v9
	v_rndne_f32_e32 v12, v9
	v_fmac_f32_e32 v11, 0x32a5705f, v8
	v_sub_f32_e32 v9, v9, v12
	v_add_f32_e32 v9, v9, v11
	v_exp_f32_e32 v9, v9
	v_cvt_i32_f32_e32 v11, v12
	v_cndmask_b32_e32 v7, 0, v7, vcc
	v_cmp_nlt_f32_e32 vcc, s18, v4
	v_cndmask_b32_e32 v4, v53, v7, vcc
	v_ldexp_f32 v9, v9, v11
	v_cmp_ngt_f32_e32 vcc, s15, v8
	v_cndmask_b32_e32 v9, 0, v9, vcc
	v_cmp_nlt_f32_e32 vcc, s18, v8
	v_cndmask_b32_e32 v8, v53, v9, vcc
	v_sub_f32_e32 v9, v80, v5
	v_mul_f32_e32 v11, 0x3fb8aa3b, v9
	v_fma_f32 v12, v9, s14, -v11
	v_rndne_f32_e32 v74, v11
	v_fmac_f32_e32 v12, 0x32a5705f, v9
	v_sub_f32_e32 v11, v11, v74
	v_add_f32_e32 v11, v11, v12
	v_exp_f32_e32 v11, v11
	v_cvt_i32_f32_e32 v12, v74
	v_cmp_ngt_f32_e32 vcc, s15, v9
	v_cvt_f16_f32_e32 v7, v4
	v_add_f32_e32 v4, v4, v8
	v_ldexp_f32 v11, v11, v12
	v_cndmask_b32_e32 v11, 0, v11, vcc
	v_cmp_nlt_f32_e32 vcc, s18, v9
	v_cndmask_b32_e32 v9, v53, v11, vcc
	v_mul_f32_e32 v11, 0x3fb8aa3b, v2
	v_fma_f32 v12, v2, s14, -v11
	v_rndne_f32_e32 v74, v11
	v_fmac_f32_e32 v12, 0x32a5705f, v2
	v_sub_f32_e32 v11, v11, v74
	v_add_f32_e32 v11, v11, v12
	v_exp_f32_e32 v11, v11
	v_cvt_i32_f32_e32 v12, v74
	v_cmp_ngt_f32_e32 vcc, s15, v2
	v_add_f32_e32 v4, v9, v4
	v_sub_f32_e32 v1, v1, v6
	v_ldexp_f32 v11, v11, v12
	v_cndmask_b32_e32 v11, 0, v11, vcc
	v_cmp_nlt_f32_e32 vcc, s18, v2
	v_cndmask_b32_e32 v2, v53, v11, vcc
	v_add_f32_e32 v11, v2, v4
	v_mul_f32_e32 v4, 0x3fb8aa3b, v3
	v_fma_f32 v12, v3, s14, -v4
	v_rndne_f32_e32 v74, v4
	v_fmac_f32_e32 v12, 0x32a5705f, v3
	v_sub_f32_e32 v4, v4, v74
	v_add_f32_e32 v4, v4, v12
	v_exp_f32_e32 v4, v4
	v_cvt_i32_f32_e32 v12, v74
	v_cmp_ngt_f32_e32 vcc, s15, v3
	v_cvt_f16_f32_e32 v8, v8
	v_cvt_f16_f32_e32 v9, v9
	v_ldexp_f32 v4, v4, v12
	v_cndmask_b32_e32 v4, 0, v4, vcc
	v_cmp_nlt_f32_e32 vcc, s18, v3
	v_cndmask_b32_e32 v3, v53, v4, vcc
	v_fmac_f32_e32 v11, v73, v3
	v_cvt_f16_f32_e32 v3, v3
	v_sub_f32_e32 v4, v10, v6
	v_mul_f32_e32 v10, 0x3fb8aa3b, v4
	v_rndne_f32_e32 v73, v10
	v_mul_u32_u24_e32 v12, 0x10001, v3
	v_sub_f32_e32 v3, v72, v6
	v_fma_f32 v72, v4, s14, -v10
	v_fmac_f32_e32 v72, 0x32a5705f, v4
	v_sub_f32_e32 v10, v10, v73
	v_add_f32_e32 v10, v10, v72
	v_exp_f32_e32 v10, v10
	v_cvt_i32_f32_e32 v72, v73
	v_cmp_ngt_f32_e32 vcc, s15, v4
	v_cvt_f16_f32_e32 v2, v2
	v_ldexp_f32 v10, v10, v72
	v_sub_f32_e32 v72, v77, v6
	v_mul_f32_e32 v73, 0x3fb8aa3b, v72
	v_fma_f32 v74, v72, s14, -v73
	v_rndne_f32_e32 v76, v73
	v_fmac_f32_e32 v74, 0x32a5705f, v72
	v_sub_f32_e32 v73, v73, v76
	v_add_f32_e32 v73, v73, v74
	v_exp_f32_e32 v73, v73
	v_cvt_i32_f32_e32 v74, v76
	v_cndmask_b32_e32 v10, 0, v10, vcc
	v_cmp_nlt_f32_e32 vcc, s18, v4
	v_cndmask_b32_e32 v4, v53, v10, vcc
	v_ldexp_f32 v73, v73, v74
	v_cmp_ngt_f32_e32 vcc, s15, v72
	v_cndmask_b32_e32 v73, 0, v73, vcc
	v_cmp_nlt_f32_e32 vcc, s18, v72
	v_cndmask_b32_e32 v72, v53, v73, vcc
	v_cvt_f16_f32_e32 v10, v4
	v_add_f32_e32 v4, v4, v72
	v_cvt_f16_f32_e32 v73, v72
	v_sub_f32_e32 v72, v75, v6
	v_mul_f32_e32 v74, 0x3fb8aa3b, v72
	v_fma_f32 v75, v72, s14, -v74
	v_rndne_f32_e32 v76, v74
	v_fmac_f32_e32 v75, 0x32a5705f, v72
	v_sub_f32_e32 v74, v74, v76
	v_add_f32_e32 v74, v74, v75
	v_exp_f32_e32 v74, v74
	v_cvt_i32_f32_e32 v75, v76
	v_cmp_ngt_f32_e32 vcc, s15, v72
	v_ldexp_f32 v74, v74, v75
	v_cndmask_b32_e32 v74, 0, v74, vcc
	v_cmp_nlt_f32_e32 vcc, s18, v72
	v_cndmask_b32_e32 v72, v53, v74, vcc
	v_add_f32_e32 v4, v72, v4
	v_cvt_f16_f32_e32 v74, v72
	v_mul_f32_e32 v72, 0x3fb8aa3b, v1
	v_fma_f32 v75, v1, s14, -v72
	v_rndne_f32_e32 v76, v72
	v_fmac_f32_e32 v75, 0x32a5705f, v1
	v_sub_f32_e32 v72, v72, v76
	v_add_f32_e32 v72, v72, v75
	v_exp_f32_e32 v72, v72
	v_cvt_i32_f32_e32 v75, v76
	v_cmp_ngt_f32_e32 vcc, s15, v1
	v_ldexp_f32 v72, v72, v75
	v_cndmask_b32_e32 v72, 0, v72, vcc
	v_cmp_nlt_f32_e32 vcc, s18, v1
	v_cndmask_b32_e32 v1, v53, v72, vcc
	v_mul_f32_e32 v72, 0x3fb8aa3b, v3
	v_fma_f32 v75, v3, s14, -v72
	v_rndne_f32_e32 v76, v72
	v_fmac_f32_e32 v75, 0x32a5705f, v3
	v_sub_f32_e32 v72, v72, v76
	v_add_f32_e32 v72, v72, v75
	v_exp_f32_e32 v72, v72
	v_cvt_i32_f32_e32 v75, v76
	v_cmp_ngt_f32_e32 vcc, s15, v3
	v_add_f32_e32 v4, v1, v4
	v_cvt_f16_f32_e32 v1, v1
	v_ldexp_f32 v72, v72, v75
	v_cndmask_b32_e32 v72, 0, v72, vcc
	v_cmp_nlt_f32_e32 vcc, s18, v3
	v_cndmask_b32_e32 v3, v53, v72, vcc
	v_mov_b32_e32 v72, v45
	v_mov_b32_e32 v45, v4
	v_fmac_f32_e32 v45, v72, v3
	v_cvt_f16_f32_e32 v3, v3
	v_pack_b32_f16 v4, v8, v73
	v_pack_b32_f16 v1, v2, v1
	v_mov_b32_e32 v2, s25
	v_mul_u32_u24_e32 v72, 0x10001, v3
	v_pack_b32_f16 v3, v7, v10
	ds_write2_b32 v54, v3, v4 offset1:32
	v_pack_b32_f16 v3, v9, v74
	ds_write2_b32 v54, v3, v1 offset0:64 offset1:96
	v_add_co_u32_e32 v1, vcc, s24, v22
	v_addc_co_u32_e32 v2, vcc, v2, v23, vcc
	v_add_co_u32_e32 v1, vcc, v1, v51
	v_addc_co_u32_e32 v2, vcc, 0, v2, vcc
	v_add_co_u32_e32 v3, vcc, s24, v24
	v_mov_b32_e32 v4, s25
	v_addc_co_u32_e32 v4, vcc, v4, v25, vcc
	v_add_co_u32_e32 v3, vcc, v3, v51
	v_addc_co_u32_e32 v4, vcc, 0, v4, vcc
	global_load_dwordx4 v[73:76], v[1:2], off
	v_add_co_u32_e32 v7, vcc, s24, v26
	global_load_dwordx4 v[1:4], v[3:4], off
	v_mov_b32_e32 v8, s25
	v_addc_co_u32_e32 v8, vcc, v8, v27, vcc
	v_add_co_u32_e32 v7, vcc, v7, v51
	v_addc_co_u32_e32 v8, vcc, 0, v8, vcc
	v_add_co_u32_e32 v9, vcc, s24, v28
	v_mov_b32_e32 v10, s25
	v_addc_co_u32_e32 v10, vcc, v10, v29, vcc
	v_add_co_u32_e32 v9, vcc, v9, v51
	v_addc_co_u32_e32 v10, vcc, 0, v10, vcc
	s_waitcnt vmcnt(1)
	ds_write_b128 v47, v[73:76]
	s_waitcnt vmcnt(0)
	ds_write_b128 v48, v[1:4]
	global_load_dwordx4 v[1:4], v[7:8], off
	s_waitcnt vmcnt(0)
	ds_write_b128 v49, v[1:4]
	global_load_dwordx4 v[1:4], v[9:10], off
	s_waitcnt vmcnt(0)
	ds_write_b128 v50, v[1:4]
	s_waitcnt lgkmcnt(0)
	s_barrier
	ds_read2_b32 v[7:8], v39 offset1:32
	ds_read_b128 v[1:4], v46
	s_waitcnt lgkmcnt(0)
	v_mul_u32_u24_sdwa v9, v1, s19 dst_sel:DWORD dst_unused:UNUSED_PAD src0_sel:WORD_0 src1_sel:DWORD
	v_mul_u32_u24_sdwa v1, v1, s19 dst_sel:DWORD dst_unused:UNUSED_PAD src0_sel:WORD_1 src1_sel:DWORD
	v_pk_mul_f16 v9, v7, v9
	v_pk_mul_f16 v1, v7, v1
	v_pk_fma_f16 v9, v71, v12, v9
	v_pk_fma_f16 v1, v70, v72, v1
	v_mul_u32_u24_sdwa v7, v2, s19 dst_sel:DWORD dst_unused:UNUSED_PAD src0_sel:WORD_0 src1_sel:DWORD
	v_mul_u32_u24_sdwa v2, v2, s19 dst_sel:DWORD dst_unused:UNUSED_PAD src0_sel:WORD_1 src1_sel:DWORD
	v_pk_fma_f16 v7, v8, v7, v9
	v_pk_fma_f16 v8, v8, v2, v1
	ds_read2_b32 v[1:2], v39 offset0:64 offset1:96
	v_mul_u32_u24_sdwa v9, v3, s19 dst_sel:DWORD dst_unused:UNUSED_PAD src0_sel:WORD_0 src1_sel:DWORD
	v_mul_u32_u24_sdwa v3, v3, s19 dst_sel:DWORD dst_unused:UNUSED_PAD src0_sel:WORD_1 src1_sel:DWORD
	s_waitcnt lgkmcnt(0)
	v_pk_fma_f16 v7, v1, v9, v7
	v_pk_fma_f16 v1, v1, v3, v8
	v_mul_u32_u24_sdwa v3, v4, s19 dst_sel:DWORD dst_unused:UNUSED_PAD src0_sel:WORD_0 src1_sel:DWORD
	v_mul_u32_u24_sdwa v4, v4, s19 dst_sel:DWORD dst_unused:UNUSED_PAD src0_sel:WORD_1 src1_sel:DWORD
	v_pk_fma_f16 v9, v2, v3, v7
	v_pk_fma_f16 v10, v2, v4, v1
	ds_read2_b32 v[7:8], v39 offset0:128 offset1:160
	ds_read_b128 v[1:4], v46 offset:16
	s_waitcnt lgkmcnt(0)
	v_mul_u32_u24_sdwa v12, v1, s19 dst_sel:DWORD dst_unused:UNUSED_PAD src0_sel:WORD_0 src1_sel:DWORD
	v_mul_u32_u24_sdwa v1, v1, s19 dst_sel:DWORD dst_unused:UNUSED_PAD src0_sel:WORD_1 src1_sel:DWORD
	v_pk_fma_f16 v9, v7, v12, v9
	v_pk_fma_f16 v1, v7, v1, v10
	v_mul_u32_u24_sdwa v7, v2, s19 dst_sel:DWORD dst_unused:UNUSED_PAD src0_sel:WORD_0 src1_sel:DWORD
	v_mul_u32_u24_sdwa v2, v2, s19 dst_sel:DWORD dst_unused:UNUSED_PAD src0_sel:WORD_1 src1_sel:DWORD
	v_pk_fma_f16 v7, v8, v7, v9
	v_pk_fma_f16 v8, v8, v2, v1
	ds_read2_b32 v[1:2], v39 offset0:192 offset1:224
	v_mul_u32_u24_sdwa v9, v3, s19 dst_sel:DWORD dst_unused:UNUSED_PAD src0_sel:WORD_0 src1_sel:DWORD
	v_mul_u32_u24_sdwa v3, v3, s19 dst_sel:DWORD dst_unused:UNUSED_PAD src0_sel:WORD_1 src1_sel:DWORD
	s_waitcnt lgkmcnt(0)
	v_pk_fma_f16 v7, v1, v9, v7
	v_pk_fma_f16 v1, v1, v3, v8
	v_mul_u32_u24_sdwa v3, v4, s19 dst_sel:DWORD dst_unused:UNUSED_PAD src0_sel:WORD_0 src1_sel:DWORD
	v_mul_u32_u24_sdwa v4, v4, s19 dst_sel:DWORD dst_unused:UNUSED_PAD src0_sel:WORD_1 src1_sel:DWORD
	v_pk_fma_f16 v9, v2, v3, v7
	v_pk_fma_f16 v10, v2, v4, v1
	ds_read2_b32 v[7:8], v55 offset1:32
	ds_read_b128 v[1:4], v46 offset:32
	s_waitcnt lgkmcnt(0)
	v_mul_u32_u24_sdwa v12, v1, s19 dst_sel:DWORD dst_unused:UNUSED_PAD src0_sel:WORD_0 src1_sel:DWORD
	v_mul_u32_u24_sdwa v1, v1, s19 dst_sel:DWORD dst_unused:UNUSED_PAD src0_sel:WORD_1 src1_sel:DWORD
	v_pk_fma_f16 v9, v7, v12, v9
	v_pk_fma_f16 v1, v7, v1, v10
	v_mul_u32_u24_sdwa v7, v2, s19 dst_sel:DWORD dst_unused:UNUSED_PAD src0_sel:WORD_0 src1_sel:DWORD
	v_mul_u32_u24_sdwa v2, v2, s19 dst_sel:DWORD dst_unused:UNUSED_PAD src0_sel:WORD_1 src1_sel:DWORD
	v_pk_fma_f16 v7, v8, v7, v9
	v_pk_fma_f16 v8, v8, v2, v1
	ds_read2_b32 v[1:2], v55 offset0:64 offset1:96
	v_mul_u32_u24_sdwa v9, v3, s19 dst_sel:DWORD dst_unused:UNUSED_PAD src0_sel:WORD_0 src1_sel:DWORD
	v_mul_u32_u24_sdwa v3, v3, s19 dst_sel:DWORD dst_unused:UNUSED_PAD src0_sel:WORD_1 src1_sel:DWORD
	s_waitcnt lgkmcnt(0)
	v_pk_fma_f16 v7, v1, v9, v7
	v_pk_fma_f16 v1, v1, v3, v8
	v_mul_u32_u24_sdwa v3, v4, s19 dst_sel:DWORD dst_unused:UNUSED_PAD src0_sel:WORD_0 src1_sel:DWORD
	v_mul_u32_u24_sdwa v4, v4, s19 dst_sel:DWORD dst_unused:UNUSED_PAD src0_sel:WORD_1 src1_sel:DWORD
	v_pk_fma_f16 v9, v2, v3, v7
	v_pk_fma_f16 v10, v2, v4, v1
	ds_read2_b32 v[7:8], v55 offset0:128 offset1:160
	ds_read_b128 v[1:4], v46 offset:48
	s_waitcnt lgkmcnt(0)
	v_mul_u32_u24_sdwa v12, v1, s19 dst_sel:DWORD dst_unused:UNUSED_PAD src0_sel:WORD_0 src1_sel:DWORD
	v_mul_u32_u24_sdwa v1, v1, s19 dst_sel:DWORD dst_unused:UNUSED_PAD src0_sel:WORD_1 src1_sel:DWORD
	v_pk_fma_f16 v9, v7, v12, v9
	v_pk_fma_f16 v1, v7, v1, v10
	v_mul_u32_u24_sdwa v7, v2, s19 dst_sel:DWORD dst_unused:UNUSED_PAD src0_sel:WORD_0 src1_sel:DWORD
	v_mul_u32_u24_sdwa v2, v2, s19 dst_sel:DWORD dst_unused:UNUSED_PAD src0_sel:WORD_1 src1_sel:DWORD
	v_pk_fma_f16 v7, v8, v7, v9
	v_pk_fma_f16 v8, v8, v2, v1
	ds_read2_b32 v[1:2], v55 offset0:192 offset1:224
	v_mul_u32_u24_sdwa v9, v3, s19 dst_sel:DWORD dst_unused:UNUSED_PAD src0_sel:WORD_0 src1_sel:DWORD
	v_mul_u32_u24_sdwa v3, v3, s19 dst_sel:DWORD dst_unused:UNUSED_PAD src0_sel:WORD_1 src1_sel:DWORD
	s_waitcnt lgkmcnt(0)
	v_pk_fma_f16 v7, v1, v9, v7
	v_pk_fma_f16 v1, v1, v3, v8
	v_mul_u32_u24_sdwa v3, v4, s19 dst_sel:DWORD dst_unused:UNUSED_PAD src0_sel:WORD_0 src1_sel:DWORD
	v_mul_u32_u24_sdwa v4, v4, s19 dst_sel:DWORD dst_unused:UNUSED_PAD src0_sel:WORD_1 src1_sel:DWORD
	v_pk_fma_f16 v9, v2, v3, v7
	v_pk_fma_f16 v10, v2, v4, v1
	ds_read2_b32 v[7:8], v56 offset1:32
	ds_read_b128 v[1:4], v46 offset:64
	s_waitcnt lgkmcnt(0)
	v_mul_u32_u24_sdwa v12, v1, s19 dst_sel:DWORD dst_unused:UNUSED_PAD src0_sel:WORD_0 src1_sel:DWORD
	v_mul_u32_u24_sdwa v1, v1, s19 dst_sel:DWORD dst_unused:UNUSED_PAD src0_sel:WORD_1 src1_sel:DWORD
	;; [unrolled: 42-line block ×15, first 2 shown]
	v_pk_fma_f16 v9, v7, v12, v9
	v_pk_fma_f16 v1, v7, v1, v10
	v_mul_u32_u24_sdwa v7, v2, s19 dst_sel:DWORD dst_unused:UNUSED_PAD src0_sel:WORD_0 src1_sel:DWORD
	v_mul_u32_u24_sdwa v2, v2, s19 dst_sel:DWORD dst_unused:UNUSED_PAD src0_sel:WORD_1 src1_sel:DWORD
	v_pk_fma_f16 v7, v8, v7, v9
	v_pk_fma_f16 v8, v8, v2, v1
	ds_read2_b32 v[1:2], v69 offset0:64 offset1:96
	v_mul_u32_u24_sdwa v9, v3, s19 dst_sel:DWORD dst_unused:UNUSED_PAD src0_sel:WORD_0 src1_sel:DWORD
	v_mul_u32_u24_sdwa v3, v3, s19 dst_sel:DWORD dst_unused:UNUSED_PAD src0_sel:WORD_1 src1_sel:DWORD
	s_waitcnt lgkmcnt(0)
	v_pk_fma_f16 v7, v1, v9, v7
	v_pk_fma_f16 v1, v1, v3, v8
	v_mul_u32_u24_sdwa v3, v4, s19 dst_sel:DWORD dst_unused:UNUSED_PAD src0_sel:WORD_0 src1_sel:DWORD
	v_mul_u32_u24_sdwa v4, v4, s19 dst_sel:DWORD dst_unused:UNUSED_PAD src0_sel:WORD_1 src1_sel:DWORD
	v_pk_fma_f16 v9, v2, v3, v7
	v_pk_fma_f16 v10, v2, v4, v1
	ds_read2_b32 v[7:8], v69 offset0:128 offset1:160
	ds_read_b128 v[1:4], v46 offset:496
	s_waitcnt lgkmcnt(0)
	v_mul_u32_u24_sdwa v12, v1, s19 dst_sel:DWORD dst_unused:UNUSED_PAD src0_sel:WORD_0 src1_sel:DWORD
	v_mul_u32_u24_sdwa v1, v1, s19 dst_sel:DWORD dst_unused:UNUSED_PAD src0_sel:WORD_1 src1_sel:DWORD
	v_pk_fma_f16 v9, v7, v12, v9
	v_pk_fma_f16 v1, v7, v1, v10
	v_mul_u32_u24_sdwa v7, v2, s19 dst_sel:DWORD dst_unused:UNUSED_PAD src0_sel:WORD_0 src1_sel:DWORD
	v_mul_u32_u24_sdwa v2, v2, s19 dst_sel:DWORD dst_unused:UNUSED_PAD src0_sel:WORD_1 src1_sel:DWORD
	v_pk_fma_f16 v7, v8, v7, v9
	v_pk_fma_f16 v8, v8, v2, v1
	ds_read2_b32 v[1:2], v69 offset0:192 offset1:224
	s_waitcnt lgkmcnt(0)
	s_barrier
	s_load_dword s24, s[0:1], 0x4
	v_mul_u32_u24_sdwa v9, v3, s19 dst_sel:DWORD dst_unused:UNUSED_PAD src0_sel:WORD_0 src1_sel:DWORD
	v_mul_u32_u24_sdwa v3, v3, s19 dst_sel:DWORD dst_unused:UNUSED_PAD src0_sel:WORD_1 src1_sel:DWORD
	v_pk_fma_f16 v7, v1, v9, v7
	v_pk_fma_f16 v1, v1, v3, v8
	s_waitcnt lgkmcnt(0)
	s_lshl_b32 s24, s24, 7
	v_mul_u32_u24_sdwa v3, v4, s19 dst_sel:DWORD dst_unused:UNUSED_PAD src0_sel:WORD_0 src1_sel:DWORD
	v_mul_u32_u24_sdwa v4, v4, s19 dst_sel:DWORD dst_unused:UNUSED_PAD src0_sel:WORD_1 src1_sel:DWORD
	s_add_i32 s6, s24, s6
	v_pk_fma_f16 v71, v2, v3, v7
	v_pk_fma_f16 v70, v2, v4, v1
	s_cmp_ge_i32 s6, s30
	s_cbranch_scc0 .LBB40_9
.LBB40_10:
	v_cmp_lt_i32_e32 vcc, v38, v33
	v_cndmask_b32_e32 v1, v32, v38, vcc
	v_lshlrev_b32_e32 v1, 2, v1
	ds_bpermute_b32 v2, v1, v11
	ds_bpermute_b32 v1, v1, v45
	v_cmp_lt_i32_e32 vcc, v37, v33
	v_cndmask_b32_e32 v3, v32, v37, vcc
	v_lshlrev_b32_e32 v3, 2, v3
	s_waitcnt lgkmcnt(1)
	v_add_f32_e32 v2, v11, v2
	s_waitcnt lgkmcnt(0)
	v_add_f32_e32 v1, v45, v1
	ds_bpermute_b32 v4, v3, v2
	ds_bpermute_b32 v3, v3, v1
	v_cmp_lt_i32_e32 vcc, v36, v33
	v_cndmask_b32_e32 v8, v32, v36, vcc
	v_lshlrev_b32_e32 v8, 2, v8
	s_waitcnt lgkmcnt(1)
	v_add_f32_e32 v2, v2, v4
	s_waitcnt lgkmcnt(0)
	v_add_f32_e32 v1, v1, v3
	;; [unrolled: 9-line block ×4, first 2 shown]
	ds_bpermute_b32 v4, v8, v2
	ds_bpermute_b32 v8, v8, v3
	s_cmp_lg_u64 s[16:17], 0
	s_cselect_b64 s[0:1], -1, 0
	s_cmp_eq_u32 s7, 0
	s_cselect_b64 s[8:9], -1, 0
	s_and_b64 s[0:1], s[8:9], s[0:1]
	v_lshlrev_b32_e32 v7, 1, v0
	s_waitcnt lgkmcnt(1)
	v_add_f32_e32 v1, v2, v4
	s_waitcnt lgkmcnt(0)
	v_add_f32_e32 v2, v3, v8
	s_and_b64 vcc, exec, s[0:1]
	s_cbranch_vccz .LBB40_13
; %bb.11:
	s_ashr_i32 s29, s28, 31
	s_lshl_b64 s[0:1], s[28:29], 2
	s_add_u32 s0, s16, s0
	s_addc_u32 s1, s17, s1
	v_mov_b32_e32 v3, 0
	global_load_dwordx2 v[3:4], v3, s[0:1]
	v_max_f32_e32 v8, v5, v5
	v_max_f32_e32 v9, v6, v6
	s_mov_b32 s0, 0x3fb8aa3b
	s_mov_b32 s1, 0xc2ce8ed0
	;; [unrolled: 1-line block ×3, first 2 shown]
	v_mov_b32_e32 v10, 0x7f800000
	s_waitcnt vmcnt(0)
	v_max_f32_e32 v11, v3, v3
	v_max_f32_e32 v12, v4, v4
	;; [unrolled: 1-line block ×4, first 2 shown]
	v_sub_f32_e32 v11, v5, v8
	v_sub_f32_e32 v12, v6, v9
	v_mov_b32_e32 v5, v8
	v_sub_f32_e32 v3, v3, v8
	v_mov_b32_e32 v6, v9
	v_mul_f32_e32 v8, 0x3fb8aa3b, v11
	v_sub_f32_e32 v4, v4, v9
	v_mul_f32_e32 v9, 0x3fb8aa3b, v3
	v_fma_f32 v15, v11, s0, -v8
	v_rndne_f32_e32 v16, v8
	v_mul_f32_e32 v13, 0x3fb8aa3b, v12
	v_fma_f32 v17, v3, s0, -v9
	v_rndne_f32_e32 v18, v9
	v_fmac_f32_e32 v15, 0x32a5705f, v11
	v_sub_f32_e32 v8, v8, v16
	v_mul_f32_e32 v14, 0x3fb8aa3b, v4
	v_fma_f32 v19, v12, s0, -v13
	v_rndne_f32_e32 v20, v13
	v_fmac_f32_e32 v17, 0x32a5705f, v3
	v_sub_f32_e32 v9, v9, v18
	v_add_f32_e32 v8, v8, v15
	v_fma_f32 v21, v4, s0, -v14
	v_rndne_f32_e32 v22, v14
	v_cvt_i32_f32_e32 v16, v16
	v_fmac_f32_e32 v19, 0x32a5705f, v12
	v_sub_f32_e32 v13, v13, v20
	v_add_f32_e32 v9, v9, v17
	v_exp_f32_e32 v8, v8
	v_cvt_i32_f32_e32 v18, v18
	v_fmac_f32_e32 v21, 0x32a5705f, v4
	v_sub_f32_e32 v14, v14, v22
	v_add_f32_e32 v13, v13, v19
	v_exp_f32_e32 v9, v9
	v_cvt_i32_f32_e32 v20, v20
	v_add_f32_e32 v14, v14, v21
	v_exp_f32_e32 v13, v13
	v_cvt_i32_f32_e32 v22, v22
	v_exp_f32_e32 v14, v14
	v_ldexp_f32 v8, v8, v16
	v_cmp_ngt_f32_e32 vcc, s1, v11
	v_ldexp_f32 v9, v9, v18
	v_cndmask_b32_e32 v8, 0, v8, vcc
	v_cmp_ngt_f32_e32 vcc, s1, v3
	v_ldexp_f32 v13, v13, v20
	v_cndmask_b32_e32 v9, 0, v9, vcc
	;; [unrolled: 3-line block ×3, first 2 shown]
	v_cmp_ngt_f32_e32 vcc, s1, v4
	v_cndmask_b32_e32 v14, 0, v14, vcc
	v_cmp_nlt_f32_e32 vcc, s6, v11
	v_cndmask_b32_e32 v8, v10, v8, vcc
	v_cmp_nlt_f32_e32 vcc, s6, v3
	;; [unrolled: 2-line block ×4, first 2 shown]
	v_cndmask_b32_e32 v4, v10, v14, vcc
	v_fmac_f32_e32 v3, v1, v8
	v_cvt_f16_f32_e32 v8, v8
	v_cvt_f16_f32_e32 v10, v9
	v_fmac_f32_e32 v4, v2, v9
	v_mov_b32_e32 v1, v3
	v_mul_u32_u24_e32 v2, 0x10001, v8
	v_mul_u32_u24_e32 v8, 0x10001, v10
	v_pk_mul_f16 v71, v71, v2
	v_pk_mul_f16 v70, v70, v8
	v_mov_b32_e32 v2, v4
	v_cmp_gt_i32_e32 vcc, s2, v30
	s_and_saveexec_b64 s[0:1], vcc
	s_cbranch_execnz .LBB40_14
.LBB40_12:
	s_endpgm
.LBB40_13:
	v_mov_b32_e32 v4, v2
	v_mov_b32_e32 v3, v1
	v_cmp_gt_i32_e32 vcc, s2, v30
	s_and_saveexec_b64 s[0:1], vcc
	s_cbranch_execz .LBB40_12
.LBB40_14:
	s_load_dword s6, s[4:5], 0xd4
	v_mov_b32_e32 v8, 1.0
	s_waitcnt lgkmcnt(0)
	s_cmp_lg_u32 s6, 1
	s_cselect_b64 s[0:1], -1, 0
	s_cmp_eq_u32 s6, 1
	s_cselect_b64 s[4:5], -1, 0
	s_and_b64 vcc, exec, s[0:1]
	s_cbranch_vccnz .LBB40_16
; %bb.15:
	v_div_scale_f32 v8, s[8:9], v1, v1, 1.0
	v_div_scale_f32 v9, vcc, 1.0, v1, 1.0
	v_rcp_f32_e32 v10, v8
	v_fma_f32 v11, -v8, v10, 1.0
	v_fmac_f32_e32 v10, v11, v10
	v_mul_f32_e32 v11, v9, v10
	v_fma_f32 v12, -v8, v11, v9
	v_fmac_f32_e32 v11, v12, v10
	v_fma_f32 v8, -v8, v11, v9
	v_div_fmas_f32 v8, v8, v10, v11
	v_div_fixup_f32 v8, v8, v1, 1.0
.LBB40_16:
	s_mul_i32 s33, s33, s2
	v_add_u32_e32 v1, s33, v30
	v_mul_lo_u32 v1, v1, s3
	v_cmp_eq_u32_e32 vcc, 0, v0
	v_cvt_f32_f16_e32 v0, v71
	v_cvt_f32_f16_sdwa v10, v71 dst_sel:DWORD dst_unused:UNUSED_PAD src0_sel:WORD_1
	v_add_u32_e32 v1, s28, v1
	v_mul_lo_u32 v1, s6, v1
	v_mul_f32_e32 v9, v8, v0
	v_mov_b32_e32 v12, 0
	s_and_b64 s[0:1], vcc, s[0:1]
	v_add_u32_e32 v0, s7, v1
	v_lshl_add_u32 v11, v0, 6, v7
	v_lshlrev_b64 v[11:12], 2, v[11:12]
	v_mov_b32_e32 v1, s21
	v_add_co_u32_e32 v11, vcc, s20, v11
	v_mul_f32_e32 v10, v8, v10
	v_addc_co_u32_e32 v12, vcc, v1, v12, vcc
	global_store_dwordx2 v[11:12], v[9:10], off
	s_and_saveexec_b64 s[2:3], s[0:1]
	s_cbranch_execz .LBB40_18
; %bb.17:
	v_ashrrev_i32_e32 v1, 31, v0
	v_lshlrev_b64 v[8:9], 3, v[0:1]
	v_mov_b32_e32 v1, s23
	v_add_co_u32_e32 v8, vcc, s22, v8
	v_addc_co_u32_e32 v9, vcc, v1, v9, vcc
	v_mov_b32_e32 v10, v5
	v_mov_b32_e32 v11, v3
	global_store_dwordx2 v[8:9], v[10:11], off
.LBB40_18:
	s_or_b64 exec, exec, s[2:3]
	s_andn2_b64 vcc, exec, s[4:5]
	v_mov_b32_e32 v1, 1.0
	s_cbranch_vccnz .LBB40_20
; %bb.19:
	v_div_scale_f32 v1, s[2:3], v2, v2, 1.0
	v_div_scale_f32 v3, vcc, 1.0, v2, 1.0
	v_rcp_f32_e32 v5, v1
	v_fma_f32 v8, -v1, v5, 1.0
	v_fmac_f32_e32 v5, v8, v5
	v_mul_f32_e32 v8, v3, v5
	v_fma_f32 v9, -v1, v8, v3
	v_fmac_f32_e32 v8, v9, v5
	v_fma_f32 v1, -v1, v8, v3
	v_div_fmas_f32 v1, v1, v5, v8
	v_div_fixup_f32 v1, v1, v2, 1.0
.LBB40_20:
	v_cvt_f32_f16_e32 v2, v70
	v_cvt_f32_f16_sdwa v3, v70 dst_sel:DWORD dst_unused:UNUSED_PAD src0_sel:WORD_1
	v_add_u32_e32 v0, s6, v0
	v_lshl_add_u32 v7, v0, 6, v7
	v_mov_b32_e32 v8, 0
	v_lshlrev_b64 v[7:8], 2, v[7:8]
	v_mul_f32_e32 v2, v1, v2
	v_mul_f32_e32 v3, v1, v3
	v_mov_b32_e32 v1, s21
	v_add_co_u32_e32 v7, vcc, s20, v7
	v_addc_co_u32_e32 v8, vcc, v1, v8, vcc
	global_store_dwordx2 v[7:8], v[2:3], off
	s_and_b64 exec, exec, s[0:1]
	s_cbranch_execz .LBB40_12
; %bb.21:
	v_ashrrev_i32_e32 v1, 31, v0
	v_lshlrev_b64 v[0:1], 3, v[0:1]
	v_mov_b32_e32 v2, s23
	v_add_co_u32_e32 v0, vcc, s22, v0
	v_addc_co_u32_e32 v1, vcc, v2, v1, vcc
	v_mov_b32_e32 v3, v6
	global_store_dwordx2 v[0:1], v[3:4], off
	s_endpgm
	.section	.rodata,"a",@progbits
	.p2align	6, 0x0
	.amdhsa_kernel _ZL15flash_attn_tileILi64ELi64ELi8ELi2ELb0EEvPKcS1_S1_S1_S1_PKiPfP15HIP_vector_typeIfLj2EEffffjfiS5_IjLj3EEiiiiiiiiiiiliiliiiiil
		.amdhsa_group_segment_fixed_size 24576
		.amdhsa_private_segment_fixed_size 0
		.amdhsa_kernarg_size 464
		.amdhsa_user_sgpr_count 6
		.amdhsa_user_sgpr_private_segment_buffer 1
		.amdhsa_user_sgpr_dispatch_ptr 0
		.amdhsa_user_sgpr_queue_ptr 0
		.amdhsa_user_sgpr_kernarg_segment_ptr 1
		.amdhsa_user_sgpr_dispatch_id 0
		.amdhsa_user_sgpr_flat_scratch_init 0
		.amdhsa_user_sgpr_private_segment_size 0
		.amdhsa_uses_dynamic_stack 0
		.amdhsa_system_sgpr_private_segment_wavefront_offset 0
		.amdhsa_system_sgpr_workgroup_id_x 1
		.amdhsa_system_sgpr_workgroup_id_y 1
		.amdhsa_system_sgpr_workgroup_id_z 1
		.amdhsa_system_sgpr_workgroup_info 0
		.amdhsa_system_vgpr_workitem_id 1
		.amdhsa_next_free_vgpr 98
		.amdhsa_next_free_sgpr 98
		.amdhsa_reserve_vcc 1
		.amdhsa_reserve_flat_scratch 0
		.amdhsa_float_round_mode_32 0
		.amdhsa_float_round_mode_16_64 0
		.amdhsa_float_denorm_mode_32 3
		.amdhsa_float_denorm_mode_16_64 3
		.amdhsa_dx10_clamp 1
		.amdhsa_ieee_mode 1
		.amdhsa_fp16_overflow 0
		.amdhsa_exception_fp_ieee_invalid_op 0
		.amdhsa_exception_fp_denorm_src 0
		.amdhsa_exception_fp_ieee_div_zero 0
		.amdhsa_exception_fp_ieee_overflow 0
		.amdhsa_exception_fp_ieee_underflow 0
		.amdhsa_exception_fp_ieee_inexact 0
		.amdhsa_exception_int_div_zero 0
	.end_amdhsa_kernel
	.section	.text._ZL15flash_attn_tileILi64ELi64ELi8ELi2ELb0EEvPKcS1_S1_S1_S1_PKiPfP15HIP_vector_typeIfLj2EEffffjfiS5_IjLj3EEiiiiiiiiiiiliiliiiiil,"axG",@progbits,_ZL15flash_attn_tileILi64ELi64ELi8ELi2ELb0EEvPKcS1_S1_S1_S1_PKiPfP15HIP_vector_typeIfLj2EEffffjfiS5_IjLj3EEiiiiiiiiiiiliiliiiiil,comdat
.Lfunc_end40:
	.size	_ZL15flash_attn_tileILi64ELi64ELi8ELi2ELb0EEvPKcS1_S1_S1_S1_PKiPfP15HIP_vector_typeIfLj2EEffffjfiS5_IjLj3EEiiiiiiiiiiiliiliiiiil, .Lfunc_end40-_ZL15flash_attn_tileILi64ELi64ELi8ELi2ELb0EEvPKcS1_S1_S1_S1_PKiPfP15HIP_vector_typeIfLj2EEffffjfiS5_IjLj3EEiiiiiiiiiiiliiliiiiil
                                        ; -- End function
	.set _ZL15flash_attn_tileILi64ELi64ELi8ELi2ELb0EEvPKcS1_S1_S1_S1_PKiPfP15HIP_vector_typeIfLj2EEffffjfiS5_IjLj3EEiiiiiiiiiiiliiliiiiil.num_vgpr, 98
	.set _ZL15flash_attn_tileILi64ELi64ELi8ELi2ELb0EEvPKcS1_S1_S1_S1_PKiPfP15HIP_vector_typeIfLj2EEffffjfiS5_IjLj3EEiiiiiiiiiiiliiliiiiil.num_agpr, 0
	.set _ZL15flash_attn_tileILi64ELi64ELi8ELi2ELb0EEvPKcS1_S1_S1_S1_PKiPfP15HIP_vector_typeIfLj2EEffffjfiS5_IjLj3EEiiiiiiiiiiiliiliiiiil.numbered_sgpr, 39
	.set _ZL15flash_attn_tileILi64ELi64ELi8ELi2ELb0EEvPKcS1_S1_S1_S1_PKiPfP15HIP_vector_typeIfLj2EEffffjfiS5_IjLj3EEiiiiiiiiiiiliiliiiiil.num_named_barrier, 0
	.set _ZL15flash_attn_tileILi64ELi64ELi8ELi2ELb0EEvPKcS1_S1_S1_S1_PKiPfP15HIP_vector_typeIfLj2EEffffjfiS5_IjLj3EEiiiiiiiiiiiliiliiiiil.private_seg_size, 0
	.set _ZL15flash_attn_tileILi64ELi64ELi8ELi2ELb0EEvPKcS1_S1_S1_S1_PKiPfP15HIP_vector_typeIfLj2EEffffjfiS5_IjLj3EEiiiiiiiiiiiliiliiiiil.uses_vcc, 1
	.set _ZL15flash_attn_tileILi64ELi64ELi8ELi2ELb0EEvPKcS1_S1_S1_S1_PKiPfP15HIP_vector_typeIfLj2EEffffjfiS5_IjLj3EEiiiiiiiiiiiliiliiiiil.uses_flat_scratch, 0
	.set _ZL15flash_attn_tileILi64ELi64ELi8ELi2ELb0EEvPKcS1_S1_S1_S1_PKiPfP15HIP_vector_typeIfLj2EEffffjfiS5_IjLj3EEiiiiiiiiiiiliiliiiiil.has_dyn_sized_stack, 0
	.set _ZL15flash_attn_tileILi64ELi64ELi8ELi2ELb0EEvPKcS1_S1_S1_S1_PKiPfP15HIP_vector_typeIfLj2EEffffjfiS5_IjLj3EEiiiiiiiiiiiliiliiiiil.has_recursion, 0
	.set _ZL15flash_attn_tileILi64ELi64ELi8ELi2ELb0EEvPKcS1_S1_S1_S1_PKiPfP15HIP_vector_typeIfLj2EEffffjfiS5_IjLj3EEiiiiiiiiiiiliiliiiiil.has_indirect_call, 0
	.section	.AMDGPU.csdata,"",@progbits
; Kernel info:
; codeLenInByte = 12252
; TotalNumSgprs: 43
; NumVgprs: 98
; ScratchSize: 0
; MemoryBound: 0
; FloatMode: 240
; IeeeMode: 1
; LDSByteSize: 24576 bytes/workgroup (compile time only)
; SGPRBlocks: 12
; VGPRBlocks: 24
; NumSGPRsForWavesPerEU: 102
; NumVGPRsForWavesPerEU: 98
; Occupancy: 2
; WaveLimiterHint : 1
; COMPUTE_PGM_RSRC2:SCRATCH_EN: 0
; COMPUTE_PGM_RSRC2:USER_SGPR: 6
; COMPUTE_PGM_RSRC2:TRAP_HANDLER: 0
; COMPUTE_PGM_RSRC2:TGID_X_EN: 1
; COMPUTE_PGM_RSRC2:TGID_Y_EN: 1
; COMPUTE_PGM_RSRC2:TGID_Z_EN: 1
; COMPUTE_PGM_RSRC2:TIDIG_COMP_CNT: 1
	.section	.text._ZL33flash_attn_stream_k_fixup_uniformILi64ELi8ELi2EEvPfPK15HIP_vector_typeIfLj2EEiiiiiiS1_IjLj3EES5_S5_,"axG",@progbits,_ZL33flash_attn_stream_k_fixup_uniformILi64ELi8ELi2EEvPfPK15HIP_vector_typeIfLj2EEiiiiiiS1_IjLj3EES5_S5_,comdat
	.globl	_ZL33flash_attn_stream_k_fixup_uniformILi64ELi8ELi2EEvPfPK15HIP_vector_typeIfLj2EEiiiiiiS1_IjLj3EES5_S5_ ; -- Begin function _ZL33flash_attn_stream_k_fixup_uniformILi64ELi8ELi2EEvPfPK15HIP_vector_typeIfLj2EEiiiiiiS1_IjLj3EES5_S5_
	.p2align	8
	.type	_ZL33flash_attn_stream_k_fixup_uniformILi64ELi8ELi2EEvPfPK15HIP_vector_typeIfLj2EEiiiiiiS1_IjLj3EES5_S5_,@function
_ZL33flash_attn_stream_k_fixup_uniformILi64ELi8ELi2EEvPfPK15HIP_vector_typeIfLj2EEiiiiiiS1_IjLj3EES5_S5_: ; @_ZL33flash_attn_stream_k_fixup_uniformILi64ELi8ELi2EEvPfPK15HIP_vector_typeIfLj2EEiiiiiiS1_IjLj3EES5_S5_
; %bb.0:
	s_load_dwordx8 s[12:19], s[4:5], 0x1c
	s_load_dwordx2 s[10:11], s[4:5], 0x10
	s_load_dwordx4 s[0:3], s[4:5], 0x3c
	s_waitcnt lgkmcnt(0)
	s_mul_hi_u32 s9, s15, s6
	s_add_i32 s9, s6, s9
	s_lshr_b32 s9, s9, s16
	s_mul_i32 s15, s9, s17
	s_sub_i32 s15, s6, s15
	s_mul_hi_u32 s16, s15, s18
	s_add_i32 s16, s15, s16
	s_lshr_b32 s16, s16, s19
	s_mul_i32 s0, s16, s0
	s_sub_i32 s0, s15, s0
	;; [unrolled: 5-line block ×3, first 2 shown]
	s_lshl_b32 s0, s17, 3
	s_lshl_b32 s15, s1, 1
	s_add_i32 s0, s0, s7
	s_cmp_lt_i32 s0, s10
	s_cselect_b64 s[0:1], -1, 0
	s_add_i32 s2, s15, s8
	s_cmp_lt_i32 s2, s13
	s_cselect_b64 s[2:3], -1, 0
	s_and_b64 s[0:1], s[0:1], s[2:3]
	s_andn2_b64 vcc, exec, s[0:1]
	s_cbranch_vccnz .LBB41_6
; %bb.1:
	s_load_dwordx4 s[0:3], s[4:5], 0x0
	s_mul_i32 s4, s9, s10
	s_add_i32 s4, s4, s7
	s_mul_i32 s4, s4, s11
	s_mul_i32 s16, s16, s13
	s_add_i32 s4, s4, s8
	s_add_i32 s4, s4, s16
	s_mul_i32 s5, s11, s17
	s_add_i32 s4, s4, s15
	s_lshl_b32 s5, s5, 9
	s_lshl_b32 s4, s4, 6
	s_add_i32 s5, s5, s4
	v_or_b32_e32 v1, s5, v0
	v_ashrrev_i32_e32 v2, 31, v1
	v_lshlrev_b64 v[1:2], 2, v[1:2]
	s_waitcnt lgkmcnt(0)
	v_mov_b32_e32 v3, s1
	v_add_co_u32_e32 v1, vcc, s0, v1
	v_addc_co_u32_e32 v2, vcc, v3, v2, vcc
	global_load_dword v8, v[1:2], off
	s_mul_i32 s9, s14, s6
	s_lshl_b32 s4, s7, 1
	s_add_i32 s11, s9, s14
	s_add_i32 s0, s4, s8
	s_lshl_b32 s1, s11, 4
	s_add_i32 s0, s0, s1
	s_add_i32 s0, s0, -16
	s_ashr_i32 s1, s0, 31
	s_lshl_b64 s[0:1], s[0:1], 3
	s_add_u32 s0, s2, s0
	s_addc_u32 s1, s3, s1
	s_load_dword s5, s[0:1], 0x4
	s_add_i32 s10, s11, -2
	s_cmp_lt_i32 s10, s9
	s_cbranch_scc1 .LBB41_4
; %bb.2:
	s_lshl_b32 s16, s12, 6
	s_ashr_i32 s17, s16, 31
	s_lshl_b64 s[16:17], s[16:17], 2
	s_add_u32 s10, s2, s16
	s_addc_u32 s13, s3, s17
	s_add_i32 s6, s6, 1
	s_load_dword s0, s[0:1], 0x0
	s_mul_i32 s1, s14, s6
	s_lshl_b32 s7, s7, 7
	s_lshl_b32 s14, s8, 6
	;; [unrolled: 1-line block ×3, first 2 shown]
	s_add_i32 s7, s14, s7
	s_lshl_b32 s1, s1, 4
	s_add_i32 s7, s7, s6
	s_add_i32 s1, s8, s1
	s_lshl_b32 s6, s12, 4
	s_add_i32 s1, s1, s6
	v_or_b32_e32 v0, s7, v0
	s_add_i32 s1, s1, s4
	s_add_i32 s11, s11, -1
	v_add_u32_e32 v3, 0xfffff800, v0
	s_sub_i32 s4, s1, 32
	s_waitcnt lgkmcnt(0)
	v_mov_b32_e32 v7, s5
	v_mov_b32_e32 v6, s0
	;; [unrolled: 1-line block ×3, first 2 shown]
	s_mov_b32 s6, 0x3fb8aa3b
	s_mov_b32 s7, 0xc2ce8ed0
	;; [unrolled: 1-line block ×3, first 2 shown]
	v_mov_b32_e32 v5, 0x7f800000
	s_mov_b32 s12, 0xc1a00000
.LBB41_3:                               ; =>This Inner Loop Header: Depth=1
	v_ashrrev_i32_e32 v4, 31, v3
	v_lshlrev_b64 v[9:10], 2, v[3:4]
	s_ashr_i32 s5, s4, 31
	v_add_co_u32_e32 v9, vcc, s10, v9
	v_addc_co_u32_e32 v10, vcc, v0, v10, vcc
	global_load_dword v4, v[9:10], off
	s_lshl_b64 s[0:1], s[4:5], 3
	s_add_u32 s0, s2, s0
	s_addc_u32 s1, s3, s1
	s_load_dwordx2 s[14:15], s[0:1], 0x0
	s_waitcnt vmcnt(1)
	v_mov_b32_e32 v9, v8
	v_max_f32_e32 v8, v6, v6
	v_mov_b32_e32 v10, v7
	s_add_i32 s11, s11, -1
	s_waitcnt lgkmcnt(0)
	v_max_f32_e64 v7, s14, s14
	v_max_f32_e32 v7, v8, v7
	v_sub_f32_e32 v11, s14, v7
	v_sub_f32_e32 v8, v6, v7
	v_mul_f32_e32 v12, 0x3fb8aa3b, v11
	v_mov_b32_e32 v6, v7
	v_mul_f32_e32 v7, 0x3fb8aa3b, v8
	v_fma_f32 v15, v11, s6, -v12
	v_rndne_f32_e32 v16, v12
	v_fma_f32 v13, v8, s6, -v7
	v_rndne_f32_e32 v14, v7
	v_fmac_f32_e32 v15, 0x32a5705f, v11
	v_sub_f32_e32 v12, v12, v16
	v_fmac_f32_e32 v13, 0x32a5705f, v8
	v_sub_f32_e32 v7, v7, v14
	v_add_f32_e32 v12, v12, v15
	v_cvt_i32_f32_e32 v16, v16
	v_add_f32_e32 v7, v7, v13
	v_exp_f32_e32 v12, v12
	v_cvt_i32_f32_e32 v14, v14
	v_exp_f32_e32 v7, v7
	v_cmp_ngt_f32_e32 vcc, s7, v11
	v_ldexp_f32 v12, v12, v16
	v_cmp_ngt_f32_e64 s[0:1], s7, v8
	v_ldexp_f32 v7, v7, v14
	v_cndmask_b32_e32 v12, 0, v12, vcc
	v_cmp_nlt_f32_e32 vcc, s8, v11
	v_cndmask_b32_e64 v7, 0, v7, s[0:1]
	v_cmp_nlt_f32_e64 s[0:1], s8, v8
	v_cndmask_b32_e32 v12, v5, v12, vcc
	v_cmp_le_f32_e32 vcc, s12, v11
	v_cndmask_b32_e64 v7, v5, v7, s[0:1]
	v_cmp_le_f32_e64 s[0:1], s12, v8
	v_cndmask_b32_e32 v8, 0, v12, vcc
	s_add_i32 s4, s4, -16
	v_cndmask_b32_e64 v11, 0, v7, s[0:1]
	v_mul_f32_e32 v7, s15, v8
	v_add_u32_e32 v3, 0xfffffc00, v3
	s_cmp_le_i32 s11, s9
	v_fmac_f32_e32 v7, v10, v11
	s_waitcnt vmcnt(0)
	v_mul_f32_e32 v8, v4, v8
	v_fmac_f32_e32 v8, v9, v11
	s_cbranch_scc0 .LBB41_3
	s_branch .LBB41_5
.LBB41_4:
	s_waitcnt lgkmcnt(0)
	v_mov_b32_e32 v7, s5
.LBB41_5:
	s_waitcnt vmcnt(0)
	v_div_scale_f32 v0, s[0:1], v7, v7, v8
	v_div_scale_f32 v3, vcc, v8, v7, v8
	v_rcp_f32_e32 v4, v0
	v_fma_f32 v5, -v0, v4, 1.0
	v_fmac_f32_e32 v4, v5, v4
	v_mul_f32_e32 v5, v3, v4
	v_fma_f32 v6, -v0, v5, v3
	v_fmac_f32_e32 v5, v6, v4
	v_fma_f32 v0, -v0, v5, v3
	v_div_fmas_f32 v0, v0, v4, v5
	v_div_fixup_f32 v0, v0, v7, v8
	global_store_dword v[1:2], v0, off
.LBB41_6:
	s_endpgm
	.section	.rodata,"a",@progbits
	.p2align	6, 0x0
	.amdhsa_kernel _ZL33flash_attn_stream_k_fixup_uniformILi64ELi8ELi2EEvPfPK15HIP_vector_typeIfLj2EEiiiiiiS1_IjLj3EES5_S5_
		.amdhsa_group_segment_fixed_size 0
		.amdhsa_private_segment_fixed_size 0
		.amdhsa_kernarg_size 76
		.amdhsa_user_sgpr_count 6
		.amdhsa_user_sgpr_private_segment_buffer 1
		.amdhsa_user_sgpr_dispatch_ptr 0
		.amdhsa_user_sgpr_queue_ptr 0
		.amdhsa_user_sgpr_kernarg_segment_ptr 1
		.amdhsa_user_sgpr_dispatch_id 0
		.amdhsa_user_sgpr_flat_scratch_init 0
		.amdhsa_user_sgpr_private_segment_size 0
		.amdhsa_uses_dynamic_stack 0
		.amdhsa_system_sgpr_private_segment_wavefront_offset 0
		.amdhsa_system_sgpr_workgroup_id_x 1
		.amdhsa_system_sgpr_workgroup_id_y 1
		.amdhsa_system_sgpr_workgroup_id_z 1
		.amdhsa_system_sgpr_workgroup_info 0
		.amdhsa_system_vgpr_workitem_id 0
		.amdhsa_next_free_vgpr 17
		.amdhsa_next_free_sgpr 20
		.amdhsa_reserve_vcc 1
		.amdhsa_reserve_flat_scratch 0
		.amdhsa_float_round_mode_32 0
		.amdhsa_float_round_mode_16_64 0
		.amdhsa_float_denorm_mode_32 3
		.amdhsa_float_denorm_mode_16_64 3
		.amdhsa_dx10_clamp 1
		.amdhsa_ieee_mode 1
		.amdhsa_fp16_overflow 0
		.amdhsa_exception_fp_ieee_invalid_op 0
		.amdhsa_exception_fp_denorm_src 0
		.amdhsa_exception_fp_ieee_div_zero 0
		.amdhsa_exception_fp_ieee_overflow 0
		.amdhsa_exception_fp_ieee_underflow 0
		.amdhsa_exception_fp_ieee_inexact 0
		.amdhsa_exception_int_div_zero 0
	.end_amdhsa_kernel
	.section	.text._ZL33flash_attn_stream_k_fixup_uniformILi64ELi8ELi2EEvPfPK15HIP_vector_typeIfLj2EEiiiiiiS1_IjLj3EES5_S5_,"axG",@progbits,_ZL33flash_attn_stream_k_fixup_uniformILi64ELi8ELi2EEvPfPK15HIP_vector_typeIfLj2EEiiiiiiS1_IjLj3EES5_S5_,comdat
.Lfunc_end41:
	.size	_ZL33flash_attn_stream_k_fixup_uniformILi64ELi8ELi2EEvPfPK15HIP_vector_typeIfLj2EEiiiiiiS1_IjLj3EES5_S5_, .Lfunc_end41-_ZL33flash_attn_stream_k_fixup_uniformILi64ELi8ELi2EEvPfPK15HIP_vector_typeIfLj2EEiiiiiiS1_IjLj3EES5_S5_
                                        ; -- End function
	.set _ZL33flash_attn_stream_k_fixup_uniformILi64ELi8ELi2EEvPfPK15HIP_vector_typeIfLj2EEiiiiiiS1_IjLj3EES5_S5_.num_vgpr, 17
	.set _ZL33flash_attn_stream_k_fixup_uniformILi64ELi8ELi2EEvPfPK15HIP_vector_typeIfLj2EEiiiiiiS1_IjLj3EES5_S5_.num_agpr, 0
	.set _ZL33flash_attn_stream_k_fixup_uniformILi64ELi8ELi2EEvPfPK15HIP_vector_typeIfLj2EEiiiiiiS1_IjLj3EES5_S5_.numbered_sgpr, 20
	.set _ZL33flash_attn_stream_k_fixup_uniformILi64ELi8ELi2EEvPfPK15HIP_vector_typeIfLj2EEiiiiiiS1_IjLj3EES5_S5_.num_named_barrier, 0
	.set _ZL33flash_attn_stream_k_fixup_uniformILi64ELi8ELi2EEvPfPK15HIP_vector_typeIfLj2EEiiiiiiS1_IjLj3EES5_S5_.private_seg_size, 0
	.set _ZL33flash_attn_stream_k_fixup_uniformILi64ELi8ELi2EEvPfPK15HIP_vector_typeIfLj2EEiiiiiiS1_IjLj3EES5_S5_.uses_vcc, 1
	.set _ZL33flash_attn_stream_k_fixup_uniformILi64ELi8ELi2EEvPfPK15HIP_vector_typeIfLj2EEiiiiiiS1_IjLj3EES5_S5_.uses_flat_scratch, 0
	.set _ZL33flash_attn_stream_k_fixup_uniformILi64ELi8ELi2EEvPfPK15HIP_vector_typeIfLj2EEiiiiiiS1_IjLj3EES5_S5_.has_dyn_sized_stack, 0
	.set _ZL33flash_attn_stream_k_fixup_uniformILi64ELi8ELi2EEvPfPK15HIP_vector_typeIfLj2EEiiiiiiS1_IjLj3EES5_S5_.has_recursion, 0
	.set _ZL33flash_attn_stream_k_fixup_uniformILi64ELi8ELi2EEvPfPK15HIP_vector_typeIfLj2EEiiiiiiS1_IjLj3EES5_S5_.has_indirect_call, 0
	.section	.AMDGPU.csdata,"",@progbits
; Kernel info:
; codeLenInByte = 856
; TotalNumSgprs: 24
; NumVgprs: 17
; ScratchSize: 0
; MemoryBound: 0
; FloatMode: 240
; IeeeMode: 1
; LDSByteSize: 0 bytes/workgroup (compile time only)
; SGPRBlocks: 2
; VGPRBlocks: 4
; NumSGPRsForWavesPerEU: 24
; NumVGPRsForWavesPerEU: 17
; Occupancy: 10
; WaveLimiterHint : 0
; COMPUTE_PGM_RSRC2:SCRATCH_EN: 0
; COMPUTE_PGM_RSRC2:USER_SGPR: 6
; COMPUTE_PGM_RSRC2:TRAP_HANDLER: 0
; COMPUTE_PGM_RSRC2:TGID_X_EN: 1
; COMPUTE_PGM_RSRC2:TGID_Y_EN: 1
; COMPUTE_PGM_RSRC2:TGID_Z_EN: 1
; COMPUTE_PGM_RSRC2:TIDIG_COMP_CNT: 0
	.section	.text._ZL33flash_attn_stream_k_fixup_generalILi64ELi8ELi2EEvPfPK15HIP_vector_typeIfLj2EEiiiiS1_IjLj3EES5_S5_S5_,"axG",@progbits,_ZL33flash_attn_stream_k_fixup_generalILi64ELi8ELi2EEvPfPK15HIP_vector_typeIfLj2EEiiiiS1_IjLj3EES5_S5_S5_,comdat
	.globl	_ZL33flash_attn_stream_k_fixup_generalILi64ELi8ELi2EEvPfPK15HIP_vector_typeIfLj2EEiiiiS1_IjLj3EES5_S5_S5_ ; -- Begin function _ZL33flash_attn_stream_k_fixup_generalILi64ELi8ELi2EEvPfPK15HIP_vector_typeIfLj2EEiiiiS1_IjLj3EES5_S5_S5_
	.p2align	8
	.type	_ZL33flash_attn_stream_k_fixup_generalILi64ELi8ELi2EEvPfPK15HIP_vector_typeIfLj2EEiiiiS1_IjLj3EES5_S5_S5_,@function
_ZL33flash_attn_stream_k_fixup_generalILi64ELi8ELi2EEvPfPK15HIP_vector_typeIfLj2EEiiiiS1_IjLj3EES5_S5_S5_: ; @_ZL33flash_attn_stream_k_fixup_generalILi64ELi8ELi2EEvPfPK15HIP_vector_typeIfLj2EEiiiiS1_IjLj3EES5_S5_S5_
; %bb.0:
	s_load_dwordx4 s[0:3], s[4:5], 0x10
	s_load_dword s22, s[4:5], 0x50
	s_mov_b32 s12, 0
	s_waitcnt lgkmcnt(0)
	s_mul_hi_i32 s13, s3, s6
	s_cmp_lg_u64 s[12:13], 0
	s_mul_i32 s9, s3, s6
	s_cbranch_scc0 .LBB42_20
; %bb.1:
	s_add_u32 s10, s22, 0
	s_addc_u32 s11, 0, 0
	s_xor_b64 s[10:11], s[10:11], 0
	v_cvt_f32_u32_e32 v1, s10
	v_cvt_f32_u32_e32 v2, s11
	s_sub_u32 s12, 0, s10
	s_subb_u32 s18, 0, s11
	v_madmk_f32 v1, v2, 0x4f800000, v1
	v_rcp_f32_e32 v1, v1
	v_mul_f32_e32 v1, 0x5f7ffffc, v1
	v_mul_f32_e32 v2, 0x2f800000, v1
	v_trunc_f32_e32 v2, v2
	v_madmk_f32 v1, v2, 0xcf800000, v1
	v_cvt_u32_f32_e32 v2, v2
	v_cvt_u32_f32_e32 v1, v1
	v_readfirstlane_b32 s19, v2
	v_readfirstlane_b32 s14, v1
	s_mul_i32 s15, s12, s19
	s_mul_hi_u32 s21, s12, s14
	s_mul_i32 s20, s18, s14
	s_add_i32 s15, s21, s15
	s_add_i32 s15, s15, s20
	s_mul_i32 s23, s12, s14
	s_mul_i32 s21, s14, s15
	s_mul_hi_u32 s24, s14, s23
	s_mul_hi_u32 s20, s14, s15
	s_add_u32 s21, s24, s21
	s_addc_u32 s20, 0, s20
	s_mul_hi_u32 s25, s19, s23
	s_mul_i32 s23, s19, s23
	s_add_u32 s21, s21, s23
	s_mul_hi_u32 s24, s19, s15
	s_addc_u32 s20, s20, s25
	s_addc_u32 s21, s24, 0
	s_mul_i32 s15, s19, s15
	s_add_u32 s15, s20, s15
	s_addc_u32 s20, 0, s21
	s_add_u32 s21, s14, s15
	s_cselect_b64 s[14:15], -1, 0
	s_cmp_lg_u64 s[14:15], 0
	s_addc_u32 s19, s19, s20
	s_mul_i32 s14, s12, s19
	s_mul_hi_u32 s15, s12, s21
	s_add_i32 s14, s15, s14
	s_mul_i32 s18, s18, s21
	s_add_i32 s14, s14, s18
	s_mul_i32 s12, s12, s21
	s_mul_hi_u32 s18, s19, s12
	s_mul_i32 s20, s19, s12
	s_mul_i32 s24, s21, s14
	s_mul_hi_u32 s12, s21, s12
	s_mul_hi_u32 s23, s21, s14
	s_add_u32 s12, s12, s24
	s_addc_u32 s23, 0, s23
	s_add_u32 s12, s12, s20
	s_mul_hi_u32 s15, s19, s14
	s_addc_u32 s12, s23, s18
	s_addc_u32 s15, s15, 0
	s_mul_i32 s14, s19, s14
	s_add_u32 s12, s12, s14
	s_addc_u32 s18, 0, s15
	s_add_u32 s20, s21, s12
	s_cselect_b64 s[14:15], -1, 0
	s_cmp_lg_u64 s[14:15], 0
	s_addc_u32 s18, s19, s18
	s_ashr_i32 s14, s13, 31
	s_add_u32 s12, s9, s14
	s_mov_b32 s15, s14
	s_addc_u32 s13, s13, s14
	s_xor_b64 s[12:13], s[12:13], s[14:15]
	s_mul_i32 s21, s12, s18
	s_mul_hi_u32 s23, s12, s20
	s_mul_hi_u32 s19, s12, s18
	s_add_u32 s21, s23, s21
	s_addc_u32 s19, 0, s19
	s_mul_hi_u32 s24, s13, s20
	s_mul_i32 s20, s13, s20
	s_add_u32 s20, s21, s20
	s_mul_hi_u32 s23, s13, s18
	s_addc_u32 s19, s19, s24
	s_addc_u32 s20, s23, 0
	s_mul_i32 s18, s13, s18
	s_add_u32 s23, s19, s18
	s_addc_u32 s24, 0, s20
	s_mul_i32 s18, s10, s24
	s_mul_hi_u32 s19, s10, s23
	s_add_i32 s18, s19, s18
	s_mul_i32 s19, s11, s23
	s_add_i32 s25, s18, s19
	s_sub_i32 s20, s13, s25
	s_mul_i32 s18, s10, s23
	s_sub_u32 s12, s12, s18
	s_cselect_b64 s[18:19], -1, 0
	s_cmp_lg_u64 s[18:19], 0
	s_subb_u32 s26, s20, s11
	s_sub_u32 s27, s12, s10
	s_cselect_b64 s[20:21], -1, 0
	s_cmp_lg_u64 s[20:21], 0
	s_subb_u32 s20, s26, 0
	s_cmp_ge_u32 s20, s11
	s_cselect_b32 s21, -1, 0
	s_cmp_ge_u32 s27, s10
	s_cselect_b32 s26, -1, 0
	s_cmp_eq_u32 s20, s11
	s_cselect_b32 s20, s26, s21
	s_add_u32 s21, s23, 1
	s_addc_u32 s26, s24, 0
	s_add_u32 s27, s23, 2
	s_addc_u32 s28, s24, 0
	s_cmp_lg_u32 s20, 0
	s_cselect_b32 s20, s27, s21
	s_cselect_b32 s21, s28, s26
	s_cmp_lg_u64 s[18:19], 0
	s_subb_u32 s13, s13, s25
	s_cmp_ge_u32 s13, s11
	s_cselect_b32 s18, -1, 0
	s_cmp_ge_u32 s12, s10
	s_cselect_b32 s10, -1, 0
	s_cmp_eq_u32 s13, s11
	s_cselect_b32 s10, s10, s18
	s_cmp_lg_u32 s10, 0
	s_cselect_b32 s11, s21, s24
	s_cselect_b32 s10, s20, s23
	s_xor_b64 s[12:13], s[14:15], 0
	s_xor_b64 s[10:11], s[10:11], s[12:13]
	s_sub_u32 s10, s10, s12
	s_load_dwordx4 s[12:15], s[4:5], 0x44
	s_cbranch_execnz .LBB42_3
.LBB42_2:
	v_cvt_f32_u32_e32 v1, s22
	s_sub_i32 s10, 0, s22
	v_rcp_iflag_f32_e32 v1, v1
	v_mul_f32_e32 v1, 0x4f7ffffe, v1
	v_cvt_u32_f32_e32 v1, v1
	v_readfirstlane_b32 s11, v1
	s_mul_i32 s10, s10, s11
	s_mul_hi_u32 s10, s11, s10
	s_add_i32 s11, s11, s10
	s_mul_hi_u32 s10, s9, s11
	s_waitcnt lgkmcnt(0)
	s_mul_i32 s15, s10, s22
	s_sub_i32 s9, s9, s15
	s_add_i32 s11, s10, 1
	s_sub_i32 s15, s9, s22
	s_cmp_ge_u32 s9, s22
	s_cselect_b32 s10, s11, s10
	s_cselect_b32 s9, s15, s9
	s_add_i32 s11, s10, 1
	s_cmp_ge_u32 s9, s22
	s_cselect_b32 s10, s11, s10
.LBB42_3:
	s_add_i32 s9, s6, 1
	s_mul_hi_i32 s21, s3, s9
	s_mov_b32 s20, 0
	s_cmp_lg_u64 s[20:21], 0
	s_mul_i32 s9, s3, s9
	s_cbranch_scc0 .LBB42_21
; %bb.4:
	s_add_u32 s16, s22, 0
	s_addc_u32 s17, 0, 0
	s_xor_b64 s[18:19], s[16:17], 0
	v_cvt_f32_u32_e32 v1, s18
	v_cvt_f32_u32_e32 v2, s19
	s_sub_u32 s11, 0, s18
	s_waitcnt lgkmcnt(0)
	s_subb_u32 s15, 0, s19
	v_madmk_f32 v1, v2, 0x4f800000, v1
	v_rcp_f32_e32 v1, v1
	v_mul_f32_e32 v1, 0x5f7ffffc, v1
	v_mul_f32_e32 v2, 0x2f800000, v1
	v_trunc_f32_e32 v2, v2
	v_madmk_f32 v1, v2, 0xcf800000, v1
	v_cvt_u32_f32_e32 v2, v2
	v_cvt_u32_f32_e32 v1, v1
	v_readfirstlane_b32 s20, v2
	v_readfirstlane_b32 s23, v1
	s_mul_i32 s24, s11, s20
	s_mul_hi_u32 s26, s11, s23
	s_mul_i32 s25, s15, s23
	s_add_i32 s24, s26, s24
	s_add_i32 s24, s24, s25
	s_mul_i32 s27, s11, s23
	s_mul_i32 s26, s23, s24
	s_mul_hi_u32 s28, s23, s27
	s_mul_hi_u32 s25, s23, s24
	s_add_u32 s26, s28, s26
	s_addc_u32 s25, 0, s25
	s_mul_hi_u32 s29, s20, s27
	s_mul_i32 s27, s20, s27
	s_add_u32 s26, s26, s27
	s_mul_hi_u32 s28, s20, s24
	s_addc_u32 s25, s25, s29
	s_addc_u32 s26, s28, 0
	s_mul_i32 s24, s20, s24
	s_add_u32 s24, s25, s24
	s_addc_u32 s26, 0, s26
	s_add_u32 s23, s23, s24
	s_cselect_b64 s[24:25], -1, 0
	s_cmp_lg_u64 s[24:25], 0
	s_addc_u32 s20, s20, s26
	s_mul_i32 s24, s11, s20
	s_mul_hi_u32 s25, s11, s23
	s_add_i32 s24, s25, s24
	s_mul_i32 s15, s15, s23
	s_add_i32 s24, s24, s15
	s_mul_i32 s11, s11, s23
	s_mul_hi_u32 s25, s20, s11
	s_mul_i32 s26, s20, s11
	s_mul_i32 s28, s23, s24
	s_mul_hi_u32 s11, s23, s11
	s_mul_hi_u32 s27, s23, s24
	s_add_u32 s11, s11, s28
	s_addc_u32 s27, 0, s27
	s_add_u32 s11, s11, s26
	s_mul_hi_u32 s15, s20, s24
	s_addc_u32 s11, s27, s25
	s_addc_u32 s15, s15, 0
	s_mul_i32 s24, s20, s24
	s_add_u32 s11, s11, s24
	s_addc_u32 s15, 0, s15
	s_add_u32 s11, s23, s11
	s_cselect_b64 s[24:25], -1, 0
	s_cmp_lg_u64 s[24:25], 0
	s_addc_u32 s15, s20, s15
	s_ashr_i32 s24, s21, 31
	s_add_u32 s20, s9, s24
	s_mov_b32 s25, s24
	s_addc_u32 s21, s21, s24
	s_xor_b64 s[20:21], s[20:21], s[24:25]
	s_mul_i32 s26, s20, s15
	s_mul_hi_u32 s27, s20, s11
	s_mul_hi_u32 s23, s20, s15
	s_add_u32 s26, s27, s26
	s_addc_u32 s23, 0, s23
	s_mul_hi_u32 s28, s21, s11
	s_mul_i32 s11, s21, s11
	s_add_u32 s11, s26, s11
	s_mul_hi_u32 s27, s21, s15
	s_addc_u32 s11, s23, s28
	s_addc_u32 s23, s27, 0
	s_mul_i32 s15, s21, s15
	s_add_u32 s11, s11, s15
	s_addc_u32 s15, 0, s23
	s_mul_i32 s23, s18, s15
	s_mul_hi_u32 s26, s18, s11
	s_add_i32 s23, s26, s23
	s_mul_i32 s26, s19, s11
	s_add_i32 s23, s23, s26
	s_sub_i32 s28, s21, s23
	s_mul_i32 s26, s18, s11
	s_sub_u32 s20, s20, s26
	s_cselect_b64 s[26:27], -1, 0
	s_cmp_lg_u64 s[26:27], 0
	s_subb_u32 s30, s28, s19
	s_sub_u32 s31, s20, s18
	s_cselect_b64 s[28:29], -1, 0
	s_cmp_lg_u64 s[28:29], 0
	s_subb_u32 s28, s30, 0
	s_cmp_ge_u32 s28, s19
	s_cselect_b32 s29, -1, 0
	s_cmp_ge_u32 s31, s18
	s_cselect_b32 s30, -1, 0
	s_cmp_eq_u32 s28, s19
	s_cselect_b32 s28, s30, s29
	s_add_u32 s29, s11, 1
	s_addc_u32 s30, s15, 0
	s_add_u32 s31, s11, 2
	s_addc_u32 s33, s15, 0
	s_cmp_lg_u32 s28, 0
	s_cselect_b32 s28, s31, s29
	s_cselect_b32 s29, s33, s30
	s_cmp_lg_u64 s[26:27], 0
	s_subb_u32 s21, s21, s23
	s_cmp_ge_u32 s21, s19
	s_cselect_b32 s23, -1, 0
	s_cmp_ge_u32 s20, s18
	s_cselect_b32 s18, -1, 0
	s_cmp_eq_u32 s21, s19
	s_cselect_b32 s18, s18, s23
	s_cmp_lg_u32 s18, 0
	s_cselect_b32 s19, s29, s15
	s_cselect_b32 s18, s28, s11
	s_xor_b64 s[20:21], s[24:25], 0
	s_xor_b64 s[18:19], s[18:19], s[20:21]
	s_sub_u32 s18, s18, s20
	s_cbranch_execnz .LBB42_6
.LBB42_5:
	v_cvt_f32_u32_e32 v1, s22
	s_sub_i32 s11, 0, s22
	v_rcp_iflag_f32_e32 v1, v1
	v_mul_f32_e32 v1, 0x4f7ffffe, v1
	v_cvt_u32_f32_e32 v1, v1
	s_waitcnt lgkmcnt(0)
	v_readfirstlane_b32 s15, v1
	s_mul_i32 s11, s11, s15
	s_mul_hi_u32 s11, s15, s11
	s_add_i32 s15, s15, s11
	s_mul_hi_u32 s11, s9, s15
	s_mul_i32 s16, s11, s22
	s_sub_i32 s9, s9, s16
	s_add_i32 s15, s11, 1
	s_sub_i32 s16, s9, s22
	s_cmp_ge_u32 s9, s22
	s_cselect_b32 s11, s15, s11
	s_cselect_b32 s9, s16, s9
	s_add_i32 s15, s11, 1
	s_cmp_ge_u32 s9, s22
	s_cselect_b32 s18, s15, s11
.LBB42_6:
	s_cmp_eq_u32 s10, s18
	s_waitcnt lgkmcnt(0)
	s_mul_hi_u32 s9, s10, s12
	s_cselect_b64 s[16:17], -1, 0
	s_add_i32 s9, s9, s10
	s_lshr_b32 s11, s9, s13
	s_mul_i32 s9, s11, s14
	s_cmp_eq_u32 s9, s10
	s_mul_hi_u32 s9, s18, s12
	s_cselect_b64 s[20:21], -1, 0
	s_add_i32 s9, s9, s18
	s_lshr_b32 s9, s9, s13
	s_cmp_eq_u32 s11, s9
	s_mul_i32 s9, s9, s14
	s_cselect_b64 s[24:25], -1, 0
	s_cmp_lg_u32 s9, s18
	s_cselect_b64 s[18:19], -1, 0
	s_and_b64 s[18:19], s[24:25], s[18:19]
	s_or_b64 s[16:17], s[16:17], s[20:21]
	s_or_b64 s[16:17], s[16:17], s[18:19]
	s_and_b64 vcc, exec, s[16:17]
	s_cbranch_vccnz .LBB42_23
; %bb.7:
	s_load_dwordx8 s[24:31], s[4:5], 0x20
	s_load_dword s15, s[4:5], 0x40
	s_waitcnt lgkmcnt(0)
	s_mul_hi_u32 s9, s10, s24
	s_add_i32 s9, s9, s10
	s_lshr_b32 s9, s9, s25
	s_mul_i32 s16, s9, s26
	s_sub_i32 s16, s10, s16
	s_mul_hi_u32 s17, s16, s27
	s_add_i32 s17, s16, s17
	s_lshr_b32 s23, s17, s28
	s_mul_i32 s17, s23, s29
	s_sub_i32 s16, s16, s17
	;; [unrolled: 5-line block ×3, first 2 shown]
	s_mul_hi_u32 s16, s15, s12
	s_add_i32 s15, s15, s16
	s_lshr_b32 s25, s15, s13
	s_lshl_b32 s15, s25, 3
	s_lshl_b32 s24, s17, 1
	s_add_i32 s15, s15, s7
	s_cmp_lt_i32 s15, s0
	s_cselect_b64 s[16:17], -1, 0
	s_add_i32 s15, s24, s8
	s_cmp_lt_i32 s15, s2
	s_cselect_b64 s[18:19], -1, 0
	s_and_b64 s[16:17], s[16:17], s[18:19]
	s_andn2_b64 vcc, exec, s[16:17]
	s_cbranch_vccnz .LBB42_23
; %bb.8:
	s_load_dwordx4 s[16:19], s[4:5], 0x0
	s_mov_b32 s4, 0
	s_lshl_b32 s15, s7, 1
	s_lshl_b32 s20, s22, 6
	s_mov_b32 s21, s4
	s_add_i32 s15, s15, s8
	s_lshl_b64 s[20:21], s[20:21], 2
	s_waitcnt lgkmcnt(0)
	s_add_u32 s20, s18, s20
	s_mul_i32 s0, s9, s0
	s_addc_u32 s21, s19, s21
	s_add_i32 s0, s0, s7
	s_mul_i32 s0, s0, s1
	s_mul_i32 s23, s23, s2
	s_add_i32 s0, s0, s8
	s_add_i32 s0, s0, s23
	s_mul_i32 s2, s1, s25
	s_add_i32 s0, s0, s24
	s_lshl_b32 s2, s2, 9
	s_lshl_b32 s0, s0, 6
	s_add_i32 s2, s2, s0
	v_or_b32_e32 v1, s2, v0
	v_ashrrev_i32_e32 v2, 31, v1
	v_lshlrev_b64 v[1:2], 2, v[1:2]
	v_mov_b32_e32 v3, s17
	v_add_co_u32_e32 v1, vcc, s16, v1
	v_addc_co_u32_e32 v2, vcc, v3, v2, vcc
	global_load_dword v3, v[1:2], off
	v_cvt_f32_u32_e32 v4, s22
	s_lshl_b32 s0, s6, 4
	s_add_i32 s0, s15, s0
	s_ashr_i32 s1, s0, 31
	s_lshl_b64 s[0:1], s[0:1], 3
	v_rcp_iflag_f32_e32 v4, v4
	s_add_u32 s0, s18, s0
	s_addc_u32 s1, s19, s1
	s_load_dwordx2 s[0:1], s[0:1], 0x0
	v_mul_f32_e32 v4, 0x4f7ffffe, v4
	v_cvt_u32_f32_e32 v4, v4
	s_add_i32 s24, s6, -1
	v_lshl_or_b32 v0, s15, 6, v0
	s_waitcnt lgkmcnt(0)
	v_mov_b32_e32 v6, s1
	v_mov_b32_e32 v7, s0
	s_mov_b32 s2, 0x3fb8aa3b
	s_mov_b32 s16, 0xc2ce8ed0
	;; [unrolled: 1-line block ×4, first 2 shown]
	v_mov_b32_e32 v5, 0x7f800000
	s_mul_hi_i32 s5, s24, s3
	s_cmp_lg_u64 s[4:5], 0
	s_mul_i32 s8, s24, s3
	s_cbranch_scc0 .LBB42_19
.LBB42_9:
	s_add_u32 s0, s22, 0
	s_addc_u32 s1, 0, 0
	s_xor_b64 s[0:1], s[0:1], 0
	v_cvt_f32_u32_e32 v8, s0
	v_cvt_f32_u32_e32 v9, s1
	s_sub_u32 s9, 0, s0
	s_subb_u32 s25, 0, s1
	v_mac_f32_e32 v8, 0x4f800000, v9
	v_rcp_f32_e32 v8, v8
	v_mul_f32_e32 v8, 0x5f7ffffc, v8
	v_mul_f32_e32 v9, 0x2f800000, v8
	v_trunc_f32_e32 v9, v9
	v_mac_f32_e32 v8, 0xcf800000, v9
	v_cvt_u32_f32_e32 v9, v9
	v_cvt_u32_f32_e32 v8, v8
	v_readfirstlane_b32 s26, v9
	v_readfirstlane_b32 s6, v8
	s_mul_i32 s7, s9, s26
	s_mul_hi_u32 s28, s9, s6
	s_mul_i32 s27, s25, s6
	s_add_i32 s7, s28, s7
	s_mul_i32 s29, s9, s6
	s_add_i32 s7, s7, s27
	s_mul_i32 s28, s6, s7
	s_mul_hi_u32 s30, s6, s29
	s_mul_hi_u32 s27, s6, s7
	s_add_u32 s28, s30, s28
	s_addc_u32 s27, 0, s27
	s_mul_hi_u32 s31, s26, s29
	s_mul_i32 s29, s26, s29
	s_add_u32 s28, s28, s29
	s_mul_hi_u32 s30, s26, s7
	s_addc_u32 s27, s27, s31
	s_addc_u32 s28, s30, 0
	s_mul_i32 s7, s26, s7
	s_add_u32 s7, s27, s7
	s_addc_u32 s27, 0, s28
	s_add_u32 s28, s6, s7
	s_cselect_b64 s[6:7], -1, 0
	s_cmp_lg_u64 s[6:7], 0
	s_addc_u32 s26, s26, s27
	s_mul_i32 s6, s9, s26
	s_mul_hi_u32 s7, s9, s28
	s_add_i32 s6, s7, s6
	s_mul_i32 s25, s25, s28
	s_add_i32 s6, s6, s25
	s_mul_i32 s9, s9, s28
	s_mul_hi_u32 s25, s26, s9
	s_mul_i32 s27, s26, s9
	s_mul_i32 s30, s28, s6
	s_mul_hi_u32 s9, s28, s9
	s_mul_hi_u32 s29, s28, s6
	s_add_u32 s9, s9, s30
	s_addc_u32 s29, 0, s29
	s_add_u32 s9, s9, s27
	s_mul_hi_u32 s7, s26, s6
	s_addc_u32 s9, s29, s25
	s_addc_u32 s7, s7, 0
	s_mul_i32 s6, s26, s6
	s_add_u32 s6, s9, s6
	s_addc_u32 s9, 0, s7
	s_add_u32 s25, s28, s6
	s_cselect_b64 s[6:7], -1, 0
	s_cmp_lg_u64 s[6:7], 0
	s_addc_u32 s9, s26, s9
	s_ashr_i32 s6, s5, 31
	s_add_u32 s26, s8, s6
	s_mov_b32 s7, s6
	s_addc_u32 s27, s5, s6
	s_xor_b64 s[26:27], s[26:27], s[6:7]
	s_mul_i32 s28, s26, s9
	s_mul_hi_u32 s29, s26, s25
	s_mul_hi_u32 s5, s26, s9
	s_add_u32 s28, s29, s28
	s_addc_u32 s5, 0, s5
	s_mul_hi_u32 s30, s27, s25
	s_mul_i32 s25, s27, s25
	s_add_u32 s25, s28, s25
	s_mul_hi_u32 s29, s27, s9
	s_addc_u32 s5, s5, s30
	s_addc_u32 s25, s29, 0
	s_mul_i32 s9, s27, s9
	s_add_u32 s5, s5, s9
	s_addc_u32 s9, 0, s25
	s_mul_i32 s25, s0, s9
	s_mul_hi_u32 s28, s0, s5
	s_add_i32 s25, s28, s25
	s_mul_i32 s28, s1, s5
	s_add_i32 s25, s25, s28
	s_sub_i32 s30, s27, s25
	s_mul_i32 s28, s0, s5
	s_sub_u32 s26, s26, s28
	s_cselect_b64 s[28:29], -1, 0
	s_cmp_lg_u64 s[28:29], 0
	s_subb_u32 s33, s30, s1
	s_sub_u32 s34, s26, s0
	s_cselect_b64 s[30:31], -1, 0
	s_cmp_lg_u64 s[30:31], 0
	s_subb_u32 s30, s33, 0
	s_cmp_ge_u32 s30, s1
	s_cselect_b32 s31, -1, 0
	s_cmp_ge_u32 s34, s0
	s_cselect_b32 s33, -1, 0
	s_cmp_eq_u32 s30, s1
	s_cselect_b32 s30, s33, s31
	s_add_u32 s31, s5, 1
	s_addc_u32 s33, s9, 0
	s_add_u32 s34, s5, 2
	s_addc_u32 s35, s9, 0
	s_cmp_lg_u32 s30, 0
	s_cselect_b32 s30, s34, s31
	s_cselect_b32 s31, s35, s33
	s_cmp_lg_u64 s[28:29], 0
	s_subb_u32 s25, s27, s25
	s_cmp_ge_u32 s25, s1
	s_cselect_b32 s27, -1, 0
	s_cmp_ge_u32 s26, s0
	s_cselect_b32 s0, -1, 0
	s_cmp_eq_u32 s25, s1
	s_cselect_b32 s0, s0, s27
	s_cmp_lg_u32 s0, 0
	s_cselect_b32 s1, s31, s9
	s_cselect_b32 s0, s30, s5
	s_xor_b64 s[6:7], s[6:7], 0
	s_xor_b64 s[0:1], s[0:1], s[6:7]
	s_sub_u32 s6, s0, s6
	s_cbranch_execnz .LBB42_11
.LBB42_10:
	s_sub_i32 s0, 0, s22
	v_readfirstlane_b32 s1, v4
	s_mul_i32 s0, s0, s1
	s_mul_hi_u32 s0, s1, s0
	s_add_i32 s1, s1, s0
	s_mul_hi_u32 s0, s8, s1
	s_mul_i32 s5, s0, s22
	s_sub_i32 s5, s8, s5
	s_add_i32 s1, s0, 1
	s_sub_i32 s6, s5, s22
	s_cmp_ge_u32 s5, s22
	s_cselect_b32 s0, s1, s0
	s_cselect_b32 s5, s6, s5
	s_add_i32 s1, s0, 1
	s_cmp_ge_u32 s5, s22
	s_cselect_b32 s6, s1, s0
.LBB42_11:
	s_cmp_lg_u32 s10, s6
	s_mov_b64 s[8:9], -1
                                        ; implicit-def: $sgpr0_sgpr1
                                        ; implicit-def: $vgpr10
                                        ; implicit-def: $vgpr8
                                        ; implicit-def: $vgpr9
                                        ; implicit-def: $sgpr5
                                        ; implicit-def: $sgpr7
	s_cbranch_scc1 .LBB42_14
; %bb.12:
	s_andn2_b64 vcc, exec, s[8:9]
	s_cbranch_vccz .LBB42_17
.LBB42_13:
	s_andn2_b64 vcc, exec, s[0:1]
	s_cbranch_vccnz .LBB42_18
	s_branch .LBB42_22
.LBB42_14:
	s_add_i32 s0, s24, s22
	s_lshl_b32 s0, s0, 4
	s_add_i32 s0, s0, s15
	s_mov_b32 s1, s4
	s_lshl_b64 s[0:1], s[0:1], 3
	s_add_u32 s8, s18, s0
	s_mul_hi_u32 s0, s6, s12
	s_addc_u32 s9, s19, s1
	s_add_i32 s0, s0, s6
	s_lshr_b32 s5, s0, s13
	s_mul_i32 s0, s5, s14
	s_cmp_eq_u32 s0, s6
	s_cselect_b64 s[0:1], -1, 0
	s_cmp_lt_u32 s5, s11
	s_cselect_b64 s[26:27], -1, 0
	s_or_b64 s[26:27], s[26:27], s[0:1]
	s_mov_b64 s[0:1], -1
	s_and_b64 vcc, exec, s[26:27]
	s_mov_b32 s5, s24
	s_mov_b32 s7, s10
	s_cbranch_vccnz .LBB42_16
; %bb.15:
	s_add_i32 s5, s24, -1
	s_mov_b64 s[0:1], 0
	s_mov_b32 s7, s6
.LBB42_16:
	v_lshl_add_u32 v8, s24, 10, v0
	v_ashrrev_i32_e32 v9, 31, v8
	v_lshlrev_b64 v[8:9], 2, v[8:9]
	v_mov_b32_e32 v10, s21
	v_add_co_u32_e32 v8, vcc, s20, v8
	v_addc_co_u32_e32 v9, vcc, v10, v9, vcc
	global_load_dword v10, v[8:9], off
	s_load_dwordx2 s[8:9], s[8:9], 0x0
	v_max_f32_e32 v8, v7, v7
	s_waitcnt lgkmcnt(0)
	v_max_f32_e64 v9, s8, s8
	v_max_f32_e32 v8, v8, v9
	v_sub_f32_e32 v9, v7, v8
	v_sub_f32_e32 v11, s8, v8
	v_mul_f32_e32 v12, 0x3fb8aa3b, v9
	v_mul_f32_e32 v13, 0x3fb8aa3b, v11
	v_fma_f32 v14, v9, s2, -v12
	v_rndne_f32_e32 v15, v12
	v_fma_f32 v16, v11, s2, -v13
	v_rndne_f32_e32 v17, v13
	v_fmac_f32_e32 v14, 0x32a5705f, v9
	v_sub_f32_e32 v12, v12, v15
	v_fmac_f32_e32 v16, 0x32a5705f, v11
	v_sub_f32_e32 v13, v13, v17
	v_add_f32_e32 v12, v12, v14
	v_cvt_i32_f32_e32 v15, v15
	v_add_f32_e32 v13, v13, v16
	v_exp_f32_e32 v12, v12
	v_cvt_i32_f32_e32 v17, v17
	v_exp_f32_e32 v13, v13
	v_cmp_ngt_f32_e32 vcc, s16, v9
	v_ldexp_f32 v12, v12, v15
	v_cndmask_b32_e32 v12, 0, v12, vcc
	v_ldexp_f32 v13, v13, v17
	v_cmp_ngt_f32_e32 vcc, s16, v11
	v_cndmask_b32_e32 v13, 0, v13, vcc
	v_cmp_nlt_f32_e32 vcc, s17, v9
	v_cndmask_b32_e32 v12, v5, v12, vcc
	v_cmp_nlt_f32_e32 vcc, s17, v11
	v_cndmask_b32_e32 v13, v5, v13, vcc
	v_cmp_le_f32_e32 vcc, s23, v9
	v_cndmask_b32_e32 v12, 0, v12, vcc
	v_cmp_le_f32_e32 vcc, s23, v11
	v_cndmask_b32_e32 v11, 0, v13, vcc
	v_mul_f32_e32 v9, s9, v11
	v_fmac_f32_e32 v9, v6, v12
	s_waitcnt vmcnt(0)
	v_mul_f32_e32 v10, v10, v11
	v_fmac_f32_e32 v10, v3, v12
	s_cbranch_execnz .LBB42_13
.LBB42_17:
	s_add_i32 s5, s24, -1
	s_mov_b32 s7, s10
	v_mov_b32_e32 v9, v6
	v_mov_b32_e32 v8, v7
	s_waitcnt vmcnt(0)
	v_mov_b32_e32 v10, v3
	s_cbranch_execz .LBB42_22
.LBB42_18:
	s_mov_b32 s10, s7
	s_mov_b32 s24, s5
	v_mov_b32_e32 v6, v9
	v_mov_b32_e32 v7, v8
	s_waitcnt vmcnt(0)
	v_mov_b32_e32 v3, v10
	s_mul_hi_i32 s5, s24, s3
	s_cmp_lg_u64 s[4:5], 0
	s_mul_i32 s8, s24, s3
	s_cbranch_scc1 .LBB42_9
.LBB42_19:
                                        ; implicit-def: $sgpr6_sgpr7
	s_branch .LBB42_10
.LBB42_20:
                                        ; implicit-def: $sgpr10_sgpr11
	s_load_dwordx4 s[12:15], s[4:5], 0x44
	s_branch .LBB42_2
.LBB42_21:
                                        ; implicit-def: $sgpr18_sgpr19
	s_branch .LBB42_5
.LBB42_22:
	v_div_scale_f32 v0, s[0:1], v9, v9, v10
	s_waitcnt vmcnt(0)
	v_div_scale_f32 v3, vcc, v10, v9, v10
	v_rcp_f32_e32 v4, v0
	v_fma_f32 v5, -v0, v4, 1.0
	v_fmac_f32_e32 v4, v5, v4
	v_mul_f32_e32 v5, v3, v4
	v_fma_f32 v6, -v0, v5, v3
	v_fmac_f32_e32 v5, v6, v4
	v_fma_f32 v0, -v0, v5, v3
	v_div_fmas_f32 v0, v0, v4, v5
	v_div_fixup_f32 v0, v0, v9, v10
	global_store_dword v[1:2], v0, off
.LBB42_23:
	s_endpgm
	.section	.rodata,"a",@progbits
	.p2align	6, 0x0
	.amdhsa_kernel _ZL33flash_attn_stream_k_fixup_generalILi64ELi8ELi2EEvPfPK15HIP_vector_typeIfLj2EEiiiiS1_IjLj3EES5_S5_S5_
		.amdhsa_group_segment_fixed_size 0
		.amdhsa_private_segment_fixed_size 0
		.amdhsa_kernarg_size 336
		.amdhsa_user_sgpr_count 6
		.amdhsa_user_sgpr_private_segment_buffer 1
		.amdhsa_user_sgpr_dispatch_ptr 0
		.amdhsa_user_sgpr_queue_ptr 0
		.amdhsa_user_sgpr_kernarg_segment_ptr 1
		.amdhsa_user_sgpr_dispatch_id 0
		.amdhsa_user_sgpr_flat_scratch_init 0
		.amdhsa_user_sgpr_private_segment_size 0
		.amdhsa_uses_dynamic_stack 0
		.amdhsa_system_sgpr_private_segment_wavefront_offset 0
		.amdhsa_system_sgpr_workgroup_id_x 1
		.amdhsa_system_sgpr_workgroup_id_y 1
		.amdhsa_system_sgpr_workgroup_id_z 1
		.amdhsa_system_sgpr_workgroup_info 0
		.amdhsa_system_vgpr_workitem_id 0
		.amdhsa_next_free_vgpr 18
		.amdhsa_next_free_sgpr 36
		.amdhsa_reserve_vcc 1
		.amdhsa_reserve_flat_scratch 0
		.amdhsa_float_round_mode_32 0
		.amdhsa_float_round_mode_16_64 0
		.amdhsa_float_denorm_mode_32 3
		.amdhsa_float_denorm_mode_16_64 3
		.amdhsa_dx10_clamp 1
		.amdhsa_ieee_mode 1
		.amdhsa_fp16_overflow 0
		.amdhsa_exception_fp_ieee_invalid_op 0
		.amdhsa_exception_fp_denorm_src 0
		.amdhsa_exception_fp_ieee_div_zero 0
		.amdhsa_exception_fp_ieee_overflow 0
		.amdhsa_exception_fp_ieee_underflow 0
		.amdhsa_exception_fp_ieee_inexact 0
		.amdhsa_exception_int_div_zero 0
	.end_amdhsa_kernel
	.section	.text._ZL33flash_attn_stream_k_fixup_generalILi64ELi8ELi2EEvPfPK15HIP_vector_typeIfLj2EEiiiiS1_IjLj3EES5_S5_S5_,"axG",@progbits,_ZL33flash_attn_stream_k_fixup_generalILi64ELi8ELi2EEvPfPK15HIP_vector_typeIfLj2EEiiiiS1_IjLj3EES5_S5_S5_,comdat
.Lfunc_end42:
	.size	_ZL33flash_attn_stream_k_fixup_generalILi64ELi8ELi2EEvPfPK15HIP_vector_typeIfLj2EEiiiiS1_IjLj3EES5_S5_S5_, .Lfunc_end42-_ZL33flash_attn_stream_k_fixup_generalILi64ELi8ELi2EEvPfPK15HIP_vector_typeIfLj2EEiiiiS1_IjLj3EES5_S5_S5_
                                        ; -- End function
	.set _ZL33flash_attn_stream_k_fixup_generalILi64ELi8ELi2EEvPfPK15HIP_vector_typeIfLj2EEiiiiS1_IjLj3EES5_S5_S5_.num_vgpr, 18
	.set _ZL33flash_attn_stream_k_fixup_generalILi64ELi8ELi2EEvPfPK15HIP_vector_typeIfLj2EEiiiiS1_IjLj3EES5_S5_S5_.num_agpr, 0
	.set _ZL33flash_attn_stream_k_fixup_generalILi64ELi8ELi2EEvPfPK15HIP_vector_typeIfLj2EEiiiiS1_IjLj3EES5_S5_S5_.numbered_sgpr, 36
	.set _ZL33flash_attn_stream_k_fixup_generalILi64ELi8ELi2EEvPfPK15HIP_vector_typeIfLj2EEiiiiS1_IjLj3EES5_S5_S5_.num_named_barrier, 0
	.set _ZL33flash_attn_stream_k_fixup_generalILi64ELi8ELi2EEvPfPK15HIP_vector_typeIfLj2EEiiiiS1_IjLj3EES5_S5_S5_.private_seg_size, 0
	.set _ZL33flash_attn_stream_k_fixup_generalILi64ELi8ELi2EEvPfPK15HIP_vector_typeIfLj2EEiiiiS1_IjLj3EES5_S5_S5_.uses_vcc, 1
	.set _ZL33flash_attn_stream_k_fixup_generalILi64ELi8ELi2EEvPfPK15HIP_vector_typeIfLj2EEiiiiS1_IjLj3EES5_S5_S5_.uses_flat_scratch, 0
	.set _ZL33flash_attn_stream_k_fixup_generalILi64ELi8ELi2EEvPfPK15HIP_vector_typeIfLj2EEiiiiS1_IjLj3EES5_S5_S5_.has_dyn_sized_stack, 0
	.set _ZL33flash_attn_stream_k_fixup_generalILi64ELi8ELi2EEvPfPK15HIP_vector_typeIfLj2EEiiiiS1_IjLj3EES5_S5_S5_.has_recursion, 0
	.set _ZL33flash_attn_stream_k_fixup_generalILi64ELi8ELi2EEvPfPK15HIP_vector_typeIfLj2EEiiiiS1_IjLj3EES5_S5_S5_.has_indirect_call, 0
	.section	.AMDGPU.csdata,"",@progbits
; Kernel info:
; codeLenInByte = 2940
; TotalNumSgprs: 40
; NumVgprs: 18
; ScratchSize: 0
; MemoryBound: 0
; FloatMode: 240
; IeeeMode: 1
; LDSByteSize: 0 bytes/workgroup (compile time only)
; SGPRBlocks: 4
; VGPRBlocks: 4
; NumSGPRsForWavesPerEU: 40
; NumVGPRsForWavesPerEU: 18
; Occupancy: 10
; WaveLimiterHint : 0
; COMPUTE_PGM_RSRC2:SCRATCH_EN: 0
; COMPUTE_PGM_RSRC2:USER_SGPR: 6
; COMPUTE_PGM_RSRC2:TRAP_HANDLER: 0
; COMPUTE_PGM_RSRC2:TGID_X_EN: 1
; COMPUTE_PGM_RSRC2:TGID_Y_EN: 1
; COMPUTE_PGM_RSRC2:TGID_Z_EN: 1
; COMPUTE_PGM_RSRC2:TIDIG_COMP_CNT: 0
	.section	.text._ZL15flash_attn_tileILi64ELi64ELi4ELi2ELb0EEvPKcS1_S1_S1_S1_PKiPfP15HIP_vector_typeIfLj2EEffffjfiS5_IjLj3EEiiiiiiiiiiiliiliiiiil,"axG",@progbits,_ZL15flash_attn_tileILi64ELi64ELi4ELi2ELb0EEvPKcS1_S1_S1_S1_PKiPfP15HIP_vector_typeIfLj2EEffffjfiS5_IjLj3EEiiiiiiiiiiiliiliiiiil,comdat
	.globl	_ZL15flash_attn_tileILi64ELi64ELi4ELi2ELb0EEvPKcS1_S1_S1_S1_PKiPfP15HIP_vector_typeIfLj2EEffffjfiS5_IjLj3EEiiiiiiiiiiiliiliiiiil ; -- Begin function _ZL15flash_attn_tileILi64ELi64ELi4ELi2ELb0EEvPKcS1_S1_S1_S1_PKiPfP15HIP_vector_typeIfLj2EEffffjfiS5_IjLj3EEiiiiiiiiiiiliiliiiiil
	.p2align	8
	.type	_ZL15flash_attn_tileILi64ELi64ELi4ELi2ELb0EEvPKcS1_S1_S1_S1_PKiPfP15HIP_vector_typeIfLj2EEffffjfiS5_IjLj3EEiiiiiiiiiiiliiliiiiil,@function
_ZL15flash_attn_tileILi64ELi64ELi4ELi2ELb0EEvPKcS1_S1_S1_S1_PKiPfP15HIP_vector_typeIfLj2EEffffjfiS5_IjLj3EEiiiiiiiiiiiliiliiiiil: ; @_ZL15flash_attn_tileILi64ELi64ELi4ELi2ELb0EEvPKcS1_S1_S1_S1_PKiPfP15HIP_vector_typeIfLj2EEffffjfiS5_IjLj3EEiiiiiiiiiiiliiliiiiil
; %bb.0:
	s_load_dwordx4 s[0:3], s[4:5], 0x5c
	s_load_dwordx2 s[30:31], s[4:5], 0x80
	s_load_dwordx2 s[36:37], s[4:5], 0xb8
	s_mov_b64 s[34:35], 0
	s_waitcnt lgkmcnt(0)
	s_lshr_b32 s9, s3, 31
	s_add_i32 s9, s3, s9
	s_ashr_i32 s9, s9, 1
	v_cvt_f32_u32_e32 v2, s9
	s_sub_i32 s10, 0, s9
	v_rcp_iflag_f32_e32 v2, v2
	v_mul_f32_e32 v2, 0x4f7ffffe, v2
	v_cvt_u32_f32_e32 v2, v2
	v_readfirstlane_b32 s11, v2
	s_mul_i32 s10, s10, s11
	s_mul_hi_u32 s10, s11, s10
	s_add_i32 s11, s11, s10
	s_mul_hi_u32 s10, s8, s11
	s_mul_i32 s11, s10, s9
	s_sub_i32 s11, s8, s11
	s_add_i32 s12, s10, 1
	s_sub_i32 s13, s11, s9
	s_cmp_ge_u32 s11, s9
	s_cselect_b32 s10, s12, s10
	s_cselect_b32 s11, s13, s11
	s_add_i32 s12, s10, 1
	s_cmp_ge_u32 s11, s9
	s_cselect_b32 s33, s12, s10
	s_abs_i32 s9, s31
	v_cvt_f32_u32_e32 v2, s9
	s_lshl_b32 s8, s8, 1
	s_mul_i32 s12, s33, s3
	s_sub_i32 s13, 0, s9
	v_rcp_iflag_f32_e32 v2, v2
	s_sub_i32 s28, s8, s12
	s_abs_i32 s11, s3
	s_xor_b32 s10, s3, s31
	v_mul_f32_e32 v2, 0x4f7ffffe, v2
	v_cvt_u32_f32_e32 v2, v2
	s_ashr_i32 s10, s10, 31
	v_readfirstlane_b32 s8, v2
	s_mul_i32 s13, s13, s8
	s_mul_hi_u32 s12, s8, s13
	s_add_i32 s8, s8, s12
	s_mul_hi_u32 s8, s11, s8
	s_mul_i32 s12, s8, s9
	s_sub_i32 s11, s11, s12
	s_add_i32 s13, s8, 1
	s_sub_i32 s12, s11, s9
	s_cmp_ge_u32 s11, s9
	s_cselect_b32 s8, s13, s8
	s_cselect_b32 s11, s12, s11
	s_add_i32 s12, s8, 1
	s_cmp_ge_u32 s11, s9
	s_cselect_b32 s8, s12, s8
	s_xor_b32 s8, s8, s10
	s_sub_i32 s31, s8, s10
	s_abs_i32 s29, s31
	v_cvt_f32_u32_e32 v2, s29
	s_load_dwordx16 s[8:23], s[4:5], 0x0
	v_rcp_iflag_f32_e32 v2, v2
	s_waitcnt lgkmcnt(0)
	s_cmp_eq_u64 s[14:15], 0
	v_mul_f32_e32 v2, 0x4f7ffffe, v2
	v_cvt_u32_f32_e32 v2, v2
	v_readfirstlane_b32 s38, v2
	s_cbranch_scc1 .LBB43_2
; %bb.1:
	s_abs_i32 s26, s36
	v_cvt_f32_u32_e32 v2, s26
	s_sub_i32 s35, 0, s26
	s_abs_i32 s34, s33
	s_ashr_i32 s27, s33, 31
	v_rcp_iflag_f32_e32 v2, v2
	s_load_dwordx2 s[24:25], s[4:5], 0xc8
	v_mul_f32_e32 v2, 0x4f7ffffe, v2
	v_cvt_u32_f32_e32 v2, v2
	v_readfirstlane_b32 s36, v2
	s_mul_i32 s35, s35, s36
	s_mul_hi_u32 s35, s36, s35
	s_add_i32 s36, s36, s35
	s_mul_hi_u32 s35, s34, s36
	s_mul_i32 s35, s35, s26
	s_sub_i32 s34, s34, s35
	s_sub_i32 s35, s34, s26
	s_cmp_ge_u32 s34, s26
	s_cselect_b32 s34, s35, s34
	s_sub_i32 s35, s34, s26
	s_cmp_ge_u32 s34, s26
	s_cselect_b32 s26, s35, s34
	s_xor_b32 s26, s26, s27
	s_sub_i32 s26, s26, s27
	s_ashr_i32 s27, s26, 31
	s_waitcnt lgkmcnt(0)
	s_mul_hi_u32 s34, s24, s26
	s_mul_i32 s27, s24, s27
	s_mul_i32 s25, s25, s26
	s_add_i32 s27, s34, s27
	s_add_i32 s27, s27, s25
	s_mul_i32 s24, s24, s26
	s_add_u32 s34, s14, s24
	s_addc_u32 s35, s15, s27
.LBB43_2:
	s_load_dwordx4 s[24:27], s[4:5], 0x70
	v_lshl_add_u32 v13, s6, 2, v1
	v_mul_hi_u32 v2, s0, v13
	s_waitcnt lgkmcnt(0)
	s_mul_i32 s0, s33, s26
	v_add_u32_e32 v2, v13, v2
	s_ashr_i32 s15, s0, 31
	v_lshrrev_b32_e32 v2, s1, v2
	s_mul_i32 s14, s28, s25
	s_add_u32 s0, s8, s0
	v_mul_lo_u32 v2, v2, s2
	s_addc_u32 s8, s9, s15
	s_ashr_i32 s1, s14, 31
	s_add_u32 s14, s0, s14
	s_addc_u32 s15, s8, s1
	s_ashr_i32 s1, s24, 31
	s_mov_b32 s0, s24
	v_sub_u32_e32 v2, v13, v2
	s_lshr_b64 s[8:9], s[0:1], 2
	v_mad_u64_u32 v[3:4], s[8:9], s8, v2, 0
	s_lshr_b32 s0, s1, 2
	v_mad_u64_u32 v[4:5], s[0:1], s0, v2, v[4:5]
	v_mov_b32_e32 v5, s15
	s_ashr_i32 s0, s25, 31
	v_lshlrev_b64 v[3:4], 2, v[3:4]
	s_and_b32 s1, s25, -4
	v_add_co_u32_e32 v3, vcc, s14, v3
	v_addc_co_u32_e32 v4, vcc, v5, v4, vcc
	v_lshlrev_b32_e32 v5, 3, v0
	v_add_co_u32_e32 v3, vcc, v3, v5
	v_addc_co_u32_e32 v4, vcc, 0, v4, vcc
	global_load_dwordx2 v[5:6], v[3:4], off
	v_mov_b32_e32 v7, s0
	v_add_co_u32_e32 v3, vcc, s1, v3
	v_addc_co_u32_e32 v4, vcc, v4, v7, vcc
	global_load_dwordx2 v[3:4], v[3:4], off
	s_load_dword s0, s[4:5], 0x40
	v_mov_b32_e32 v7, 0x1200
	v_lshl_add_u32 v14, v1, 8, v7
	v_lshl_add_u32 v7, v0, 2, v14
	s_cmp_eq_u64 s[18:19], 0
	s_waitcnt vmcnt(1) lgkmcnt(0)
	v_fma_mixlo_f16 v6, s0, v6, 0
	v_fma_mixlo_f16 v5, s0, v5, 0
	v_lshlrev_b32_e32 v6, 16, v6
	v_or_b32_sdwa v5, v6, v5 dst_sel:DWORD dst_unused:UNUSED_PAD src0_sel:DWORD src1_sel:WORD_0
	s_waitcnt vmcnt(0)
	v_fma_mixlo_f16 v4, s0, v4, 0
	v_fma_mixlo_f16 v3, s0, v3, 0
	v_lshlrev_b32_e32 v4, 16, v4
	v_or_b32_sdwa v3, v4, v3 dst_sel:DWORD dst_unused:UNUSED_PAD src0_sel:DWORD src1_sel:WORD_0
	ds_write2_b32 v7, v5, v3 offset1:32
	s_waitcnt lgkmcnt(0)
	s_barrier
	s_cbranch_scc1 .LBB43_4
; %bb.3:
	s_load_dword s0, s[4:5], 0xd0
	s_mov_b32 s1, 0
	s_waitcnt lgkmcnt(0)
	s_mul_i32 s0, s0, s33
	s_add_i32 s0, s0, s6
	s_lshl_b64 s[0:1], s[0:1], 2
	s_add_u32 s0, s18, s0
	s_addc_u32 s1, s19, s1
	s_load_dword s30, s[0:1], 0x0
.LBB43_4:
	s_lshl_b32 s6, s7, 5
	s_waitcnt lgkmcnt(0)
	s_cmp_lt_i32 s6, s30
	v_mbcnt_lo_u32_b32 v7, -1, 0
	s_cbranch_scc1 .LBB43_7
; %bb.5:
	v_mbcnt_hi_u32_b32 v15, -1, v7
	v_and_b32_e32 v3, 0x60, v15
	v_add_u32_e32 v16, 32, v3
	v_xor_b32_e32 v21, 16, v15
	v_xor_b32_e32 v20, 8, v15
	;; [unrolled: 1-line block ×5, first 2 shown]
	s_cbranch_execz .LBB43_8
; %bb.6:
	v_mov_b32_e32 v37, 0
	v_mov_b32_e32 v1, 0
	;; [unrolled: 1-line block ×6, first 2 shown]
	s_branch .LBB43_10
.LBB43_7:
                                        ; implicit-def: $vgpr15
                                        ; implicit-def: $vgpr16
                                        ; implicit-def: $vgpr21
                                        ; implicit-def: $vgpr20
                                        ; implicit-def: $vgpr19
                                        ; implicit-def: $vgpr18
                                        ; implicit-def: $vgpr17
.LBB43_8:
	s_sub_i32 s0, 0, s29
	s_mul_i32 s0, s0, s38
	s_mul_hi_u32 s0, s38, s0
	s_add_i32 s38, s38, s0
	s_load_dwordx2 s[0:1], s[4:5], 0x8c
	s_load_dwordx4 s[24:27], s[4:5], 0x98
	s_abs_i32 s18, s28
	s_mul_hi_u32 s19, s18, s38
	s_ashr_i32 s36, s28, 31
	s_waitcnt lgkmcnt(0)
	s_ashr_i32 s15, s0, 2
	s_ashr_i32 s0, s33, 31
	;; [unrolled: 1-line block ×4, first 2 shown]
	s_mul_hi_u32 s37, s24, s33
	s_mul_i32 s38, s24, s0
	s_add_i32 s37, s37, s38
	s_mul_i32 s25, s25, s33
	s_ashr_i32 s31, s31, 31
	s_add_i32 s37, s37, s25
	s_mul_i32 s24, s24, s33
	s_add_u32 s10, s10, s24
	s_mul_i32 s25, s19, s29
	s_addc_u32 s11, s11, s37
	s_sub_i32 s18, s18, s25
	s_xor_b32 s24, s36, s31
	s_add_i32 s25, s19, 1
	s_sub_i32 s31, s18, s29
	s_cmp_ge_u32 s18, s29
	s_cselect_b32 s19, s25, s19
	s_cselect_b32 s18, s31, s18
	s_add_i32 s25, s19, 1
	s_cmp_ge_u32 s18, s29
	s_load_dwordx2 s[8:9], s[4:5], 0xa8
	s_cselect_b32 s18, s25, s19
	s_xor_b32 s18, s18, s24
	s_sub_i32 s18, s18, s24
	s_mul_i32 s1, s18, s1
	s_ashr_i32 s19, s1, 31
	s_add_u32 s10, s10, s1
	s_waitcnt lgkmcnt(0)
	s_mul_hi_u32 s1, s8, s33
	s_mul_i32 s0, s8, s0
	s_addc_u32 s11, s11, s19
	s_add_i32 s0, s1, s0
	s_mul_i32 s1, s9, s33
	v_lshrrev_b32_e32 v3, 3, v0
	s_add_i32 s0, s0, s1
	s_mul_i32 s1, s8, s33
	v_lshl_add_u32 v6, v1, 2, v3
	s_add_u32 s1, s12, s1
	s_mul_i32 s18, s18, s27
	v_mul_lo_u32 v4, s15, v6
	v_mul_lo_u32 v34, s14, v6
	s_addc_u32 s0, s13, s0
	s_ashr_i32 s8, s18, 31
	v_lshlrev_b32_e32 v22, 2, v0
	s_add_u32 s12, s1, s18
	v_and_b32_e32 v10, 28, v22
	s_addc_u32 s13, s0, s8
	v_lshlrev_b32_e32 v11, 2, v10
	s_movk_i32 s0, 0x90
	v_mad_u32_u24 v23, v6, s0, v11
	v_lshl_add_u32 v8, s15, 4, v4
	v_mad_u64_u32 v[2:3], s[0:1], v2, s26, v[0:1]
	v_lshl_add_u32 v36, s14, 4, v34
	v_ashrrev_i32_e32 v5, 31, v4
	v_ashrrev_i32_e32 v9, 31, v8
	v_mov_b32_e32 v3, 0x1600
	v_ashrrev_i32_e32 v35, 31, v34
	v_ashrrev_i32_e32 v37, 31, v36
	v_mbcnt_hi_u32_b32 v15, -1, v7
	v_lshl_add_u32 v26, v1, 7, v3
	v_lshl_or_b32 v27, v6, 7, v11
	s_add_u32 s0, s4, 0xd0
	v_lshlrev_b64 v[3:4], 2, v[4:5]
	v_lshlrev_b32_e32 v30, 2, v10
	v_lshlrev_b64 v[5:6], 2, v[8:9]
	v_and_b32_e32 v1, 0x60, v15
	v_lshlrev_b64 v[7:8], 2, v[34:35]
	v_lshlrev_b64 v[9:10], 2, v[36:37]
	v_mov_b32_e32 v28, 0
	v_add_u32_e32 v24, 0x900, v23
	v_mul_u32_u24_e32 v25, 0x90, v0
	v_add_u32_e32 v29, 0x800, v27
	s_addc_u32 s1, s5, 0
	v_mov_b32_e32 v11, 0xfeffffff
	v_mov_b32_e32 v31, s35
	v_add_u32_e32 v16, 32, v1
	v_xor_b32_e32 v21, 16, v15
	v_xor_b32_e32 v20, 8, v15
	;; [unrolled: 1-line block ×5, first 2 shown]
	s_mov_b32 s18, 0x3fb8aa3b
	s_mov_b32 s19, 0xc2ce8ed0
	;; [unrolled: 1-line block ×3, first 2 shown]
	v_mov_b32_e32 v32, 0x7f800000
	s_mov_b32 s25, 0x10001
	v_add_u32_e32 v33, v26, v22
	v_add_u32_e32 v34, 0x400, v22
	;; [unrolled: 1-line block ×4, first 2 shown]
	v_mov_b32_e32 v37, 0
	v_mov_b32_e32 v12, 0xfeffffff
	;; [unrolled: 1-line block ×4, first 2 shown]
.LBB43_9:                               ; =>This Inner Loop Header: Depth=1
	s_mul_hi_i32 s9, s6, s15
	s_mul_i32 s8, s6, s15
	s_lshl_b64 s[8:9], s[8:9], 2
	s_add_u32 s8, s10, s8
	s_addc_u32 s9, s11, s9
	v_mov_b32_e32 v39, v38
	v_mov_b32_e32 v40, v12
	;; [unrolled: 1-line block ×3, first 2 shown]
	v_add_co_u32_e32 v11, vcc, s8, v3
	v_mov_b32_e32 v12, s9
	v_addc_co_u32_e32 v12, vcc, v12, v4, vcc
	v_add_co_u32_e32 v11, vcc, v11, v30
	v_addc_co_u32_e32 v12, vcc, 0, v12, vcc
	global_load_dwordx4 v[41:44], v[11:12], off
	v_add_co_u32_e32 v11, vcc, s8, v5
	v_mov_b32_e32 v12, s9
	v_addc_co_u32_e32 v12, vcc, v12, v6, vcc
	v_add_co_u32_e32 v11, vcc, v11, v30
	v_addc_co_u32_e32 v12, vcc, 0, v12, vcc
	s_mul_hi_i32 s9, s6, s14
	s_mul_i32 s8, s6, s14
	s_lshl_b64 s[8:9], s[8:9], 2
	s_add_u32 s8, s12, s8
	s_addc_u32 s9, s13, s9
	s_waitcnt vmcnt(0)
	ds_write_b128 v23, v[41:44]
	global_load_dwordx4 v[41:44], v[11:12], off
	v_mov_b32_e32 v11, 0
	v_mov_b32_e32 v12, 0
	s_waitcnt vmcnt(0)
	ds_write_b128 v24, v[41:44]
	s_waitcnt lgkmcnt(0)
	s_barrier
	ds_read_b128 v[41:44], v25
	ds_read_b128 v[45:48], v14
	ds_read_b128 v[49:52], v14 offset:128
	s_waitcnt lgkmcnt(1)
	;;#ASMSTART
	v_dot2_f32_f16 v11, v41, v45, v11
	;;#ASMEND
	;;#ASMSTART
	v_dot2_f32_f16 v11, v42, v46, v11
	;;#ASMEND
	;;#ASMSTART
	v_dot2_f32_f16 v11, v43, v47, v11
	;;#ASMEND
	;;#ASMSTART
	v_dot2_f32_f16 v11, v44, v48, v11
	;;#ASMEND
	s_waitcnt lgkmcnt(0)
	;;#ASMSTART
	v_dot2_f32_f16 v12, v41, v49, v12
	;;#ASMEND
	;;#ASMSTART
	v_dot2_f32_f16 v12, v42, v50, v12
	;;#ASMEND
	;;#ASMSTART
	v_dot2_f32_f16 v12, v43, v51, v12
	;;#ASMEND
	;;#ASMSTART
	v_dot2_f32_f16 v12, v44, v52, v12
	;;#ASMEND
	ds_read_b128 v[41:44], v25 offset:16
	ds_read_b128 v[45:48], v14 offset:16
	ds_read_b128 v[49:52], v14 offset:144
	s_waitcnt lgkmcnt(1)
	;;#ASMSTART
	v_dot2_f32_f16 v11, v41, v45, v11
	;;#ASMEND
	;;#ASMSTART
	v_dot2_f32_f16 v11, v42, v46, v11
	;;#ASMEND
	;;#ASMSTART
	v_dot2_f32_f16 v11, v43, v47, v11
	;;#ASMEND
	;;#ASMSTART
	v_dot2_f32_f16 v11, v44, v48, v11
	;;#ASMEND
	s_waitcnt lgkmcnt(0)
	;;#ASMSTART
	v_dot2_f32_f16 v12, v41, v49, v12
	;;#ASMEND
	;;#ASMSTART
	v_dot2_f32_f16 v12, v42, v50, v12
	;;#ASMEND
	;;#ASMSTART
	v_dot2_f32_f16 v12, v43, v51, v12
	;;#ASMEND
	;;#ASMSTART
	v_dot2_f32_f16 v12, v44, v52, v12
	;;#ASMEND
	ds_read_b128 v[41:44], v25 offset:32
	ds_read_b128 v[45:48], v14 offset:32
	;; [unrolled: 29-line block ×7, first 2 shown]
	ds_read_b128 v[49:52], v14 offset:240
	s_waitcnt lgkmcnt(1)
	;;#ASMSTART
	v_dot2_f32_f16 v11, v41, v45, v11
	;;#ASMEND
	;;#ASMSTART
	v_dot2_f32_f16 v11, v42, v46, v11
	;;#ASMEND
	;; [unrolled: 3-line block ×4, first 2 shown]
	s_waitcnt lgkmcnt(0)
	;;#ASMSTART
	v_dot2_f32_f16 v12, v41, v49, v12
	;;#ASMEND
	v_add_u32_e32 v41, s6, v2
	;;#ASMSTART
	v_dot2_f32_f16 v12, v42, v50, v12
	;;#ASMEND
	v_ashrrev_i32_e32 v42, 31, v41
	v_lshlrev_b64 v[41:42], 1, v[41:42]
	;;#ASMSTART
	v_dot2_f32_f16 v12, v43, v51, v12
	;;#ASMEND
	v_add_co_u32_e32 v41, vcc, s34, v41
	v_addc_co_u32_e32 v42, vcc, v31, v42, vcc
	;;#ASMSTART
	v_dot2_f32_f16 v12, v44, v52, v12
	;;#ASMEND
	global_load_ushort v41, v[41:42], off
	v_cmp_lt_i32_e32 vcc, v21, v16
	v_cndmask_b32_e32 v42, v15, v21, vcc
	v_max_f32_e32 v48, v38, v38
	v_lshlrev_b32_e32 v42, 2, v42
	v_cmp_lt_i32_e32 vcc, v20, v16
	v_cndmask_b32_e32 v43, v15, v20, vcc
	v_lshlrev_b32_e32 v43, 2, v43
	v_cmp_lt_i32_e32 vcc, v19, v16
	v_cndmask_b32_e32 v44, v15, v19, vcc
	;; [unrolled: 3-line block ×4, first 2 shown]
	v_lshlrev_b32_e32 v46, 2, v46
	s_waitcnt vmcnt(0)
	s_barrier
	v_cvt_f32_f16_e32 v41, v41
	v_add_f32_e32 v47, v11, v41
	v_add_f32_e32 v11, 0x40051340, v47
	v_max_f32_e32 v11, v48, v11
	ds_bpermute_b32 v48, v42, v11
	v_add_f32_e32 v41, v12, v41
	v_add_f32_e32 v12, 0x40051340, v41
	s_waitcnt lgkmcnt(0)
	v_max_f32_e32 v48, v48, v48
	v_max_f32_e32 v11, v11, v48
	ds_bpermute_b32 v48, v43, v11
	s_waitcnt lgkmcnt(0)
	v_max_f32_e32 v48, v48, v48
	v_max_f32_e32 v11, v11, v48
	ds_bpermute_b32 v48, v44, v11
	;; [unrolled: 4-line block ×4, first 2 shown]
	s_waitcnt lgkmcnt(0)
	v_max_f32_e32 v48, v48, v48
	v_max_f32_e32 v11, v11, v48
	;; [unrolled: 1-line block ×4, first 2 shown]
	ds_bpermute_b32 v42, v42, v12
	v_sub_f32_e32 v38, v38, v11
	v_cmp_ngt_f32_e32 vcc, s19, v38
	s_waitcnt lgkmcnt(0)
	v_max_f32_e32 v42, v42, v42
	v_max_f32_e32 v12, v12, v42
	ds_bpermute_b32 v42, v43, v12
	s_waitcnt lgkmcnt(0)
	v_max_f32_e32 v42, v42, v42
	v_max_f32_e32 v12, v12, v42
	ds_bpermute_b32 v42, v44, v12
	;; [unrolled: 4-line block ×4, first 2 shown]
	s_waitcnt lgkmcnt(0)
	v_max_f32_e32 v42, v42, v42
	v_max_f32_e32 v12, v12, v42
	v_mul_f32_e32 v42, 0x3fb8aa3b, v38
	v_fma_f32 v43, v38, s18, -v42
	v_rndne_f32_e32 v44, v42
	v_fmac_f32_e32 v43, 0x32a5705f, v38
	v_sub_f32_e32 v42, v42, v44
	v_add_f32_e32 v42, v42, v43
	v_exp_f32_e32 v42, v42
	v_cvt_i32_f32_e32 v43, v44
	v_sub_f32_e32 v40, v40, v12
	v_sub_f32_e32 v41, v41, v12
	v_ldexp_f32 v42, v42, v43
	v_cndmask_b32_e32 v42, 0, v42, vcc
	v_cmp_nlt_f32_e32 vcc, s24, v38
	v_sub_f32_e32 v38, v47, v11
	v_mul_f32_e32 v43, 0x3fb8aa3b, v38
	v_fma_f32 v44, v38, s18, -v43
	v_rndne_f32_e32 v45, v43
	v_fmac_f32_e32 v44, 0x32a5705f, v38
	v_sub_f32_e32 v43, v43, v45
	v_add_f32_e32 v43, v43, v44
	v_exp_f32_e32 v43, v43
	v_cvt_i32_f32_e32 v44, v45
	v_cndmask_b32_e32 v42, v32, v42, vcc
	v_cmp_ngt_f32_e32 vcc, s19, v38
	v_ldexp_f32 v43, v43, v44
	v_cndmask_b32_e32 v43, 0, v43, vcc
	v_cmp_nlt_f32_e32 vcc, s24, v38
	v_cndmask_b32_e32 v38, v32, v43, vcc
	v_cvt_f16_f32_e32 v43, v38
	v_fmac_f32_e32 v38, v39, v42
	v_cvt_f16_f32_e32 v39, v42
	v_mul_f32_e32 v42, 0x3fb8aa3b, v40
	v_fma_f32 v44, v40, s18, -v42
	v_rndne_f32_e32 v45, v42
	v_fmac_f32_e32 v44, 0x32a5705f, v40
	v_sub_f32_e32 v42, v42, v45
	v_add_f32_e32 v42, v42, v44
	v_exp_f32_e32 v42, v42
	v_cvt_i32_f32_e32 v44, v45
	v_cmp_ngt_f32_e32 vcc, s19, v40
	v_mul_u32_u24_e32 v39, 0x10001, v39
	v_ldexp_f32 v42, v42, v44
	v_cndmask_b32_e32 v42, 0, v42, vcc
	v_cmp_nlt_f32_e32 vcc, s24, v40
	v_cndmask_b32_e32 v40, v32, v42, vcc
	v_mul_f32_e32 v42, 0x3fb8aa3b, v41
	v_fma_f32 v44, v41, s18, -v42
	v_rndne_f32_e32 v45, v42
	v_fmac_f32_e32 v44, 0x32a5705f, v41
	v_sub_f32_e32 v42, v42, v45
	v_add_f32_e32 v42, v42, v44
	v_exp_f32_e32 v42, v42
	v_cvt_i32_f32_e32 v44, v45
	v_cmp_ngt_f32_e32 vcc, s19, v41
	v_ldexp_f32 v42, v42, v44
	v_cndmask_b32_e32 v42, 0, v42, vcc
	v_cmp_nlt_f32_e32 vcc, s24, v41
	v_cndmask_b32_e32 v41, v32, v42, vcc
	v_cvt_f16_f32_e32 v42, v41
	v_mov_b32_e32 v44, v1
	v_mov_b32_e32 v1, v41
	v_fmac_f32_e32 v1, v44, v40
	v_pack_b32_f16 v41, v43, v42
	ds_write_b32 v33, v41
	v_add_co_u32_e32 v41, vcc, s8, v7
	v_mov_b32_e32 v42, s9
	v_addc_co_u32_e32 v42, vcc, v42, v8, vcc
	v_add_co_u32_e32 v41, vcc, v41, v30
	v_addc_co_u32_e32 v42, vcc, 0, v42, vcc
	v_add_co_u32_e32 v43, vcc, s8, v9
	v_mov_b32_e32 v44, s9
	v_addc_co_u32_e32 v44, vcc, v44, v10, vcc
	v_add_co_u32_e32 v45, vcc, v43, v30
	v_addc_co_u32_e32 v46, vcc, 0, v44, vcc
	global_load_dwordx4 v[41:44], v[41:42], off
	v_cvt_f16_f32_e32 v40, v40
	v_mul_u32_u24_e32 v40, 0x10001, v40
	s_waitcnt vmcnt(0)
	ds_write_b128 v27, v[41:44]
	global_load_dwordx4 v[41:44], v[45:46], off
	s_waitcnt vmcnt(0)
	ds_write_b128 v29, v[41:44]
	s_waitcnt lgkmcnt(0)
	s_barrier
	ds_read2_b32 v[57:58], v22 offset1:32
	ds_read_b128 v[41:44], v26
	ds_read_b128 v[45:48], v26 offset:16
	ds_read_b128 v[49:52], v26 offset:32
	;; [unrolled: 1-line block ×3, first 2 shown]
	s_waitcnt lgkmcnt(3)
	v_mul_u32_u24_sdwa v59, v41, s25 dst_sel:DWORD dst_unused:UNUSED_PAD src0_sel:WORD_0 src1_sel:DWORD
	v_mul_u32_u24_sdwa v41, v41, s25 dst_sel:DWORD dst_unused:UNUSED_PAD src0_sel:WORD_1 src1_sel:DWORD
	v_pk_mul_f16 v59, v57, v59
	v_pk_fma_f16 v37, v37, v39, v59
	v_pk_mul_f16 v39, v57, v41
	v_pk_fma_f16 v28, v28, v40, v39
	v_mul_u32_u24_sdwa v39, v42, s25 dst_sel:DWORD dst_unused:UNUSED_PAD src0_sel:WORD_0 src1_sel:DWORD
	v_mul_u32_u24_sdwa v40, v42, s25 dst_sel:DWORD dst_unused:UNUSED_PAD src0_sel:WORD_1 src1_sel:DWORD
	v_pk_fma_f16 v37, v58, v39, v37
	v_pk_fma_f16 v28, v58, v40, v28
	ds_read2_b32 v[39:40], v22 offset0:64 offset1:96
	v_mul_u32_u24_sdwa v41, v43, s25 dst_sel:DWORD dst_unused:UNUSED_PAD src0_sel:WORD_0 src1_sel:DWORD
	v_mul_u32_u24_sdwa v42, v43, s25 dst_sel:DWORD dst_unused:UNUSED_PAD src0_sel:WORD_1 src1_sel:DWORD
	s_waitcnt lgkmcnt(0)
	v_pk_fma_f16 v37, v39, v41, v37
	v_pk_fma_f16 v28, v39, v42, v28
	v_mul_u32_u24_sdwa v39, v44, s25 dst_sel:DWORD dst_unused:UNUSED_PAD src0_sel:WORD_0 src1_sel:DWORD
	v_mul_u32_u24_sdwa v41, v44, s25 dst_sel:DWORD dst_unused:UNUSED_PAD src0_sel:WORD_1 src1_sel:DWORD
	v_pk_fma_f16 v37, v40, v39, v37
	v_pk_fma_f16 v28, v40, v41, v28
	ds_read2_b32 v[39:40], v22 offset0:128 offset1:160
	v_mul_u32_u24_sdwa v41, v45, s25 dst_sel:DWORD dst_unused:UNUSED_PAD src0_sel:WORD_0 src1_sel:DWORD
	v_mul_u32_u24_sdwa v42, v45, s25 dst_sel:DWORD dst_unused:UNUSED_PAD src0_sel:WORD_1 src1_sel:DWORD
	s_waitcnt lgkmcnt(0)
	v_pk_fma_f16 v37, v39, v41, v37
	v_pk_fma_f16 v28, v39, v42, v28
	v_mul_u32_u24_sdwa v39, v46, s25 dst_sel:DWORD dst_unused:UNUSED_PAD src0_sel:WORD_0 src1_sel:DWORD
	v_mul_u32_u24_sdwa v41, v46, s25 dst_sel:DWORD dst_unused:UNUSED_PAD src0_sel:WORD_1 src1_sel:DWORD
	v_pk_fma_f16 v37, v40, v39, v37
	v_pk_fma_f16 v28, v40, v41, v28
	ds_read2_b32 v[39:40], v22 offset0:192 offset1:224
	v_mul_u32_u24_sdwa v41, v47, s25 dst_sel:DWORD dst_unused:UNUSED_PAD src0_sel:WORD_0 src1_sel:DWORD
	v_mul_u32_u24_sdwa v42, v47, s25 dst_sel:DWORD dst_unused:UNUSED_PAD src0_sel:WORD_1 src1_sel:DWORD
	s_waitcnt lgkmcnt(0)
	v_pk_fma_f16 v37, v39, v41, v37
	v_pk_fma_f16 v28, v39, v42, v28
	v_mul_u32_u24_sdwa v39, v48, s25 dst_sel:DWORD dst_unused:UNUSED_PAD src0_sel:WORD_0 src1_sel:DWORD
	v_mul_u32_u24_sdwa v41, v48, s25 dst_sel:DWORD dst_unused:UNUSED_PAD src0_sel:WORD_1 src1_sel:DWORD
	v_pk_fma_f16 v37, v40, v39, v37
	v_pk_fma_f16 v28, v40, v41, v28
	ds_read2_b32 v[39:40], v34 offset1:32
	v_mul_u32_u24_sdwa v41, v49, s25 dst_sel:DWORD dst_unused:UNUSED_PAD src0_sel:WORD_0 src1_sel:DWORD
	v_mul_u32_u24_sdwa v42, v49, s25 dst_sel:DWORD dst_unused:UNUSED_PAD src0_sel:WORD_1 src1_sel:DWORD
	s_waitcnt lgkmcnt(0)
	v_pk_fma_f16 v37, v39, v41, v37
	v_pk_fma_f16 v28, v39, v42, v28
	v_mul_u32_u24_sdwa v39, v50, s25 dst_sel:DWORD dst_unused:UNUSED_PAD src0_sel:WORD_0 src1_sel:DWORD
	v_mul_u32_u24_sdwa v41, v50, s25 dst_sel:DWORD dst_unused:UNUSED_PAD src0_sel:WORD_1 src1_sel:DWORD
	v_pk_fma_f16 v37, v40, v39, v37
	v_pk_fma_f16 v28, v40, v41, v28
	ds_read2_b32 v[39:40], v34 offset0:64 offset1:96
	v_mul_u32_u24_sdwa v41, v51, s25 dst_sel:DWORD dst_unused:UNUSED_PAD src0_sel:WORD_0 src1_sel:DWORD
	v_mul_u32_u24_sdwa v42, v51, s25 dst_sel:DWORD dst_unused:UNUSED_PAD src0_sel:WORD_1 src1_sel:DWORD
	s_waitcnt lgkmcnt(0)
	v_pk_fma_f16 v37, v39, v41, v37
	v_pk_fma_f16 v28, v39, v42, v28
	v_mul_u32_u24_sdwa v39, v52, s25 dst_sel:DWORD dst_unused:UNUSED_PAD src0_sel:WORD_0 src1_sel:DWORD
	v_mul_u32_u24_sdwa v41, v52, s25 dst_sel:DWORD dst_unused:UNUSED_PAD src0_sel:WORD_1 src1_sel:DWORD
	v_pk_fma_f16 v37, v40, v39, v37
	v_pk_fma_f16 v28, v40, v41, v28
	ds_read2_b32 v[39:40], v34 offset0:128 offset1:160
	;; [unrolled: 10-line block ×3, first 2 shown]
	v_mul_u32_u24_sdwa v41, v55, s25 dst_sel:DWORD dst_unused:UNUSED_PAD src0_sel:WORD_0 src1_sel:DWORD
	v_mul_u32_u24_sdwa v42, v55, s25 dst_sel:DWORD dst_unused:UNUSED_PAD src0_sel:WORD_1 src1_sel:DWORD
	s_waitcnt lgkmcnt(0)
	v_pk_fma_f16 v37, v39, v41, v37
	v_pk_fma_f16 v28, v39, v42, v28
	v_mul_u32_u24_sdwa v39, v56, s25 dst_sel:DWORD dst_unused:UNUSED_PAD src0_sel:WORD_0 src1_sel:DWORD
	v_mul_u32_u24_sdwa v41, v56, s25 dst_sel:DWORD dst_unused:UNUSED_PAD src0_sel:WORD_1 src1_sel:DWORD
	v_pk_fma_f16 v37, v40, v39, v37
	v_pk_fma_f16 v28, v40, v41, v28
	ds_read2_b32 v[43:44], v35 offset1:32
	ds_read_b128 v[39:42], v26 offset:64
	s_waitcnt lgkmcnt(0)
	v_mul_u32_u24_sdwa v45, v39, s25 dst_sel:DWORD dst_unused:UNUSED_PAD src0_sel:WORD_0 src1_sel:DWORD
	v_mul_u32_u24_sdwa v39, v39, s25 dst_sel:DWORD dst_unused:UNUSED_PAD src0_sel:WORD_1 src1_sel:DWORD
	v_pk_fma_f16 v37, v43, v45, v37
	v_pk_fma_f16 v28, v43, v39, v28
	v_mul_u32_u24_sdwa v39, v40, s25 dst_sel:DWORD dst_unused:UNUSED_PAD src0_sel:WORD_0 src1_sel:DWORD
	v_mul_u32_u24_sdwa v40, v40, s25 dst_sel:DWORD dst_unused:UNUSED_PAD src0_sel:WORD_1 src1_sel:DWORD
	v_pk_fma_f16 v37, v44, v39, v37
	v_pk_fma_f16 v28, v44, v40, v28
	ds_read2_b32 v[39:40], v35 offset0:64 offset1:96
	v_mul_u32_u24_sdwa v43, v41, s25 dst_sel:DWORD dst_unused:UNUSED_PAD src0_sel:WORD_0 src1_sel:DWORD
	v_mul_u32_u24_sdwa v41, v41, s25 dst_sel:DWORD dst_unused:UNUSED_PAD src0_sel:WORD_1 src1_sel:DWORD
	s_waitcnt lgkmcnt(0)
	v_pk_fma_f16 v37, v39, v43, v37
	v_pk_fma_f16 v28, v39, v41, v28
	v_mul_u32_u24_sdwa v39, v42, s25 dst_sel:DWORD dst_unused:UNUSED_PAD src0_sel:WORD_0 src1_sel:DWORD
	v_mul_u32_u24_sdwa v41, v42, s25 dst_sel:DWORD dst_unused:UNUSED_PAD src0_sel:WORD_1 src1_sel:DWORD
	v_pk_fma_f16 v37, v40, v39, v37
	v_pk_fma_f16 v28, v40, v41, v28
	ds_read2_b32 v[43:44], v35 offset0:128 offset1:160
	ds_read_b128 v[39:42], v26 offset:80
	s_waitcnt lgkmcnt(0)
	v_mul_u32_u24_sdwa v45, v39, s25 dst_sel:DWORD dst_unused:UNUSED_PAD src0_sel:WORD_0 src1_sel:DWORD
	v_mul_u32_u24_sdwa v39, v39, s25 dst_sel:DWORD dst_unused:UNUSED_PAD src0_sel:WORD_1 src1_sel:DWORD
	v_pk_fma_f16 v37, v43, v45, v37
	v_pk_fma_f16 v28, v43, v39, v28
	v_mul_u32_u24_sdwa v39, v40, s25 dst_sel:DWORD dst_unused:UNUSED_PAD src0_sel:WORD_0 src1_sel:DWORD
	v_mul_u32_u24_sdwa v40, v40, s25 dst_sel:DWORD dst_unused:UNUSED_PAD src0_sel:WORD_1 src1_sel:DWORD
	v_pk_fma_f16 v37, v44, v39, v37
	v_pk_fma_f16 v28, v44, v40, v28
	ds_read2_b32 v[39:40], v35 offset0:192 offset1:224
	v_mul_u32_u24_sdwa v43, v41, s25 dst_sel:DWORD dst_unused:UNUSED_PAD src0_sel:WORD_0 src1_sel:DWORD
	v_mul_u32_u24_sdwa v41, v41, s25 dst_sel:DWORD dst_unused:UNUSED_PAD src0_sel:WORD_1 src1_sel:DWORD
	s_waitcnt lgkmcnt(0)
	v_pk_fma_f16 v37, v39, v43, v37
	v_pk_fma_f16 v28, v39, v41, v28
	v_mul_u32_u24_sdwa v39, v42, s25 dst_sel:DWORD dst_unused:UNUSED_PAD src0_sel:WORD_0 src1_sel:DWORD
	v_mul_u32_u24_sdwa v41, v42, s25 dst_sel:DWORD dst_unused:UNUSED_PAD src0_sel:WORD_1 src1_sel:DWORD
	v_pk_fma_f16 v37, v40, v39, v37
	v_pk_fma_f16 v28, v40, v41, v28
	ds_read2_b32 v[43:44], v36 offset1:32
	ds_read_b128 v[39:42], v26 offset:96
	s_waitcnt lgkmcnt(0)
	v_mul_u32_u24_sdwa v45, v39, s25 dst_sel:DWORD dst_unused:UNUSED_PAD src0_sel:WORD_0 src1_sel:DWORD
	v_mul_u32_u24_sdwa v39, v39, s25 dst_sel:DWORD dst_unused:UNUSED_PAD src0_sel:WORD_1 src1_sel:DWORD
	v_pk_fma_f16 v37, v43, v45, v37
	v_pk_fma_f16 v28, v43, v39, v28
	v_mul_u32_u24_sdwa v39, v40, s25 dst_sel:DWORD dst_unused:UNUSED_PAD src0_sel:WORD_0 src1_sel:DWORD
	v_mul_u32_u24_sdwa v40, v40, s25 dst_sel:DWORD dst_unused:UNUSED_PAD src0_sel:WORD_1 src1_sel:DWORD
	v_pk_fma_f16 v37, v44, v39, v37
	v_pk_fma_f16 v28, v44, v40, v28
	ds_read2_b32 v[39:40], v36 offset0:64 offset1:96
	v_mul_u32_u24_sdwa v43, v41, s25 dst_sel:DWORD dst_unused:UNUSED_PAD src0_sel:WORD_0 src1_sel:DWORD
	v_mul_u32_u24_sdwa v41, v41, s25 dst_sel:DWORD dst_unused:UNUSED_PAD src0_sel:WORD_1 src1_sel:DWORD
	s_waitcnt lgkmcnt(0)
	v_pk_fma_f16 v37, v39, v43, v37
	v_pk_fma_f16 v28, v39, v41, v28
	v_mul_u32_u24_sdwa v39, v42, s25 dst_sel:DWORD dst_unused:UNUSED_PAD src0_sel:WORD_0 src1_sel:DWORD
	v_mul_u32_u24_sdwa v41, v42, s25 dst_sel:DWORD dst_unused:UNUSED_PAD src0_sel:WORD_1 src1_sel:DWORD
	v_pk_fma_f16 v37, v40, v39, v37
	v_pk_fma_f16 v28, v40, v41, v28
	ds_read2_b32 v[43:44], v36 offset0:128 offset1:160
	ds_read_b128 v[39:42], v26 offset:112
	s_waitcnt lgkmcnt(0)
	v_mul_u32_u24_sdwa v45, v39, s25 dst_sel:DWORD dst_unused:UNUSED_PAD src0_sel:WORD_0 src1_sel:DWORD
	v_mul_u32_u24_sdwa v39, v39, s25 dst_sel:DWORD dst_unused:UNUSED_PAD src0_sel:WORD_1 src1_sel:DWORD
	v_pk_fma_f16 v37, v43, v45, v37
	v_pk_fma_f16 v28, v43, v39, v28
	v_mul_u32_u24_sdwa v39, v40, s25 dst_sel:DWORD dst_unused:UNUSED_PAD src0_sel:WORD_0 src1_sel:DWORD
	v_mul_u32_u24_sdwa v40, v40, s25 dst_sel:DWORD dst_unused:UNUSED_PAD src0_sel:WORD_1 src1_sel:DWORD
	v_pk_fma_f16 v37, v44, v39, v37
	v_pk_fma_f16 v28, v44, v40, v28
	ds_read2_b32 v[39:40], v36 offset0:192 offset1:224
	s_waitcnt lgkmcnt(0)
	s_barrier
	s_load_dword s8, s[0:1], 0x4
	v_mul_u32_u24_sdwa v43, v41, s25 dst_sel:DWORD dst_unused:UNUSED_PAD src0_sel:WORD_0 src1_sel:DWORD
	v_mul_u32_u24_sdwa v41, v41, s25 dst_sel:DWORD dst_unused:UNUSED_PAD src0_sel:WORD_1 src1_sel:DWORD
	v_pk_fma_f16 v37, v39, v43, v37
	v_pk_fma_f16 v28, v39, v41, v28
	s_waitcnt lgkmcnt(0)
	s_lshl_b32 s8, s8, 5
	v_mul_u32_u24_sdwa v39, v42, s25 dst_sel:DWORD dst_unused:UNUSED_PAD src0_sel:WORD_0 src1_sel:DWORD
	v_mul_u32_u24_sdwa v41, v42, s25 dst_sel:DWORD dst_unused:UNUSED_PAD src0_sel:WORD_1 src1_sel:DWORD
	s_add_i32 s6, s8, s6
	v_pk_fma_f16 v37, v40, v39, v37
	v_pk_fma_f16 v28, v40, v41, v28
	s_cmp_ge_i32 s6, s30
	s_cbranch_scc0 .LBB43_9
.LBB43_10:
	v_cmp_lt_i32_e32 vcc, v21, v16
	v_cndmask_b32_e32 v2, v15, v21, vcc
	v_lshlrev_b32_e32 v2, 2, v2
	ds_bpermute_b32 v3, v2, v38
	ds_bpermute_b32 v2, v2, v1
	v_cmp_lt_i32_e32 vcc, v20, v16
	v_cndmask_b32_e32 v4, v15, v20, vcc
	v_lshlrev_b32_e32 v4, 2, v4
	s_waitcnt lgkmcnt(1)
	v_add_f32_e32 v3, v38, v3
	s_waitcnt lgkmcnt(0)
	v_add_f32_e32 v1, v1, v2
	ds_bpermute_b32 v6, v4, v3
	ds_bpermute_b32 v2, v4, v1
	v_cmp_lt_i32_e32 vcc, v19, v16
	v_cndmask_b32_e32 v4, v15, v19, vcc
	v_lshlrev_b32_e32 v4, 2, v4
	s_waitcnt lgkmcnt(1)
	v_add_f32_e32 v3, v3, v6
	s_waitcnt lgkmcnt(0)
	v_add_f32_e32 v1, v1, v2
	;; [unrolled: 9-line block ×4, first 2 shown]
	ds_bpermute_b32 v6, v4, v3
	ds_bpermute_b32 v4, v4, v2
	s_cmp_lg_u64 s[16:17], 0
	s_cselect_b64 s[0:1], -1, 0
	s_cmp_eq_u32 s7, 0
	s_cselect_b64 s[8:9], -1, 0
	s_and_b64 s[0:1], s[8:9], s[0:1]
	v_lshlrev_b32_e32 v5, 1, v0
	s_waitcnt lgkmcnt(1)
	v_add_f32_e32 v1, v3, v6
	s_waitcnt lgkmcnt(0)
	v_add_f32_e32 v2, v2, v4
	s_and_b64 vcc, exec, s[0:1]
	s_cbranch_vccz .LBB43_13
; %bb.11:
	s_ashr_i32 s29, s28, 31
	s_lshl_b64 s[0:1], s[28:29], 2
	s_add_u32 s0, s16, s0
	s_addc_u32 s1, s17, s1
	v_mov_b32_e32 v3, 0
	global_load_dwordx2 v[3:4], v3, s[0:1]
	v_max_f32_e32 v6, v11, v11
	v_max_f32_e32 v7, v12, v12
	s_mov_b32 s0, 0x3fb8aa3b
	s_mov_b32 s1, 0xc2ce8ed0
	;; [unrolled: 1-line block ×3, first 2 shown]
	v_mov_b32_e32 v8, 0x7f800000
	s_waitcnt vmcnt(0)
	v_max_f32_e32 v9, v3, v3
	v_max_f32_e32 v10, v4, v4
	;; [unrolled: 1-line block ×4, first 2 shown]
	v_sub_f32_e32 v9, v11, v6
	v_sub_f32_e32 v10, v12, v7
	v_mov_b32_e32 v12, v7
	v_sub_f32_e32 v3, v3, v6
	v_mov_b32_e32 v11, v6
	v_mul_f32_e32 v6, 0x3fb8aa3b, v9
	v_sub_f32_e32 v4, v4, v7
	v_mul_f32_e32 v7, 0x3fb8aa3b, v3
	v_fma_f32 v16, v9, s0, -v6
	v_rndne_f32_e32 v17, v6
	v_mul_f32_e32 v14, 0x3fb8aa3b, v10
	v_fma_f32 v18, v3, s0, -v7
	v_rndne_f32_e32 v19, v7
	v_fmac_f32_e32 v16, 0x32a5705f, v9
	v_sub_f32_e32 v6, v6, v17
	v_mul_f32_e32 v15, 0x3fb8aa3b, v4
	v_fma_f32 v20, v10, s0, -v14
	v_rndne_f32_e32 v21, v14
	v_fmac_f32_e32 v18, 0x32a5705f, v3
	v_sub_f32_e32 v7, v7, v19
	v_add_f32_e32 v6, v6, v16
	v_fma_f32 v22, v4, s0, -v15
	v_rndne_f32_e32 v23, v15
	v_cvt_i32_f32_e32 v17, v17
	v_fmac_f32_e32 v20, 0x32a5705f, v10
	v_sub_f32_e32 v14, v14, v21
	v_add_f32_e32 v7, v7, v18
	v_exp_f32_e32 v6, v6
	v_cvt_i32_f32_e32 v19, v19
	v_fmac_f32_e32 v22, 0x32a5705f, v4
	v_sub_f32_e32 v15, v15, v23
	v_add_f32_e32 v14, v14, v20
	v_exp_f32_e32 v7, v7
	v_cvt_i32_f32_e32 v21, v21
	v_add_f32_e32 v15, v15, v22
	v_exp_f32_e32 v14, v14
	v_cvt_i32_f32_e32 v23, v23
	v_exp_f32_e32 v15, v15
	v_ldexp_f32 v6, v6, v17
	v_cmp_ngt_f32_e32 vcc, s1, v9
	v_ldexp_f32 v7, v7, v19
	v_cndmask_b32_e32 v6, 0, v6, vcc
	v_cmp_ngt_f32_e32 vcc, s1, v3
	v_ldexp_f32 v14, v14, v21
	v_cndmask_b32_e32 v7, 0, v7, vcc
	;; [unrolled: 3-line block ×3, first 2 shown]
	v_cmp_ngt_f32_e32 vcc, s1, v4
	v_cndmask_b32_e32 v15, 0, v15, vcc
	v_cmp_nlt_f32_e32 vcc, s6, v9
	v_cndmask_b32_e32 v6, v8, v6, vcc
	v_cmp_nlt_f32_e32 vcc, s6, v3
	;; [unrolled: 2-line block ×4, first 2 shown]
	v_cndmask_b32_e32 v4, v8, v15, vcc
	v_fmac_f32_e32 v3, v1, v6
	v_cvt_f16_f32_e32 v6, v6
	v_cvt_f16_f32_e32 v8, v7
	v_fmac_f32_e32 v4, v2, v7
	v_mov_b32_e32 v1, v3
	v_mul_u32_u24_e32 v2, 0x10001, v6
	v_mul_u32_u24_e32 v6, 0x10001, v8
	v_pk_mul_f16 v37, v37, v2
	v_pk_mul_f16 v28, v28, v6
	v_mov_b32_e32 v2, v4
	v_cmp_gt_i32_e32 vcc, s2, v13
	s_and_saveexec_b64 s[0:1], vcc
	s_cbranch_execnz .LBB43_14
.LBB43_12:
	s_endpgm
.LBB43_13:
	v_mov_b32_e32 v4, v2
	v_mov_b32_e32 v3, v1
	v_cmp_gt_i32_e32 vcc, s2, v13
	s_and_saveexec_b64 s[0:1], vcc
	s_cbranch_execz .LBB43_12
.LBB43_14:
	s_load_dword s6, s[4:5], 0xd4
	v_mov_b32_e32 v6, 1.0
	s_waitcnt lgkmcnt(0)
	s_cmp_lg_u32 s6, 1
	s_cselect_b64 s[0:1], -1, 0
	s_cmp_eq_u32 s6, 1
	s_cselect_b64 s[4:5], -1, 0
	s_and_b64 vcc, exec, s[0:1]
	s_cbranch_vccnz .LBB43_16
; %bb.15:
	v_div_scale_f32 v6, s[8:9], v1, v1, 1.0
	v_div_scale_f32 v7, vcc, 1.0, v1, 1.0
	v_rcp_f32_e32 v8, v6
	v_fma_f32 v9, -v6, v8, 1.0
	v_fmac_f32_e32 v8, v9, v8
	v_mul_f32_e32 v9, v7, v8
	v_fma_f32 v10, -v6, v9, v7
	v_fmac_f32_e32 v9, v10, v8
	v_fma_f32 v6, -v6, v9, v7
	v_div_fmas_f32 v6, v6, v8, v9
	v_div_fixup_f32 v6, v6, v1, 1.0
.LBB43_16:
	s_mul_i32 s33, s33, s2
	v_add_u32_e32 v1, s33, v13
	v_mul_lo_u32 v1, v1, s3
	v_cmp_eq_u32_e32 vcc, 0, v0
	v_cvt_f32_f16_e32 v0, v37
	v_cvt_f32_f16_sdwa v8, v37 dst_sel:DWORD dst_unused:UNUSED_PAD src0_sel:WORD_1
	v_add_u32_e32 v1, s28, v1
	v_mul_lo_u32 v1, s6, v1
	v_mul_f32_e32 v7, v6, v0
	v_mov_b32_e32 v10, 0
	s_and_b64 s[0:1], vcc, s[0:1]
	v_add_u32_e32 v0, s7, v1
	v_lshl_add_u32 v9, v0, 6, v5
	v_lshlrev_b64 v[9:10], 2, v[9:10]
	v_mov_b32_e32 v1, s21
	v_add_co_u32_e32 v9, vcc, s20, v9
	v_mul_f32_e32 v8, v6, v8
	v_addc_co_u32_e32 v10, vcc, v1, v10, vcc
	global_store_dwordx2 v[9:10], v[7:8], off
	s_and_saveexec_b64 s[2:3], s[0:1]
	s_cbranch_execz .LBB43_18
; %bb.17:
	v_ashrrev_i32_e32 v1, 31, v0
	v_lshlrev_b64 v[6:7], 3, v[0:1]
	v_mov_b32_e32 v1, s23
	v_add_co_u32_e32 v6, vcc, s22, v6
	v_addc_co_u32_e32 v7, vcc, v1, v7, vcc
	v_mov_b32_e32 v8, v11
	v_mov_b32_e32 v9, v3
	global_store_dwordx2 v[6:7], v[8:9], off
.LBB43_18:
	s_or_b64 exec, exec, s[2:3]
	s_andn2_b64 vcc, exec, s[4:5]
	v_mov_b32_e32 v1, 1.0
	s_cbranch_vccnz .LBB43_20
; %bb.19:
	v_div_scale_f32 v1, s[2:3], v2, v2, 1.0
	v_div_scale_f32 v3, vcc, 1.0, v2, 1.0
	v_rcp_f32_e32 v6, v1
	v_fma_f32 v7, -v1, v6, 1.0
	v_fmac_f32_e32 v6, v7, v6
	v_mul_f32_e32 v7, v3, v6
	v_fma_f32 v8, -v1, v7, v3
	v_fmac_f32_e32 v7, v8, v6
	v_fma_f32 v1, -v1, v7, v3
	v_div_fmas_f32 v1, v1, v6, v7
	v_div_fixup_f32 v1, v1, v2, 1.0
.LBB43_20:
	v_cvt_f32_f16_e32 v2, v28
	v_cvt_f32_f16_sdwa v3, v28 dst_sel:DWORD dst_unused:UNUSED_PAD src0_sel:WORD_1
	v_add_u32_e32 v0, s6, v0
	v_lshl_add_u32 v5, v0, 6, v5
	v_mov_b32_e32 v6, 0
	v_lshlrev_b64 v[5:6], 2, v[5:6]
	v_mul_f32_e32 v2, v1, v2
	v_mul_f32_e32 v3, v1, v3
	v_mov_b32_e32 v1, s21
	v_add_co_u32_e32 v5, vcc, s20, v5
	v_addc_co_u32_e32 v6, vcc, v1, v6, vcc
	global_store_dwordx2 v[5:6], v[2:3], off
	s_and_b64 exec, exec, s[0:1]
	s_cbranch_execz .LBB43_12
; %bb.21:
	v_ashrrev_i32_e32 v1, 31, v0
	v_lshlrev_b64 v[0:1], 3, v[0:1]
	v_mov_b32_e32 v2, s23
	v_add_co_u32_e32 v0, vcc, s22, v0
	v_addc_co_u32_e32 v1, vcc, v2, v1, vcc
	v_mov_b32_e32 v3, v12
	global_store_dwordx2 v[0:1], v[3:4], off
	s_endpgm
	.section	.rodata,"a",@progbits
	.p2align	6, 0x0
	.amdhsa_kernel _ZL15flash_attn_tileILi64ELi64ELi4ELi2ELb0EEvPKcS1_S1_S1_S1_PKiPfP15HIP_vector_typeIfLj2EEffffjfiS5_IjLj3EEiiiiiiiiiiiliiliiiiil
		.amdhsa_group_segment_fixed_size 6144
		.amdhsa_private_segment_fixed_size 0
		.amdhsa_kernarg_size 464
		.amdhsa_user_sgpr_count 6
		.amdhsa_user_sgpr_private_segment_buffer 1
		.amdhsa_user_sgpr_dispatch_ptr 0
		.amdhsa_user_sgpr_queue_ptr 0
		.amdhsa_user_sgpr_kernarg_segment_ptr 1
		.amdhsa_user_sgpr_dispatch_id 0
		.amdhsa_user_sgpr_flat_scratch_init 0
		.amdhsa_user_sgpr_private_segment_size 0
		.amdhsa_uses_dynamic_stack 0
		.amdhsa_system_sgpr_private_segment_wavefront_offset 0
		.amdhsa_system_sgpr_workgroup_id_x 1
		.amdhsa_system_sgpr_workgroup_id_y 1
		.amdhsa_system_sgpr_workgroup_id_z 1
		.amdhsa_system_sgpr_workgroup_info 0
		.amdhsa_system_vgpr_workitem_id 1
		.amdhsa_next_free_vgpr 60
		.amdhsa_next_free_sgpr 98
		.amdhsa_reserve_vcc 1
		.amdhsa_reserve_flat_scratch 0
		.amdhsa_float_round_mode_32 0
		.amdhsa_float_round_mode_16_64 0
		.amdhsa_float_denorm_mode_32 3
		.amdhsa_float_denorm_mode_16_64 3
		.amdhsa_dx10_clamp 1
		.amdhsa_ieee_mode 1
		.amdhsa_fp16_overflow 0
		.amdhsa_exception_fp_ieee_invalid_op 0
		.amdhsa_exception_fp_denorm_src 0
		.amdhsa_exception_fp_ieee_div_zero 0
		.amdhsa_exception_fp_ieee_overflow 0
		.amdhsa_exception_fp_ieee_underflow 0
		.amdhsa_exception_fp_ieee_inexact 0
		.amdhsa_exception_int_div_zero 0
	.end_amdhsa_kernel
	.section	.text._ZL15flash_attn_tileILi64ELi64ELi4ELi2ELb0EEvPKcS1_S1_S1_S1_PKiPfP15HIP_vector_typeIfLj2EEffffjfiS5_IjLj3EEiiiiiiiiiiiliiliiiiil,"axG",@progbits,_ZL15flash_attn_tileILi64ELi64ELi4ELi2ELb0EEvPKcS1_S1_S1_S1_PKiPfP15HIP_vector_typeIfLj2EEffffjfiS5_IjLj3EEiiiiiiiiiiiliiliiiiil,comdat
.Lfunc_end43:
	.size	_ZL15flash_attn_tileILi64ELi64ELi4ELi2ELb0EEvPKcS1_S1_S1_S1_PKiPfP15HIP_vector_typeIfLj2EEffffjfiS5_IjLj3EEiiiiiiiiiiiliiliiiiil, .Lfunc_end43-_ZL15flash_attn_tileILi64ELi64ELi4ELi2ELb0EEvPKcS1_S1_S1_S1_PKiPfP15HIP_vector_typeIfLj2EEffffjfiS5_IjLj3EEiiiiiiiiiiiliiliiiiil
                                        ; -- End function
	.set _ZL15flash_attn_tileILi64ELi64ELi4ELi2ELb0EEvPKcS1_S1_S1_S1_PKiPfP15HIP_vector_typeIfLj2EEffffjfiS5_IjLj3EEiiiiiiiiiiiliiliiiiil.num_vgpr, 60
	.set _ZL15flash_attn_tileILi64ELi64ELi4ELi2ELb0EEvPKcS1_S1_S1_S1_PKiPfP15HIP_vector_typeIfLj2EEffffjfiS5_IjLj3EEiiiiiiiiiiiliiliiiiil.num_agpr, 0
	.set _ZL15flash_attn_tileILi64ELi64ELi4ELi2ELb0EEvPKcS1_S1_S1_S1_PKiPfP15HIP_vector_typeIfLj2EEffffjfiS5_IjLj3EEiiiiiiiiiiiliiliiiiil.numbered_sgpr, 39
	.set _ZL15flash_attn_tileILi64ELi64ELi4ELi2ELb0EEvPKcS1_S1_S1_S1_PKiPfP15HIP_vector_typeIfLj2EEffffjfiS5_IjLj3EEiiiiiiiiiiiliiliiiiil.num_named_barrier, 0
	.set _ZL15flash_attn_tileILi64ELi64ELi4ELi2ELb0EEvPKcS1_S1_S1_S1_PKiPfP15HIP_vector_typeIfLj2EEffffjfiS5_IjLj3EEiiiiiiiiiiiliiliiiiil.private_seg_size, 0
	.set _ZL15flash_attn_tileILi64ELi64ELi4ELi2ELb0EEvPKcS1_S1_S1_S1_PKiPfP15HIP_vector_typeIfLj2EEffffjfiS5_IjLj3EEiiiiiiiiiiiliiliiiiil.uses_vcc, 1
	.set _ZL15flash_attn_tileILi64ELi64ELi4ELi2ELb0EEvPKcS1_S1_S1_S1_PKiPfP15HIP_vector_typeIfLj2EEffffjfiS5_IjLj3EEiiiiiiiiiiiliiliiiiil.uses_flat_scratch, 0
	.set _ZL15flash_attn_tileILi64ELi64ELi4ELi2ELb0EEvPKcS1_S1_S1_S1_PKiPfP15HIP_vector_typeIfLj2EEffffjfiS5_IjLj3EEiiiiiiiiiiiliiliiiiil.has_dyn_sized_stack, 0
	.set _ZL15flash_attn_tileILi64ELi64ELi4ELi2ELb0EEvPKcS1_S1_S1_S1_PKiPfP15HIP_vector_typeIfLj2EEffffjfiS5_IjLj3EEiiiiiiiiiiiliiliiiiil.has_recursion, 0
	.set _ZL15flash_attn_tileILi64ELi64ELi4ELi2ELb0EEvPKcS1_S1_S1_S1_PKiPfP15HIP_vector_typeIfLj2EEffffjfiS5_IjLj3EEiiiiiiiiiiiliiliiiiil.has_indirect_call, 0
	.section	.AMDGPU.csdata,"",@progbits
; Kernel info:
; codeLenInByte = 5664
; TotalNumSgprs: 43
; NumVgprs: 60
; ScratchSize: 0
; MemoryBound: 0
; FloatMode: 240
; IeeeMode: 1
; LDSByteSize: 6144 bytes/workgroup (compile time only)
; SGPRBlocks: 12
; VGPRBlocks: 14
; NumSGPRsForWavesPerEU: 102
; NumVGPRsForWavesPerEU: 60
; Occupancy: 4
; WaveLimiterHint : 1
; COMPUTE_PGM_RSRC2:SCRATCH_EN: 0
; COMPUTE_PGM_RSRC2:USER_SGPR: 6
; COMPUTE_PGM_RSRC2:TRAP_HANDLER: 0
; COMPUTE_PGM_RSRC2:TGID_X_EN: 1
; COMPUTE_PGM_RSRC2:TGID_Y_EN: 1
; COMPUTE_PGM_RSRC2:TGID_Z_EN: 1
; COMPUTE_PGM_RSRC2:TIDIG_COMP_CNT: 1
	.section	.text._ZL33flash_attn_stream_k_fixup_uniformILi64ELi4ELi2EEvPfPK15HIP_vector_typeIfLj2EEiiiiiiS1_IjLj3EES5_S5_,"axG",@progbits,_ZL33flash_attn_stream_k_fixup_uniformILi64ELi4ELi2EEvPfPK15HIP_vector_typeIfLj2EEiiiiiiS1_IjLj3EES5_S5_,comdat
	.globl	_ZL33flash_attn_stream_k_fixup_uniformILi64ELi4ELi2EEvPfPK15HIP_vector_typeIfLj2EEiiiiiiS1_IjLj3EES5_S5_ ; -- Begin function _ZL33flash_attn_stream_k_fixup_uniformILi64ELi4ELi2EEvPfPK15HIP_vector_typeIfLj2EEiiiiiiS1_IjLj3EES5_S5_
	.p2align	8
	.type	_ZL33flash_attn_stream_k_fixup_uniformILi64ELi4ELi2EEvPfPK15HIP_vector_typeIfLj2EEiiiiiiS1_IjLj3EES5_S5_,@function
_ZL33flash_attn_stream_k_fixup_uniformILi64ELi4ELi2EEvPfPK15HIP_vector_typeIfLj2EEiiiiiiS1_IjLj3EES5_S5_: ; @_ZL33flash_attn_stream_k_fixup_uniformILi64ELi4ELi2EEvPfPK15HIP_vector_typeIfLj2EEiiiiiiS1_IjLj3EES5_S5_
; %bb.0:
	s_load_dwordx8 s[12:19], s[4:5], 0x1c
	s_load_dwordx2 s[10:11], s[4:5], 0x10
	s_load_dwordx4 s[0:3], s[4:5], 0x3c
	s_waitcnt lgkmcnt(0)
	s_mul_hi_u32 s9, s15, s6
	s_add_i32 s9, s6, s9
	s_lshr_b32 s9, s9, s16
	s_mul_i32 s15, s9, s17
	s_sub_i32 s15, s6, s15
	s_mul_hi_u32 s16, s15, s18
	s_add_i32 s16, s15, s16
	s_lshr_b32 s16, s16, s19
	s_mul_i32 s0, s16, s0
	s_sub_i32 s0, s15, s0
	;; [unrolled: 5-line block ×3, first 2 shown]
	s_lshl_b32 s0, s17, 2
	s_lshl_b32 s15, s1, 1
	s_add_i32 s0, s0, s7
	s_cmp_lt_i32 s0, s10
	s_cselect_b64 s[0:1], -1, 0
	s_add_i32 s2, s15, s8
	s_cmp_lt_i32 s2, s13
	s_cselect_b64 s[2:3], -1, 0
	s_and_b64 s[0:1], s[0:1], s[2:3]
	s_andn2_b64 vcc, exec, s[0:1]
	s_cbranch_vccnz .LBB44_6
; %bb.1:
	s_load_dwordx4 s[0:3], s[4:5], 0x0
	s_mul_i32 s4, s9, s10
	s_add_i32 s4, s4, s7
	s_mul_i32 s4, s4, s11
	s_mul_i32 s16, s16, s13
	s_add_i32 s4, s4, s8
	s_add_i32 s4, s4, s16
	s_mul_i32 s5, s11, s17
	s_add_i32 s4, s4, s15
	s_lshl_b32 s5, s5, 8
	s_lshl_b32 s4, s4, 6
	s_add_i32 s5, s5, s4
	v_or_b32_e32 v1, s5, v0
	v_ashrrev_i32_e32 v2, 31, v1
	v_lshlrev_b64 v[1:2], 2, v[1:2]
	s_waitcnt lgkmcnt(0)
	v_mov_b32_e32 v3, s1
	v_add_co_u32_e32 v1, vcc, s0, v1
	v_addc_co_u32_e32 v2, vcc, v3, v2, vcc
	global_load_dword v8, v[1:2], off
	s_mul_i32 s9, s14, s6
	s_lshl_b32 s4, s7, 1
	s_add_i32 s11, s9, s14
	s_add_i32 s0, s4, s8
	s_lshl_b32 s1, s11, 3
	s_add_i32 s0, s0, s1
	s_add_i32 s0, s0, -8
	s_ashr_i32 s1, s0, 31
	s_lshl_b64 s[0:1], s[0:1], 3
	s_add_u32 s0, s2, s0
	s_addc_u32 s1, s3, s1
	s_load_dword s5, s[0:1], 0x4
	s_add_i32 s10, s11, -2
	s_cmp_lt_i32 s10, s9
	s_cbranch_scc1 .LBB44_4
; %bb.2:
	s_lshl_b32 s16, s12, 5
	s_ashr_i32 s17, s16, 31
	s_lshl_b64 s[16:17], s[16:17], 2
	s_add_u32 s10, s2, s16
	s_addc_u32 s13, s3, s17
	s_add_i32 s6, s6, 1
	s_load_dword s0, s[0:1], 0x0
	s_mul_i32 s1, s14, s6
	s_lshl_b32 s7, s7, 7
	s_lshl_b32 s14, s8, 6
	;; [unrolled: 1-line block ×3, first 2 shown]
	s_add_i32 s7, s14, s7
	s_lshl_b32 s1, s1, 3
	s_add_i32 s7, s7, s6
	s_add_i32 s1, s8, s1
	s_lshl_b32 s6, s12, 3
	s_add_i32 s1, s1, s6
	v_or_b32_e32 v0, s7, v0
	s_add_i32 s1, s1, s4
	s_add_i32 s11, s11, -1
	v_add_u32_e32 v3, 0xfffffc00, v0
	s_add_i32 s4, s1, -16
	s_waitcnt lgkmcnt(0)
	v_mov_b32_e32 v7, s5
	v_mov_b32_e32 v6, s0
	;; [unrolled: 1-line block ×3, first 2 shown]
	s_mov_b32 s6, 0x3fb8aa3b
	s_mov_b32 s7, 0xc2ce8ed0
	;; [unrolled: 1-line block ×3, first 2 shown]
	v_mov_b32_e32 v5, 0x7f800000
	s_mov_b32 s12, 0xc1a00000
.LBB44_3:                               ; =>This Inner Loop Header: Depth=1
	v_ashrrev_i32_e32 v4, 31, v3
	v_lshlrev_b64 v[9:10], 2, v[3:4]
	s_ashr_i32 s5, s4, 31
	v_add_co_u32_e32 v9, vcc, s10, v9
	v_addc_co_u32_e32 v10, vcc, v0, v10, vcc
	global_load_dword v4, v[9:10], off
	s_lshl_b64 s[0:1], s[4:5], 3
	s_add_u32 s0, s2, s0
	s_addc_u32 s1, s3, s1
	s_load_dwordx2 s[14:15], s[0:1], 0x0
	s_waitcnt vmcnt(1)
	v_mov_b32_e32 v9, v8
	v_max_f32_e32 v8, v6, v6
	v_mov_b32_e32 v10, v7
	s_add_i32 s11, s11, -1
	s_waitcnt lgkmcnt(0)
	v_max_f32_e64 v7, s14, s14
	v_max_f32_e32 v7, v8, v7
	v_sub_f32_e32 v11, s14, v7
	v_sub_f32_e32 v8, v6, v7
	v_mul_f32_e32 v12, 0x3fb8aa3b, v11
	v_mov_b32_e32 v6, v7
	v_mul_f32_e32 v7, 0x3fb8aa3b, v8
	v_fma_f32 v15, v11, s6, -v12
	v_rndne_f32_e32 v16, v12
	v_fma_f32 v13, v8, s6, -v7
	v_rndne_f32_e32 v14, v7
	v_fmac_f32_e32 v15, 0x32a5705f, v11
	v_sub_f32_e32 v12, v12, v16
	v_fmac_f32_e32 v13, 0x32a5705f, v8
	v_sub_f32_e32 v7, v7, v14
	v_add_f32_e32 v12, v12, v15
	v_cvt_i32_f32_e32 v16, v16
	v_add_f32_e32 v7, v7, v13
	v_exp_f32_e32 v12, v12
	v_cvt_i32_f32_e32 v14, v14
	v_exp_f32_e32 v7, v7
	v_cmp_ngt_f32_e32 vcc, s7, v11
	v_ldexp_f32 v12, v12, v16
	v_cmp_ngt_f32_e64 s[0:1], s7, v8
	v_ldexp_f32 v7, v7, v14
	v_cndmask_b32_e32 v12, 0, v12, vcc
	v_cmp_nlt_f32_e32 vcc, s8, v11
	v_cndmask_b32_e64 v7, 0, v7, s[0:1]
	v_cmp_nlt_f32_e64 s[0:1], s8, v8
	v_cndmask_b32_e32 v12, v5, v12, vcc
	v_cmp_le_f32_e32 vcc, s12, v11
	v_cndmask_b32_e64 v7, v5, v7, s[0:1]
	v_cmp_le_f32_e64 s[0:1], s12, v8
	v_cndmask_b32_e32 v8, 0, v12, vcc
	s_add_i32 s4, s4, -8
	v_cndmask_b32_e64 v11, 0, v7, s[0:1]
	v_mul_f32_e32 v7, s15, v8
	v_add_u32_e32 v3, 0xfffffe00, v3
	s_cmp_le_i32 s11, s9
	v_fmac_f32_e32 v7, v10, v11
	s_waitcnt vmcnt(0)
	v_mul_f32_e32 v8, v4, v8
	v_fmac_f32_e32 v8, v9, v11
	s_cbranch_scc0 .LBB44_3
	s_branch .LBB44_5
.LBB44_4:
	s_waitcnt lgkmcnt(0)
	v_mov_b32_e32 v7, s5
.LBB44_5:
	s_waitcnt vmcnt(0)
	v_div_scale_f32 v0, s[0:1], v7, v7, v8
	v_div_scale_f32 v3, vcc, v8, v7, v8
	v_rcp_f32_e32 v4, v0
	v_fma_f32 v5, -v0, v4, 1.0
	v_fmac_f32_e32 v4, v5, v4
	v_mul_f32_e32 v5, v3, v4
	v_fma_f32 v6, -v0, v5, v3
	v_fmac_f32_e32 v5, v6, v4
	v_fma_f32 v0, -v0, v5, v3
	v_div_fmas_f32 v0, v0, v4, v5
	v_div_fixup_f32 v0, v0, v7, v8
	global_store_dword v[1:2], v0, off
.LBB44_6:
	s_endpgm
	.section	.rodata,"a",@progbits
	.p2align	6, 0x0
	.amdhsa_kernel _ZL33flash_attn_stream_k_fixup_uniformILi64ELi4ELi2EEvPfPK15HIP_vector_typeIfLj2EEiiiiiiS1_IjLj3EES5_S5_
		.amdhsa_group_segment_fixed_size 0
		.amdhsa_private_segment_fixed_size 0
		.amdhsa_kernarg_size 76
		.amdhsa_user_sgpr_count 6
		.amdhsa_user_sgpr_private_segment_buffer 1
		.amdhsa_user_sgpr_dispatch_ptr 0
		.amdhsa_user_sgpr_queue_ptr 0
		.amdhsa_user_sgpr_kernarg_segment_ptr 1
		.amdhsa_user_sgpr_dispatch_id 0
		.amdhsa_user_sgpr_flat_scratch_init 0
		.amdhsa_user_sgpr_private_segment_size 0
		.amdhsa_uses_dynamic_stack 0
		.amdhsa_system_sgpr_private_segment_wavefront_offset 0
		.amdhsa_system_sgpr_workgroup_id_x 1
		.amdhsa_system_sgpr_workgroup_id_y 1
		.amdhsa_system_sgpr_workgroup_id_z 1
		.amdhsa_system_sgpr_workgroup_info 0
		.amdhsa_system_vgpr_workitem_id 0
		.amdhsa_next_free_vgpr 17
		.amdhsa_next_free_sgpr 20
		.amdhsa_reserve_vcc 1
		.amdhsa_reserve_flat_scratch 0
		.amdhsa_float_round_mode_32 0
		.amdhsa_float_round_mode_16_64 0
		.amdhsa_float_denorm_mode_32 3
		.amdhsa_float_denorm_mode_16_64 3
		.amdhsa_dx10_clamp 1
		.amdhsa_ieee_mode 1
		.amdhsa_fp16_overflow 0
		.amdhsa_exception_fp_ieee_invalid_op 0
		.amdhsa_exception_fp_denorm_src 0
		.amdhsa_exception_fp_ieee_div_zero 0
		.amdhsa_exception_fp_ieee_overflow 0
		.amdhsa_exception_fp_ieee_underflow 0
		.amdhsa_exception_fp_ieee_inexact 0
		.amdhsa_exception_int_div_zero 0
	.end_amdhsa_kernel
	.section	.text._ZL33flash_attn_stream_k_fixup_uniformILi64ELi4ELi2EEvPfPK15HIP_vector_typeIfLj2EEiiiiiiS1_IjLj3EES5_S5_,"axG",@progbits,_ZL33flash_attn_stream_k_fixup_uniformILi64ELi4ELi2EEvPfPK15HIP_vector_typeIfLj2EEiiiiiiS1_IjLj3EES5_S5_,comdat
.Lfunc_end44:
	.size	_ZL33flash_attn_stream_k_fixup_uniformILi64ELi4ELi2EEvPfPK15HIP_vector_typeIfLj2EEiiiiiiS1_IjLj3EES5_S5_, .Lfunc_end44-_ZL33flash_attn_stream_k_fixup_uniformILi64ELi4ELi2EEvPfPK15HIP_vector_typeIfLj2EEiiiiiiS1_IjLj3EES5_S5_
                                        ; -- End function
	.set _ZL33flash_attn_stream_k_fixup_uniformILi64ELi4ELi2EEvPfPK15HIP_vector_typeIfLj2EEiiiiiiS1_IjLj3EES5_S5_.num_vgpr, 17
	.set _ZL33flash_attn_stream_k_fixup_uniformILi64ELi4ELi2EEvPfPK15HIP_vector_typeIfLj2EEiiiiiiS1_IjLj3EES5_S5_.num_agpr, 0
	.set _ZL33flash_attn_stream_k_fixup_uniformILi64ELi4ELi2EEvPfPK15HIP_vector_typeIfLj2EEiiiiiiS1_IjLj3EES5_S5_.numbered_sgpr, 20
	.set _ZL33flash_attn_stream_k_fixup_uniformILi64ELi4ELi2EEvPfPK15HIP_vector_typeIfLj2EEiiiiiiS1_IjLj3EES5_S5_.num_named_barrier, 0
	.set _ZL33flash_attn_stream_k_fixup_uniformILi64ELi4ELi2EEvPfPK15HIP_vector_typeIfLj2EEiiiiiiS1_IjLj3EES5_S5_.private_seg_size, 0
	.set _ZL33flash_attn_stream_k_fixup_uniformILi64ELi4ELi2EEvPfPK15HIP_vector_typeIfLj2EEiiiiiiS1_IjLj3EES5_S5_.uses_vcc, 1
	.set _ZL33flash_attn_stream_k_fixup_uniformILi64ELi4ELi2EEvPfPK15HIP_vector_typeIfLj2EEiiiiiiS1_IjLj3EES5_S5_.uses_flat_scratch, 0
	.set _ZL33flash_attn_stream_k_fixup_uniformILi64ELi4ELi2EEvPfPK15HIP_vector_typeIfLj2EEiiiiiiS1_IjLj3EES5_S5_.has_dyn_sized_stack, 0
	.set _ZL33flash_attn_stream_k_fixup_uniformILi64ELi4ELi2EEvPfPK15HIP_vector_typeIfLj2EEiiiiiiS1_IjLj3EES5_S5_.has_recursion, 0
	.set _ZL33flash_attn_stream_k_fixup_uniformILi64ELi4ELi2EEvPfPK15HIP_vector_typeIfLj2EEiiiiiiS1_IjLj3EES5_S5_.has_indirect_call, 0
	.section	.AMDGPU.csdata,"",@progbits
; Kernel info:
; codeLenInByte = 856
; TotalNumSgprs: 24
; NumVgprs: 17
; ScratchSize: 0
; MemoryBound: 0
; FloatMode: 240
; IeeeMode: 1
; LDSByteSize: 0 bytes/workgroup (compile time only)
; SGPRBlocks: 2
; VGPRBlocks: 4
; NumSGPRsForWavesPerEU: 24
; NumVGPRsForWavesPerEU: 17
; Occupancy: 10
; WaveLimiterHint : 0
; COMPUTE_PGM_RSRC2:SCRATCH_EN: 0
; COMPUTE_PGM_RSRC2:USER_SGPR: 6
; COMPUTE_PGM_RSRC2:TRAP_HANDLER: 0
; COMPUTE_PGM_RSRC2:TGID_X_EN: 1
; COMPUTE_PGM_RSRC2:TGID_Y_EN: 1
; COMPUTE_PGM_RSRC2:TGID_Z_EN: 1
; COMPUTE_PGM_RSRC2:TIDIG_COMP_CNT: 0
	.section	.text._ZL33flash_attn_stream_k_fixup_generalILi64ELi4ELi2EEvPfPK15HIP_vector_typeIfLj2EEiiiiS1_IjLj3EES5_S5_S5_,"axG",@progbits,_ZL33flash_attn_stream_k_fixup_generalILi64ELi4ELi2EEvPfPK15HIP_vector_typeIfLj2EEiiiiS1_IjLj3EES5_S5_S5_,comdat
	.globl	_ZL33flash_attn_stream_k_fixup_generalILi64ELi4ELi2EEvPfPK15HIP_vector_typeIfLj2EEiiiiS1_IjLj3EES5_S5_S5_ ; -- Begin function _ZL33flash_attn_stream_k_fixup_generalILi64ELi4ELi2EEvPfPK15HIP_vector_typeIfLj2EEiiiiS1_IjLj3EES5_S5_S5_
	.p2align	8
	.type	_ZL33flash_attn_stream_k_fixup_generalILi64ELi4ELi2EEvPfPK15HIP_vector_typeIfLj2EEiiiiS1_IjLj3EES5_S5_S5_,@function
_ZL33flash_attn_stream_k_fixup_generalILi64ELi4ELi2EEvPfPK15HIP_vector_typeIfLj2EEiiiiS1_IjLj3EES5_S5_S5_: ; @_ZL33flash_attn_stream_k_fixup_generalILi64ELi4ELi2EEvPfPK15HIP_vector_typeIfLj2EEiiiiS1_IjLj3EES5_S5_S5_
; %bb.0:
	s_load_dwordx4 s[0:3], s[4:5], 0x10
	s_load_dword s22, s[4:5], 0x50
	s_mov_b32 s12, 0
	s_waitcnt lgkmcnt(0)
	s_mul_hi_i32 s13, s3, s6
	s_cmp_lg_u64 s[12:13], 0
	s_mul_i32 s9, s3, s6
	s_cbranch_scc0 .LBB45_20
; %bb.1:
	s_add_u32 s10, s22, 0
	s_addc_u32 s11, 0, 0
	s_xor_b64 s[10:11], s[10:11], 0
	v_cvt_f32_u32_e32 v1, s10
	v_cvt_f32_u32_e32 v2, s11
	s_sub_u32 s12, 0, s10
	s_subb_u32 s18, 0, s11
	v_madmk_f32 v1, v2, 0x4f800000, v1
	v_rcp_f32_e32 v1, v1
	v_mul_f32_e32 v1, 0x5f7ffffc, v1
	v_mul_f32_e32 v2, 0x2f800000, v1
	v_trunc_f32_e32 v2, v2
	v_madmk_f32 v1, v2, 0xcf800000, v1
	v_cvt_u32_f32_e32 v2, v2
	v_cvt_u32_f32_e32 v1, v1
	v_readfirstlane_b32 s19, v2
	v_readfirstlane_b32 s14, v1
	s_mul_i32 s15, s12, s19
	s_mul_hi_u32 s21, s12, s14
	s_mul_i32 s20, s18, s14
	s_add_i32 s15, s21, s15
	s_add_i32 s15, s15, s20
	s_mul_i32 s23, s12, s14
	s_mul_i32 s21, s14, s15
	s_mul_hi_u32 s24, s14, s23
	s_mul_hi_u32 s20, s14, s15
	s_add_u32 s21, s24, s21
	s_addc_u32 s20, 0, s20
	s_mul_hi_u32 s25, s19, s23
	s_mul_i32 s23, s19, s23
	s_add_u32 s21, s21, s23
	s_mul_hi_u32 s24, s19, s15
	s_addc_u32 s20, s20, s25
	s_addc_u32 s21, s24, 0
	s_mul_i32 s15, s19, s15
	s_add_u32 s15, s20, s15
	s_addc_u32 s20, 0, s21
	s_add_u32 s21, s14, s15
	s_cselect_b64 s[14:15], -1, 0
	s_cmp_lg_u64 s[14:15], 0
	s_addc_u32 s19, s19, s20
	s_mul_i32 s14, s12, s19
	s_mul_hi_u32 s15, s12, s21
	s_add_i32 s14, s15, s14
	s_mul_i32 s18, s18, s21
	s_add_i32 s14, s14, s18
	s_mul_i32 s12, s12, s21
	s_mul_hi_u32 s18, s19, s12
	s_mul_i32 s20, s19, s12
	s_mul_i32 s24, s21, s14
	s_mul_hi_u32 s12, s21, s12
	s_mul_hi_u32 s23, s21, s14
	s_add_u32 s12, s12, s24
	s_addc_u32 s23, 0, s23
	s_add_u32 s12, s12, s20
	s_mul_hi_u32 s15, s19, s14
	s_addc_u32 s12, s23, s18
	s_addc_u32 s15, s15, 0
	s_mul_i32 s14, s19, s14
	s_add_u32 s12, s12, s14
	s_addc_u32 s18, 0, s15
	s_add_u32 s20, s21, s12
	s_cselect_b64 s[14:15], -1, 0
	s_cmp_lg_u64 s[14:15], 0
	s_addc_u32 s18, s19, s18
	s_ashr_i32 s14, s13, 31
	s_add_u32 s12, s9, s14
	s_mov_b32 s15, s14
	s_addc_u32 s13, s13, s14
	s_xor_b64 s[12:13], s[12:13], s[14:15]
	s_mul_i32 s21, s12, s18
	s_mul_hi_u32 s23, s12, s20
	s_mul_hi_u32 s19, s12, s18
	s_add_u32 s21, s23, s21
	s_addc_u32 s19, 0, s19
	s_mul_hi_u32 s24, s13, s20
	s_mul_i32 s20, s13, s20
	s_add_u32 s20, s21, s20
	s_mul_hi_u32 s23, s13, s18
	s_addc_u32 s19, s19, s24
	s_addc_u32 s20, s23, 0
	s_mul_i32 s18, s13, s18
	s_add_u32 s23, s19, s18
	s_addc_u32 s24, 0, s20
	s_mul_i32 s18, s10, s24
	s_mul_hi_u32 s19, s10, s23
	s_add_i32 s18, s19, s18
	s_mul_i32 s19, s11, s23
	s_add_i32 s25, s18, s19
	s_sub_i32 s20, s13, s25
	s_mul_i32 s18, s10, s23
	s_sub_u32 s12, s12, s18
	s_cselect_b64 s[18:19], -1, 0
	s_cmp_lg_u64 s[18:19], 0
	s_subb_u32 s26, s20, s11
	s_sub_u32 s27, s12, s10
	s_cselect_b64 s[20:21], -1, 0
	s_cmp_lg_u64 s[20:21], 0
	s_subb_u32 s20, s26, 0
	s_cmp_ge_u32 s20, s11
	s_cselect_b32 s21, -1, 0
	s_cmp_ge_u32 s27, s10
	s_cselect_b32 s26, -1, 0
	s_cmp_eq_u32 s20, s11
	s_cselect_b32 s20, s26, s21
	s_add_u32 s21, s23, 1
	s_addc_u32 s26, s24, 0
	s_add_u32 s27, s23, 2
	s_addc_u32 s28, s24, 0
	s_cmp_lg_u32 s20, 0
	s_cselect_b32 s20, s27, s21
	s_cselect_b32 s21, s28, s26
	s_cmp_lg_u64 s[18:19], 0
	s_subb_u32 s13, s13, s25
	s_cmp_ge_u32 s13, s11
	s_cselect_b32 s18, -1, 0
	s_cmp_ge_u32 s12, s10
	s_cselect_b32 s10, -1, 0
	s_cmp_eq_u32 s13, s11
	s_cselect_b32 s10, s10, s18
	s_cmp_lg_u32 s10, 0
	s_cselect_b32 s11, s21, s24
	s_cselect_b32 s10, s20, s23
	s_xor_b64 s[12:13], s[14:15], 0
	s_xor_b64 s[10:11], s[10:11], s[12:13]
	s_sub_u32 s10, s10, s12
	s_load_dwordx4 s[12:15], s[4:5], 0x44
	s_cbranch_execnz .LBB45_3
.LBB45_2:
	v_cvt_f32_u32_e32 v1, s22
	s_sub_i32 s10, 0, s22
	v_rcp_iflag_f32_e32 v1, v1
	v_mul_f32_e32 v1, 0x4f7ffffe, v1
	v_cvt_u32_f32_e32 v1, v1
	v_readfirstlane_b32 s11, v1
	s_mul_i32 s10, s10, s11
	s_mul_hi_u32 s10, s11, s10
	s_add_i32 s11, s11, s10
	s_mul_hi_u32 s10, s9, s11
	s_waitcnt lgkmcnt(0)
	s_mul_i32 s15, s10, s22
	s_sub_i32 s9, s9, s15
	s_add_i32 s11, s10, 1
	s_sub_i32 s15, s9, s22
	s_cmp_ge_u32 s9, s22
	s_cselect_b32 s10, s11, s10
	s_cselect_b32 s9, s15, s9
	s_add_i32 s11, s10, 1
	s_cmp_ge_u32 s9, s22
	s_cselect_b32 s10, s11, s10
.LBB45_3:
	s_add_i32 s9, s6, 1
	s_mul_hi_i32 s21, s3, s9
	s_mov_b32 s20, 0
	s_cmp_lg_u64 s[20:21], 0
	s_mul_i32 s9, s3, s9
	s_cbranch_scc0 .LBB45_21
; %bb.4:
	s_add_u32 s16, s22, 0
	s_addc_u32 s17, 0, 0
	s_xor_b64 s[18:19], s[16:17], 0
	v_cvt_f32_u32_e32 v1, s18
	v_cvt_f32_u32_e32 v2, s19
	s_sub_u32 s11, 0, s18
	s_waitcnt lgkmcnt(0)
	s_subb_u32 s15, 0, s19
	v_madmk_f32 v1, v2, 0x4f800000, v1
	v_rcp_f32_e32 v1, v1
	v_mul_f32_e32 v1, 0x5f7ffffc, v1
	v_mul_f32_e32 v2, 0x2f800000, v1
	v_trunc_f32_e32 v2, v2
	v_madmk_f32 v1, v2, 0xcf800000, v1
	v_cvt_u32_f32_e32 v2, v2
	v_cvt_u32_f32_e32 v1, v1
	v_readfirstlane_b32 s20, v2
	v_readfirstlane_b32 s23, v1
	s_mul_i32 s24, s11, s20
	s_mul_hi_u32 s26, s11, s23
	s_mul_i32 s25, s15, s23
	s_add_i32 s24, s26, s24
	s_add_i32 s24, s24, s25
	s_mul_i32 s27, s11, s23
	s_mul_i32 s26, s23, s24
	s_mul_hi_u32 s28, s23, s27
	s_mul_hi_u32 s25, s23, s24
	s_add_u32 s26, s28, s26
	s_addc_u32 s25, 0, s25
	s_mul_hi_u32 s29, s20, s27
	s_mul_i32 s27, s20, s27
	s_add_u32 s26, s26, s27
	s_mul_hi_u32 s28, s20, s24
	s_addc_u32 s25, s25, s29
	s_addc_u32 s26, s28, 0
	s_mul_i32 s24, s20, s24
	s_add_u32 s24, s25, s24
	s_addc_u32 s26, 0, s26
	s_add_u32 s23, s23, s24
	s_cselect_b64 s[24:25], -1, 0
	s_cmp_lg_u64 s[24:25], 0
	s_addc_u32 s20, s20, s26
	s_mul_i32 s24, s11, s20
	s_mul_hi_u32 s25, s11, s23
	s_add_i32 s24, s25, s24
	s_mul_i32 s15, s15, s23
	s_add_i32 s24, s24, s15
	s_mul_i32 s11, s11, s23
	s_mul_hi_u32 s25, s20, s11
	s_mul_i32 s26, s20, s11
	s_mul_i32 s28, s23, s24
	s_mul_hi_u32 s11, s23, s11
	s_mul_hi_u32 s27, s23, s24
	s_add_u32 s11, s11, s28
	s_addc_u32 s27, 0, s27
	s_add_u32 s11, s11, s26
	s_mul_hi_u32 s15, s20, s24
	s_addc_u32 s11, s27, s25
	s_addc_u32 s15, s15, 0
	s_mul_i32 s24, s20, s24
	s_add_u32 s11, s11, s24
	s_addc_u32 s15, 0, s15
	s_add_u32 s11, s23, s11
	s_cselect_b64 s[24:25], -1, 0
	s_cmp_lg_u64 s[24:25], 0
	s_addc_u32 s15, s20, s15
	s_ashr_i32 s24, s21, 31
	s_add_u32 s20, s9, s24
	s_mov_b32 s25, s24
	s_addc_u32 s21, s21, s24
	s_xor_b64 s[20:21], s[20:21], s[24:25]
	s_mul_i32 s26, s20, s15
	s_mul_hi_u32 s27, s20, s11
	s_mul_hi_u32 s23, s20, s15
	s_add_u32 s26, s27, s26
	s_addc_u32 s23, 0, s23
	s_mul_hi_u32 s28, s21, s11
	s_mul_i32 s11, s21, s11
	s_add_u32 s11, s26, s11
	s_mul_hi_u32 s27, s21, s15
	s_addc_u32 s11, s23, s28
	s_addc_u32 s23, s27, 0
	s_mul_i32 s15, s21, s15
	s_add_u32 s11, s11, s15
	s_addc_u32 s15, 0, s23
	s_mul_i32 s23, s18, s15
	s_mul_hi_u32 s26, s18, s11
	s_add_i32 s23, s26, s23
	s_mul_i32 s26, s19, s11
	s_add_i32 s23, s23, s26
	s_sub_i32 s28, s21, s23
	s_mul_i32 s26, s18, s11
	s_sub_u32 s20, s20, s26
	s_cselect_b64 s[26:27], -1, 0
	s_cmp_lg_u64 s[26:27], 0
	s_subb_u32 s30, s28, s19
	s_sub_u32 s31, s20, s18
	s_cselect_b64 s[28:29], -1, 0
	s_cmp_lg_u64 s[28:29], 0
	s_subb_u32 s28, s30, 0
	s_cmp_ge_u32 s28, s19
	s_cselect_b32 s29, -1, 0
	s_cmp_ge_u32 s31, s18
	s_cselect_b32 s30, -1, 0
	s_cmp_eq_u32 s28, s19
	s_cselect_b32 s28, s30, s29
	s_add_u32 s29, s11, 1
	s_addc_u32 s30, s15, 0
	s_add_u32 s31, s11, 2
	s_addc_u32 s33, s15, 0
	s_cmp_lg_u32 s28, 0
	s_cselect_b32 s28, s31, s29
	s_cselect_b32 s29, s33, s30
	s_cmp_lg_u64 s[26:27], 0
	s_subb_u32 s21, s21, s23
	s_cmp_ge_u32 s21, s19
	s_cselect_b32 s23, -1, 0
	s_cmp_ge_u32 s20, s18
	s_cselect_b32 s18, -1, 0
	s_cmp_eq_u32 s21, s19
	s_cselect_b32 s18, s18, s23
	s_cmp_lg_u32 s18, 0
	s_cselect_b32 s19, s29, s15
	s_cselect_b32 s18, s28, s11
	s_xor_b64 s[20:21], s[24:25], 0
	s_xor_b64 s[18:19], s[18:19], s[20:21]
	s_sub_u32 s18, s18, s20
	s_cbranch_execnz .LBB45_6
.LBB45_5:
	v_cvt_f32_u32_e32 v1, s22
	s_sub_i32 s11, 0, s22
	v_rcp_iflag_f32_e32 v1, v1
	v_mul_f32_e32 v1, 0x4f7ffffe, v1
	v_cvt_u32_f32_e32 v1, v1
	s_waitcnt lgkmcnt(0)
	v_readfirstlane_b32 s15, v1
	s_mul_i32 s11, s11, s15
	s_mul_hi_u32 s11, s15, s11
	s_add_i32 s15, s15, s11
	s_mul_hi_u32 s11, s9, s15
	s_mul_i32 s16, s11, s22
	s_sub_i32 s9, s9, s16
	s_add_i32 s15, s11, 1
	s_sub_i32 s16, s9, s22
	s_cmp_ge_u32 s9, s22
	s_cselect_b32 s11, s15, s11
	s_cselect_b32 s9, s16, s9
	s_add_i32 s15, s11, 1
	s_cmp_ge_u32 s9, s22
	s_cselect_b32 s18, s15, s11
.LBB45_6:
	s_cmp_eq_u32 s10, s18
	s_waitcnt lgkmcnt(0)
	s_mul_hi_u32 s9, s10, s12
	s_cselect_b64 s[16:17], -1, 0
	s_add_i32 s9, s9, s10
	s_lshr_b32 s11, s9, s13
	s_mul_i32 s9, s11, s14
	s_cmp_eq_u32 s9, s10
	s_mul_hi_u32 s9, s18, s12
	s_cselect_b64 s[20:21], -1, 0
	s_add_i32 s9, s9, s18
	s_lshr_b32 s9, s9, s13
	s_cmp_eq_u32 s11, s9
	s_mul_i32 s9, s9, s14
	s_cselect_b64 s[24:25], -1, 0
	s_cmp_lg_u32 s9, s18
	s_cselect_b64 s[18:19], -1, 0
	s_and_b64 s[18:19], s[24:25], s[18:19]
	s_or_b64 s[16:17], s[16:17], s[20:21]
	s_or_b64 s[16:17], s[16:17], s[18:19]
	s_and_b64 vcc, exec, s[16:17]
	s_cbranch_vccnz .LBB45_23
; %bb.7:
	s_load_dwordx8 s[24:31], s[4:5], 0x20
	s_load_dword s15, s[4:5], 0x40
	s_waitcnt lgkmcnt(0)
	s_mul_hi_u32 s9, s10, s24
	s_add_i32 s9, s9, s10
	s_lshr_b32 s9, s9, s25
	s_mul_i32 s16, s9, s26
	s_sub_i32 s16, s10, s16
	s_mul_hi_u32 s17, s16, s27
	s_add_i32 s17, s16, s17
	s_lshr_b32 s23, s17, s28
	s_mul_i32 s17, s23, s29
	s_sub_i32 s16, s16, s17
	;; [unrolled: 5-line block ×3, first 2 shown]
	s_mul_hi_u32 s16, s15, s12
	s_add_i32 s15, s15, s16
	s_lshr_b32 s25, s15, s13
	s_lshl_b32 s15, s25, 2
	s_lshl_b32 s24, s17, 1
	s_add_i32 s15, s15, s7
	s_cmp_lt_i32 s15, s0
	s_cselect_b64 s[16:17], -1, 0
	s_add_i32 s15, s24, s8
	s_cmp_lt_i32 s15, s2
	s_cselect_b64 s[18:19], -1, 0
	s_and_b64 s[16:17], s[16:17], s[18:19]
	s_andn2_b64 vcc, exec, s[16:17]
	s_cbranch_vccnz .LBB45_23
; %bb.8:
	s_load_dwordx4 s[16:19], s[4:5], 0x0
	s_mov_b32 s4, 0
	s_lshl_b32 s15, s7, 1
	s_lshl_b32 s20, s22, 5
	s_mov_b32 s21, s4
	s_add_i32 s15, s15, s8
	s_lshl_b64 s[20:21], s[20:21], 2
	s_waitcnt lgkmcnt(0)
	s_add_u32 s20, s18, s20
	s_mul_i32 s0, s9, s0
	s_addc_u32 s21, s19, s21
	s_add_i32 s0, s0, s7
	s_mul_i32 s0, s0, s1
	s_mul_i32 s23, s23, s2
	s_add_i32 s0, s0, s8
	s_add_i32 s0, s0, s23
	s_mul_i32 s2, s1, s25
	s_add_i32 s0, s0, s24
	s_lshl_b32 s2, s2, 8
	s_lshl_b32 s0, s0, 6
	s_add_i32 s2, s2, s0
	v_or_b32_e32 v1, s2, v0
	v_ashrrev_i32_e32 v2, 31, v1
	v_lshlrev_b64 v[1:2], 2, v[1:2]
	v_mov_b32_e32 v3, s17
	v_add_co_u32_e32 v1, vcc, s16, v1
	v_addc_co_u32_e32 v2, vcc, v3, v2, vcc
	global_load_dword v3, v[1:2], off
	v_cvt_f32_u32_e32 v4, s22
	s_lshl_b32 s0, s6, 3
	s_add_i32 s0, s15, s0
	s_ashr_i32 s1, s0, 31
	s_lshl_b64 s[0:1], s[0:1], 3
	v_rcp_iflag_f32_e32 v4, v4
	s_add_u32 s0, s18, s0
	s_addc_u32 s1, s19, s1
	s_load_dwordx2 s[0:1], s[0:1], 0x0
	v_mul_f32_e32 v4, 0x4f7ffffe, v4
	v_cvt_u32_f32_e32 v4, v4
	s_add_i32 s24, s6, -1
	v_lshl_or_b32 v0, s15, 6, v0
	s_waitcnt lgkmcnt(0)
	v_mov_b32_e32 v6, s1
	v_mov_b32_e32 v7, s0
	s_mov_b32 s2, 0x3fb8aa3b
	s_mov_b32 s16, 0xc2ce8ed0
	;; [unrolled: 1-line block ×4, first 2 shown]
	v_mov_b32_e32 v5, 0x7f800000
	s_mul_hi_i32 s5, s24, s3
	s_cmp_lg_u64 s[4:5], 0
	s_mul_i32 s8, s24, s3
	s_cbranch_scc0 .LBB45_19
.LBB45_9:
	s_add_u32 s0, s22, 0
	s_addc_u32 s1, 0, 0
	s_xor_b64 s[0:1], s[0:1], 0
	v_cvt_f32_u32_e32 v8, s0
	v_cvt_f32_u32_e32 v9, s1
	s_sub_u32 s9, 0, s0
	s_subb_u32 s25, 0, s1
	v_mac_f32_e32 v8, 0x4f800000, v9
	v_rcp_f32_e32 v8, v8
	v_mul_f32_e32 v8, 0x5f7ffffc, v8
	v_mul_f32_e32 v9, 0x2f800000, v8
	v_trunc_f32_e32 v9, v9
	v_mac_f32_e32 v8, 0xcf800000, v9
	v_cvt_u32_f32_e32 v9, v9
	v_cvt_u32_f32_e32 v8, v8
	v_readfirstlane_b32 s26, v9
	v_readfirstlane_b32 s6, v8
	s_mul_i32 s7, s9, s26
	s_mul_hi_u32 s28, s9, s6
	s_mul_i32 s27, s25, s6
	s_add_i32 s7, s28, s7
	s_mul_i32 s29, s9, s6
	s_add_i32 s7, s7, s27
	s_mul_i32 s28, s6, s7
	s_mul_hi_u32 s30, s6, s29
	s_mul_hi_u32 s27, s6, s7
	s_add_u32 s28, s30, s28
	s_addc_u32 s27, 0, s27
	s_mul_hi_u32 s31, s26, s29
	s_mul_i32 s29, s26, s29
	s_add_u32 s28, s28, s29
	s_mul_hi_u32 s30, s26, s7
	s_addc_u32 s27, s27, s31
	s_addc_u32 s28, s30, 0
	s_mul_i32 s7, s26, s7
	s_add_u32 s7, s27, s7
	s_addc_u32 s27, 0, s28
	s_add_u32 s28, s6, s7
	s_cselect_b64 s[6:7], -1, 0
	s_cmp_lg_u64 s[6:7], 0
	s_addc_u32 s26, s26, s27
	s_mul_i32 s6, s9, s26
	s_mul_hi_u32 s7, s9, s28
	s_add_i32 s6, s7, s6
	s_mul_i32 s25, s25, s28
	s_add_i32 s6, s6, s25
	s_mul_i32 s9, s9, s28
	s_mul_hi_u32 s25, s26, s9
	s_mul_i32 s27, s26, s9
	s_mul_i32 s30, s28, s6
	s_mul_hi_u32 s9, s28, s9
	s_mul_hi_u32 s29, s28, s6
	s_add_u32 s9, s9, s30
	s_addc_u32 s29, 0, s29
	s_add_u32 s9, s9, s27
	s_mul_hi_u32 s7, s26, s6
	s_addc_u32 s9, s29, s25
	s_addc_u32 s7, s7, 0
	s_mul_i32 s6, s26, s6
	s_add_u32 s6, s9, s6
	s_addc_u32 s9, 0, s7
	s_add_u32 s25, s28, s6
	s_cselect_b64 s[6:7], -1, 0
	s_cmp_lg_u64 s[6:7], 0
	s_addc_u32 s9, s26, s9
	s_ashr_i32 s6, s5, 31
	s_add_u32 s26, s8, s6
	s_mov_b32 s7, s6
	s_addc_u32 s27, s5, s6
	s_xor_b64 s[26:27], s[26:27], s[6:7]
	s_mul_i32 s28, s26, s9
	s_mul_hi_u32 s29, s26, s25
	s_mul_hi_u32 s5, s26, s9
	s_add_u32 s28, s29, s28
	s_addc_u32 s5, 0, s5
	s_mul_hi_u32 s30, s27, s25
	s_mul_i32 s25, s27, s25
	s_add_u32 s25, s28, s25
	s_mul_hi_u32 s29, s27, s9
	s_addc_u32 s5, s5, s30
	s_addc_u32 s25, s29, 0
	s_mul_i32 s9, s27, s9
	s_add_u32 s5, s5, s9
	s_addc_u32 s9, 0, s25
	s_mul_i32 s25, s0, s9
	s_mul_hi_u32 s28, s0, s5
	s_add_i32 s25, s28, s25
	s_mul_i32 s28, s1, s5
	s_add_i32 s25, s25, s28
	s_sub_i32 s30, s27, s25
	s_mul_i32 s28, s0, s5
	s_sub_u32 s26, s26, s28
	s_cselect_b64 s[28:29], -1, 0
	s_cmp_lg_u64 s[28:29], 0
	s_subb_u32 s33, s30, s1
	s_sub_u32 s34, s26, s0
	s_cselect_b64 s[30:31], -1, 0
	s_cmp_lg_u64 s[30:31], 0
	s_subb_u32 s30, s33, 0
	s_cmp_ge_u32 s30, s1
	s_cselect_b32 s31, -1, 0
	s_cmp_ge_u32 s34, s0
	s_cselect_b32 s33, -1, 0
	s_cmp_eq_u32 s30, s1
	s_cselect_b32 s30, s33, s31
	s_add_u32 s31, s5, 1
	s_addc_u32 s33, s9, 0
	s_add_u32 s34, s5, 2
	s_addc_u32 s35, s9, 0
	s_cmp_lg_u32 s30, 0
	s_cselect_b32 s30, s34, s31
	s_cselect_b32 s31, s35, s33
	s_cmp_lg_u64 s[28:29], 0
	s_subb_u32 s25, s27, s25
	s_cmp_ge_u32 s25, s1
	s_cselect_b32 s27, -1, 0
	s_cmp_ge_u32 s26, s0
	s_cselect_b32 s0, -1, 0
	s_cmp_eq_u32 s25, s1
	s_cselect_b32 s0, s0, s27
	s_cmp_lg_u32 s0, 0
	s_cselect_b32 s1, s31, s9
	s_cselect_b32 s0, s30, s5
	s_xor_b64 s[6:7], s[6:7], 0
	s_xor_b64 s[0:1], s[0:1], s[6:7]
	s_sub_u32 s6, s0, s6
	s_cbranch_execnz .LBB45_11
.LBB45_10:
	s_sub_i32 s0, 0, s22
	v_readfirstlane_b32 s1, v4
	s_mul_i32 s0, s0, s1
	s_mul_hi_u32 s0, s1, s0
	s_add_i32 s1, s1, s0
	s_mul_hi_u32 s0, s8, s1
	s_mul_i32 s5, s0, s22
	s_sub_i32 s5, s8, s5
	s_add_i32 s1, s0, 1
	s_sub_i32 s6, s5, s22
	s_cmp_ge_u32 s5, s22
	s_cselect_b32 s0, s1, s0
	s_cselect_b32 s5, s6, s5
	s_add_i32 s1, s0, 1
	s_cmp_ge_u32 s5, s22
	s_cselect_b32 s6, s1, s0
.LBB45_11:
	s_cmp_lg_u32 s10, s6
	s_mov_b64 s[8:9], -1
                                        ; implicit-def: $sgpr0_sgpr1
                                        ; implicit-def: $vgpr10
                                        ; implicit-def: $vgpr8
                                        ; implicit-def: $vgpr9
                                        ; implicit-def: $sgpr5
                                        ; implicit-def: $sgpr7
	s_cbranch_scc1 .LBB45_14
; %bb.12:
	s_andn2_b64 vcc, exec, s[8:9]
	s_cbranch_vccz .LBB45_17
.LBB45_13:
	s_andn2_b64 vcc, exec, s[0:1]
	s_cbranch_vccnz .LBB45_18
	s_branch .LBB45_22
.LBB45_14:
	s_add_i32 s0, s24, s22
	s_lshl_b32 s0, s0, 3
	s_add_i32 s0, s0, s15
	s_mov_b32 s1, s4
	s_lshl_b64 s[0:1], s[0:1], 3
	s_add_u32 s8, s18, s0
	s_mul_hi_u32 s0, s6, s12
	s_addc_u32 s9, s19, s1
	s_add_i32 s0, s0, s6
	s_lshr_b32 s5, s0, s13
	s_mul_i32 s0, s5, s14
	s_cmp_eq_u32 s0, s6
	s_cselect_b64 s[0:1], -1, 0
	s_cmp_lt_u32 s5, s11
	s_cselect_b64 s[26:27], -1, 0
	s_or_b64 s[26:27], s[26:27], s[0:1]
	s_mov_b64 s[0:1], -1
	s_and_b64 vcc, exec, s[26:27]
	s_mov_b32 s5, s24
	s_mov_b32 s7, s10
	s_cbranch_vccnz .LBB45_16
; %bb.15:
	s_add_i32 s5, s24, -1
	s_mov_b64 s[0:1], 0
	s_mov_b32 s7, s6
.LBB45_16:
	v_lshl_add_u32 v8, s24, 9, v0
	v_ashrrev_i32_e32 v9, 31, v8
	v_lshlrev_b64 v[8:9], 2, v[8:9]
	v_mov_b32_e32 v10, s21
	v_add_co_u32_e32 v8, vcc, s20, v8
	v_addc_co_u32_e32 v9, vcc, v10, v9, vcc
	global_load_dword v10, v[8:9], off
	s_load_dwordx2 s[8:9], s[8:9], 0x0
	v_max_f32_e32 v8, v7, v7
	s_waitcnt lgkmcnt(0)
	v_max_f32_e64 v9, s8, s8
	v_max_f32_e32 v8, v8, v9
	v_sub_f32_e32 v9, v7, v8
	v_sub_f32_e32 v11, s8, v8
	v_mul_f32_e32 v12, 0x3fb8aa3b, v9
	v_mul_f32_e32 v13, 0x3fb8aa3b, v11
	v_fma_f32 v14, v9, s2, -v12
	v_rndne_f32_e32 v15, v12
	v_fma_f32 v16, v11, s2, -v13
	v_rndne_f32_e32 v17, v13
	v_fmac_f32_e32 v14, 0x32a5705f, v9
	v_sub_f32_e32 v12, v12, v15
	v_fmac_f32_e32 v16, 0x32a5705f, v11
	v_sub_f32_e32 v13, v13, v17
	v_add_f32_e32 v12, v12, v14
	v_cvt_i32_f32_e32 v15, v15
	v_add_f32_e32 v13, v13, v16
	v_exp_f32_e32 v12, v12
	v_cvt_i32_f32_e32 v17, v17
	v_exp_f32_e32 v13, v13
	v_cmp_ngt_f32_e32 vcc, s16, v9
	v_ldexp_f32 v12, v12, v15
	v_cndmask_b32_e32 v12, 0, v12, vcc
	v_ldexp_f32 v13, v13, v17
	v_cmp_ngt_f32_e32 vcc, s16, v11
	v_cndmask_b32_e32 v13, 0, v13, vcc
	v_cmp_nlt_f32_e32 vcc, s17, v9
	v_cndmask_b32_e32 v12, v5, v12, vcc
	v_cmp_nlt_f32_e32 vcc, s17, v11
	v_cndmask_b32_e32 v13, v5, v13, vcc
	v_cmp_le_f32_e32 vcc, s23, v9
	v_cndmask_b32_e32 v12, 0, v12, vcc
	v_cmp_le_f32_e32 vcc, s23, v11
	v_cndmask_b32_e32 v11, 0, v13, vcc
	v_mul_f32_e32 v9, s9, v11
	v_fmac_f32_e32 v9, v6, v12
	s_waitcnt vmcnt(0)
	v_mul_f32_e32 v10, v10, v11
	v_fmac_f32_e32 v10, v3, v12
	s_cbranch_execnz .LBB45_13
.LBB45_17:
	s_add_i32 s5, s24, -1
	s_mov_b32 s7, s10
	v_mov_b32_e32 v9, v6
	v_mov_b32_e32 v8, v7
	s_waitcnt vmcnt(0)
	v_mov_b32_e32 v10, v3
	s_cbranch_execz .LBB45_22
.LBB45_18:
	s_mov_b32 s10, s7
	s_mov_b32 s24, s5
	v_mov_b32_e32 v6, v9
	v_mov_b32_e32 v7, v8
	s_waitcnt vmcnt(0)
	v_mov_b32_e32 v3, v10
	s_mul_hi_i32 s5, s24, s3
	s_cmp_lg_u64 s[4:5], 0
	s_mul_i32 s8, s24, s3
	s_cbranch_scc1 .LBB45_9
.LBB45_19:
                                        ; implicit-def: $sgpr6_sgpr7
	s_branch .LBB45_10
.LBB45_20:
                                        ; implicit-def: $sgpr10_sgpr11
	s_load_dwordx4 s[12:15], s[4:5], 0x44
	s_branch .LBB45_2
.LBB45_21:
                                        ; implicit-def: $sgpr18_sgpr19
	s_branch .LBB45_5
.LBB45_22:
	v_div_scale_f32 v0, s[0:1], v9, v9, v10
	s_waitcnt vmcnt(0)
	v_div_scale_f32 v3, vcc, v10, v9, v10
	v_rcp_f32_e32 v4, v0
	v_fma_f32 v5, -v0, v4, 1.0
	v_fmac_f32_e32 v4, v5, v4
	v_mul_f32_e32 v5, v3, v4
	v_fma_f32 v6, -v0, v5, v3
	v_fmac_f32_e32 v5, v6, v4
	v_fma_f32 v0, -v0, v5, v3
	v_div_fmas_f32 v0, v0, v4, v5
	v_div_fixup_f32 v0, v0, v9, v10
	global_store_dword v[1:2], v0, off
.LBB45_23:
	s_endpgm
	.section	.rodata,"a",@progbits
	.p2align	6, 0x0
	.amdhsa_kernel _ZL33flash_attn_stream_k_fixup_generalILi64ELi4ELi2EEvPfPK15HIP_vector_typeIfLj2EEiiiiS1_IjLj3EES5_S5_S5_
		.amdhsa_group_segment_fixed_size 0
		.amdhsa_private_segment_fixed_size 0
		.amdhsa_kernarg_size 336
		.amdhsa_user_sgpr_count 6
		.amdhsa_user_sgpr_private_segment_buffer 1
		.amdhsa_user_sgpr_dispatch_ptr 0
		.amdhsa_user_sgpr_queue_ptr 0
		.amdhsa_user_sgpr_kernarg_segment_ptr 1
		.amdhsa_user_sgpr_dispatch_id 0
		.amdhsa_user_sgpr_flat_scratch_init 0
		.amdhsa_user_sgpr_private_segment_size 0
		.amdhsa_uses_dynamic_stack 0
		.amdhsa_system_sgpr_private_segment_wavefront_offset 0
		.amdhsa_system_sgpr_workgroup_id_x 1
		.amdhsa_system_sgpr_workgroup_id_y 1
		.amdhsa_system_sgpr_workgroup_id_z 1
		.amdhsa_system_sgpr_workgroup_info 0
		.amdhsa_system_vgpr_workitem_id 0
		.amdhsa_next_free_vgpr 18
		.amdhsa_next_free_sgpr 36
		.amdhsa_reserve_vcc 1
		.amdhsa_reserve_flat_scratch 0
		.amdhsa_float_round_mode_32 0
		.amdhsa_float_round_mode_16_64 0
		.amdhsa_float_denorm_mode_32 3
		.amdhsa_float_denorm_mode_16_64 3
		.amdhsa_dx10_clamp 1
		.amdhsa_ieee_mode 1
		.amdhsa_fp16_overflow 0
		.amdhsa_exception_fp_ieee_invalid_op 0
		.amdhsa_exception_fp_denorm_src 0
		.amdhsa_exception_fp_ieee_div_zero 0
		.amdhsa_exception_fp_ieee_overflow 0
		.amdhsa_exception_fp_ieee_underflow 0
		.amdhsa_exception_fp_ieee_inexact 0
		.amdhsa_exception_int_div_zero 0
	.end_amdhsa_kernel
	.section	.text._ZL33flash_attn_stream_k_fixup_generalILi64ELi4ELi2EEvPfPK15HIP_vector_typeIfLj2EEiiiiS1_IjLj3EES5_S5_S5_,"axG",@progbits,_ZL33flash_attn_stream_k_fixup_generalILi64ELi4ELi2EEvPfPK15HIP_vector_typeIfLj2EEiiiiS1_IjLj3EES5_S5_S5_,comdat
.Lfunc_end45:
	.size	_ZL33flash_attn_stream_k_fixup_generalILi64ELi4ELi2EEvPfPK15HIP_vector_typeIfLj2EEiiiiS1_IjLj3EES5_S5_S5_, .Lfunc_end45-_ZL33flash_attn_stream_k_fixup_generalILi64ELi4ELi2EEvPfPK15HIP_vector_typeIfLj2EEiiiiS1_IjLj3EES5_S5_S5_
                                        ; -- End function
	.set _ZL33flash_attn_stream_k_fixup_generalILi64ELi4ELi2EEvPfPK15HIP_vector_typeIfLj2EEiiiiS1_IjLj3EES5_S5_S5_.num_vgpr, 18
	.set _ZL33flash_attn_stream_k_fixup_generalILi64ELi4ELi2EEvPfPK15HIP_vector_typeIfLj2EEiiiiS1_IjLj3EES5_S5_S5_.num_agpr, 0
	.set _ZL33flash_attn_stream_k_fixup_generalILi64ELi4ELi2EEvPfPK15HIP_vector_typeIfLj2EEiiiiS1_IjLj3EES5_S5_S5_.numbered_sgpr, 36
	.set _ZL33flash_attn_stream_k_fixup_generalILi64ELi4ELi2EEvPfPK15HIP_vector_typeIfLj2EEiiiiS1_IjLj3EES5_S5_S5_.num_named_barrier, 0
	.set _ZL33flash_attn_stream_k_fixup_generalILi64ELi4ELi2EEvPfPK15HIP_vector_typeIfLj2EEiiiiS1_IjLj3EES5_S5_S5_.private_seg_size, 0
	.set _ZL33flash_attn_stream_k_fixup_generalILi64ELi4ELi2EEvPfPK15HIP_vector_typeIfLj2EEiiiiS1_IjLj3EES5_S5_S5_.uses_vcc, 1
	.set _ZL33flash_attn_stream_k_fixup_generalILi64ELi4ELi2EEvPfPK15HIP_vector_typeIfLj2EEiiiiS1_IjLj3EES5_S5_S5_.uses_flat_scratch, 0
	.set _ZL33flash_attn_stream_k_fixup_generalILi64ELi4ELi2EEvPfPK15HIP_vector_typeIfLj2EEiiiiS1_IjLj3EES5_S5_S5_.has_dyn_sized_stack, 0
	.set _ZL33flash_attn_stream_k_fixup_generalILi64ELi4ELi2EEvPfPK15HIP_vector_typeIfLj2EEiiiiS1_IjLj3EES5_S5_S5_.has_recursion, 0
	.set _ZL33flash_attn_stream_k_fixup_generalILi64ELi4ELi2EEvPfPK15HIP_vector_typeIfLj2EEiiiiS1_IjLj3EES5_S5_S5_.has_indirect_call, 0
	.section	.AMDGPU.csdata,"",@progbits
; Kernel info:
; codeLenInByte = 2940
; TotalNumSgprs: 40
; NumVgprs: 18
; ScratchSize: 0
; MemoryBound: 0
; FloatMode: 240
; IeeeMode: 1
; LDSByteSize: 0 bytes/workgroup (compile time only)
; SGPRBlocks: 4
; VGPRBlocks: 4
; NumSGPRsForWavesPerEU: 40
; NumVGPRsForWavesPerEU: 18
; Occupancy: 10
; WaveLimiterHint : 0
; COMPUTE_PGM_RSRC2:SCRATCH_EN: 0
; COMPUTE_PGM_RSRC2:USER_SGPR: 6
; COMPUTE_PGM_RSRC2:TRAP_HANDLER: 0
; COMPUTE_PGM_RSRC2:TGID_X_EN: 1
; COMPUTE_PGM_RSRC2:TGID_Y_EN: 1
; COMPUTE_PGM_RSRC2:TGID_Z_EN: 1
; COMPUTE_PGM_RSRC2:TIDIG_COMP_CNT: 0
	.section	.text._ZL15flash_attn_tileILi64ELi64ELi2ELi2ELb0EEvPKcS1_S1_S1_S1_PKiPfP15HIP_vector_typeIfLj2EEffffjfiS5_IjLj3EEiiiiiiiiiiiliiliiiiil,"axG",@progbits,_ZL15flash_attn_tileILi64ELi64ELi2ELi2ELb0EEvPKcS1_S1_S1_S1_PKiPfP15HIP_vector_typeIfLj2EEffffjfiS5_IjLj3EEiiiiiiiiiiiliiliiiiil,comdat
	.globl	_ZL15flash_attn_tileILi64ELi64ELi2ELi2ELb0EEvPKcS1_S1_S1_S1_PKiPfP15HIP_vector_typeIfLj2EEffffjfiS5_IjLj3EEiiiiiiiiiiiliiliiiiil ; -- Begin function _ZL15flash_attn_tileILi64ELi64ELi2ELi2ELb0EEvPKcS1_S1_S1_S1_PKiPfP15HIP_vector_typeIfLj2EEffffjfiS5_IjLj3EEiiiiiiiiiiiliiliiiiil
	.p2align	8
	.type	_ZL15flash_attn_tileILi64ELi64ELi2ELi2ELb0EEvPKcS1_S1_S1_S1_PKiPfP15HIP_vector_typeIfLj2EEffffjfiS5_IjLj3EEiiiiiiiiiiiliiliiiiil,@function
_ZL15flash_attn_tileILi64ELi64ELi2ELi2ELb0EEvPKcS1_S1_S1_S1_PKiPfP15HIP_vector_typeIfLj2EEffffjfiS5_IjLj3EEiiiiiiiiiiiliiliiiiil: ; @_ZL15flash_attn_tileILi64ELi64ELi2ELi2ELb0EEvPKcS1_S1_S1_S1_PKiPfP15HIP_vector_typeIfLj2EEffffjfiS5_IjLj3EEiiiiiiiiiiiliiliiiiil
; %bb.0:
	s_load_dwordx4 s[0:3], s[4:5], 0x5c
	s_load_dwordx2 s[28:29], s[4:5], 0x80
	s_load_dwordx2 s[34:35], s[4:5], 0xb8
	s_mov_b64 s[30:31], 0
	s_waitcnt lgkmcnt(0)
	s_lshr_b32 s9, s3, 31
	s_add_i32 s9, s3, s9
	s_ashr_i32 s9, s9, 1
	v_cvt_f32_u32_e32 v2, s9
	s_sub_i32 s10, 0, s9
	v_rcp_iflag_f32_e32 v2, v2
	v_mul_f32_e32 v2, 0x4f7ffffe, v2
	v_cvt_u32_f32_e32 v2, v2
	v_readfirstlane_b32 s11, v2
	s_mul_i32 s10, s10, s11
	s_mul_hi_u32 s10, s11, s10
	s_add_i32 s11, s11, s10
	s_mul_hi_u32 s10, s8, s11
	s_mul_i32 s11, s10, s9
	s_sub_i32 s11, s8, s11
	s_add_i32 s12, s10, 1
	s_sub_i32 s13, s11, s9
	s_cmp_ge_u32 s11, s9
	s_cselect_b32 s10, s12, s10
	s_cselect_b32 s11, s13, s11
	s_add_i32 s12, s10, 1
	s_cmp_ge_u32 s11, s9
	s_cselect_b32 s33, s12, s10
	s_abs_i32 s9, s29
	v_cvt_f32_u32_e32 v2, s9
	s_lshl_b32 s8, s8, 1
	s_mul_i32 s12, s33, s3
	s_xor_b32 s10, s3, s29
	v_rcp_iflag_f32_e32 v2, v2
	s_sub_i32 s13, 0, s9
	s_sub_i32 s29, s8, s12
	s_abs_i32 s11, s3
	v_mul_f32_e32 v2, 0x4f7ffffe, v2
	v_cvt_u32_f32_e32 v2, v2
	s_ashr_i32 s10, s10, 31
	v_readfirstlane_b32 s8, v2
	s_mul_i32 s13, s13, s8
	s_mul_hi_u32 s12, s8, s13
	s_add_i32 s8, s8, s12
	s_mul_hi_u32 s8, s11, s8
	s_mul_i32 s12, s8, s9
	s_sub_i32 s11, s11, s12
	s_add_i32 s13, s8, 1
	s_sub_i32 s12, s11, s9
	s_cmp_ge_u32 s11, s9
	s_cselect_b32 s8, s13, s8
	s_cselect_b32 s11, s12, s11
	s_add_i32 s12, s8, 1
	s_cmp_ge_u32 s11, s9
	s_cselect_b32 s8, s12, s8
	s_xor_b32 s8, s8, s10
	s_sub_i32 s37, s8, s10
	s_abs_i32 s36, s37
	v_cvt_f32_u32_e32 v2, s36
	s_load_dwordx16 s[8:23], s[4:5], 0x0
	v_rcp_iflag_f32_e32 v2, v2
	s_waitcnt lgkmcnt(0)
	s_cmp_eq_u64 s[14:15], 0
	v_mul_f32_e32 v2, 0x4f7ffffe, v2
	v_cvt_u32_f32_e32 v2, v2
	v_readfirstlane_b32 s38, v2
	s_cbranch_scc1 .LBB46_2
; %bb.1:
	s_abs_i32 s26, s34
	v_cvt_f32_u32_e32 v2, s26
	s_sub_i32 s31, 0, s26
	s_abs_i32 s30, s33
	s_ashr_i32 s27, s33, 31
	v_rcp_iflag_f32_e32 v2, v2
	s_load_dwordx2 s[24:25], s[4:5], 0xc8
	v_mul_f32_e32 v2, 0x4f7ffffe, v2
	v_cvt_u32_f32_e32 v2, v2
	v_readfirstlane_b32 s34, v2
	s_mul_i32 s31, s31, s34
	s_mul_hi_u32 s31, s34, s31
	s_add_i32 s34, s34, s31
	s_mul_hi_u32 s31, s30, s34
	s_mul_i32 s31, s31, s26
	s_sub_i32 s30, s30, s31
	s_sub_i32 s31, s30, s26
	s_cmp_ge_u32 s30, s26
	s_cselect_b32 s30, s31, s30
	s_sub_i32 s31, s30, s26
	s_cmp_ge_u32 s30, s26
	s_cselect_b32 s26, s31, s30
	s_xor_b32 s26, s26, s27
	s_sub_i32 s26, s26, s27
	s_ashr_i32 s27, s26, 31
	s_waitcnt lgkmcnt(0)
	s_mul_hi_u32 s30, s24, s26
	s_mul_i32 s27, s24, s27
	s_mul_i32 s25, s25, s26
	s_add_i32 s27, s30, s27
	s_add_i32 s27, s27, s25
	s_mul_i32 s24, s24, s26
	s_add_u32 s30, s14, s24
	s_addc_u32 s31, s15, s27
.LBB46_2:
	v_lshrrev_b32_e32 v2, 1, v1
	s_load_dwordx4 s[24:27], s[4:5], 0x70
	v_lshl_add_u32 v28, s6, 1, v2
	v_mul_hi_u32 v2, s0, v28
	v_and_b32_e32 v27, 1, v1
	s_waitcnt lgkmcnt(0)
	s_mul_i32 s0, s33, s26
	v_add_u32_e32 v2, v28, v2
	s_ashr_i32 s15, s0, 31
	v_lshrrev_b32_e32 v2, s1, v2
	s_mul_i32 s14, s29, s25
	s_add_u32 s0, s8, s0
	v_mul_lo_u32 v2, v2, s2
	s_addc_u32 s8, s9, s15
	s_ashr_i32 s9, s14, 31
	s_add_u32 s14, s0, s14
	s_addc_u32 s15, s8, s9
	s_ashr_i32 s1, s25, 31
	s_mov_b32 s0, s25
	s_ashr_i32 s25, s24, 31
	v_sub_u32_e32 v2, v28, v2
	s_lshr_b64 s[8:9], s[24:25], 2
	v_mad_u64_u32 v[3:4], s[8:9], s8, v2, 0
	s_lshr_b64 s[8:9], s[0:1], 2
	s_lshr_b32 s0, s1, 2
	v_mul_lo_u32 v6, s0, v27
	s_lshr_b32 s0, s25, 2
	v_mad_u64_u32 v[4:5], s[0:1], s0, v2, v[4:5]
	v_mul_lo_u32 v5, s8, v27
	v_mov_b32_e32 v7, s15
	v_lshlrev_b64 v[3:4], 2, v[3:4]
	s_load_dword s0, s[4:5], 0x40
	v_lshlrev_b64 v[5:6], 2, v[5:6]
	s_cmp_eq_u64 s[18:19], 0
	v_add_co_u32_e32 v5, vcc, s14, v5
	v_addc_co_u32_e32 v6, vcc, v7, v6, vcc
	v_add_co_u32_e32 v3, vcc, v5, v3
	v_addc_co_u32_e32 v4, vcc, v6, v4, vcc
	v_lshlrev_b32_e32 v5, 3, v0
	v_add_co_u32_e32 v3, vcc, v3, v5
	v_addc_co_u32_e32 v4, vcc, 0, v4, vcc
	global_load_dwordx2 v[4:5], v[3:4], off
	v_lshlrev_b32_e32 v3, 7, v1
	v_add_u32_e32 v29, 0x2600, v3
	v_lshl_add_u32 v6, v0, 2, v29
	s_waitcnt vmcnt(0) lgkmcnt(0)
	v_fma_mixlo_f16 v5, s0, v5, 0
	v_fma_mixlo_f16 v4, s0, v4, 0
	v_lshlrev_b32_e32 v5, 16, v5
	v_or_b32_sdwa v4, v5, v4 dst_sel:DWORD dst_unused:UNUSED_PAD src0_sel:DWORD src1_sel:WORD_0
	ds_write_b32 v6, v4
	s_waitcnt lgkmcnt(0)
	s_barrier
	s_cbranch_scc1 .LBB46_4
; %bb.3:
	s_load_dword s0, s[4:5], 0xd0
	s_mov_b32 s1, 0
	s_waitcnt lgkmcnt(0)
	s_mul_i32 s0, s0, s33
	s_add_i32 s0, s0, s6
	s_lshl_b64 s[0:1], s[0:1], 2
	s_add_u32 s0, s18, s0
	s_addc_u32 s1, s19, s1
	s_load_dword s28, s[0:1], 0x0
.LBB46_4:
	s_lshl_b32 s6, s7, 6
	s_waitcnt lgkmcnt(0)
	s_cmp_lt_i32 s6, s28
	v_mbcnt_lo_u32_b32 v4, -1, 0
	s_cbranch_scc1 .LBB46_7
; %bb.5:
	v_mbcnt_hi_u32_b32 v30, -1, v4
	v_and_b32_e32 v5, 0x60, v30
	v_add_u32_e32 v31, 32, v5
	v_xor_b32_e32 v36, 16, v30
	v_xor_b32_e32 v32, 8, v30
	;; [unrolled: 1-line block ×5, first 2 shown]
	s_cbranch_execz .LBB46_8
; %bb.6:
	v_mov_b32_e32 v44, 0
	v_mov_b32_e32 v22, 0xfeffffff
	;; [unrolled: 1-line block ×3, first 2 shown]
	s_branch .LBB46_10
.LBB46_7:
                                        ; implicit-def: $vgpr30
                                        ; implicit-def: $vgpr31
                                        ; implicit-def: $vgpr36
                                        ; implicit-def: $vgpr32
                                        ; implicit-def: $vgpr35
                                        ; implicit-def: $vgpr34
                                        ; implicit-def: $vgpr33
.LBB46_8:
	s_sub_i32 s0, 0, s36
	s_mul_i32 s0, s0, s38
	s_mul_hi_u32 s0, s38, s0
	s_add_i32 s38, s38, s0
	s_load_dwordx2 s[0:1], s[4:5], 0x8c
	s_load_dwordx4 s[24:27], s[4:5], 0x98
	s_abs_i32 s18, s29
	s_mul_hi_u32 s19, s18, s38
	s_ashr_i32 s34, s29, 31
	s_waitcnt lgkmcnt(0)
	s_ashr_i32 s9, s0, 2
	s_ashr_i32 s8, s26, 2
	s_ashr_i32 s26, s33, 31
	s_ashr_i32 s0, s35, 1
	s_mul_hi_u32 s35, s24, s33
	s_mul_i32 s38, s24, s26
	s_add_i32 s35, s35, s38
	s_mul_i32 s25, s25, s33
	s_ashr_i32 s37, s37, 31
	s_add_i32 s35, s35, s25
	s_mul_i32 s24, s24, s33
	s_add_u32 s10, s10, s24
	s_mul_i32 s25, s19, s36
	s_addc_u32 s11, s11, s35
	s_sub_i32 s18, s18, s25
	s_xor_b32 s24, s34, s37
	s_add_i32 s25, s19, 1
	s_sub_i32 s34, s18, s36
	s_cmp_ge_u32 s18, s36
	s_cselect_b32 s19, s25, s19
	s_cselect_b32 s18, s34, s18
	s_add_i32 s25, s19, 1
	s_cmp_ge_u32 s18, s36
	s_cselect_b32 s18, s25, s19
	s_load_dwordx2 s[14:15], s[4:5], 0xa8
	s_xor_b32 s18, s18, s24
	s_sub_i32 s18, s18, s24
	s_mul_i32 s1, s18, s1
	s_ashr_i32 s19, s1, 31
	s_add_u32 s10, s10, s1
	s_addc_u32 s11, s11, s19
	s_waitcnt lgkmcnt(0)
	s_mul_hi_u32 s1, s14, s33
	s_mul_i32 s19, s14, s26
	s_add_i32 s1, s1, s19
	s_mul_i32 s15, s15, s33
	s_add_i32 s1, s1, s15
	s_mul_i32 s14, s14, s33
	v_lshrrev_b32_e32 v5, 3, v0
	s_add_u32 s12, s12, s14
	s_mul_i32 s18, s18, s27
	v_lshl_add_u32 v15, v1, 2, v5
	s_addc_u32 s1, s13, s1
	s_ashr_i32 s13, s18, 31
	v_lshlrev_b32_e32 v37, 2, v0
	v_mul_lo_u32 v7, s9, v15
	s_add_u32 s12, s12, s18
	v_and_b32_e32 v23, 28, v37
	s_addc_u32 s13, s1, s13
	v_lshlrev_b32_e32 v16, 2, v23
	s_movk_i32 s1, 0x90
	v_mad_u32_u24 v38, v15, s1, v16
	s_lshl_b32 s1, s9, 4
	v_add_u32_e32 v9, s1, v7
	v_add_u32_e32 v11, s1, v9
	v_add_u32_e32 v13, s1, v11
	v_mad_u64_u32 v[5:6], s[0:1], v2, s0, v[0:1]
	v_mul_lo_u32 v1, s8, v15
	s_lshl_b32 s0, s8, 4
	v_lshl_or_b32 v46, v15, 7, v16
	v_ashrrev_i32_e32 v8, 31, v7
	v_add_u32_e32 v16, s0, v1
	v_add_u32_e32 v18, s0, v16
	;; [unrolled: 1-line block ×3, first 2 shown]
	v_ashrrev_i32_e32 v10, 31, v9
	v_ashrrev_i32_e32 v12, 31, v11
	;; [unrolled: 1-line block ×7, first 2 shown]
	v_mbcnt_hi_u32_b32 v30, -1, v4
	v_add_u32_e32 v43, 0x2400, v3
	s_add_u32 s0, s4, 0xd0
	v_lshlrev_b64 v[6:7], 2, v[7:8]
	v_lshlrev_b64 v[8:9], 2, v[9:10]
	v_lshlrev_b64 v[10:11], 2, v[11:12]
	v_lshlrev_b64 v[12:13], 2, v[13:14]
	v_and_b32_e32 v3, 0x60, v30
	v_lshlrev_b64 v[14:15], 2, v[1:2]
	v_lshlrev_b64 v[16:17], 2, v[16:17]
	;; [unrolled: 1-line block ×4, first 2 shown]
	v_mov_b32_e32 v60, 0
	v_add_u32_e32 v39, 0x900, v38
	v_add_u32_e32 v40, 0x1200, v38
	;; [unrolled: 1-line block ×3, first 2 shown]
	v_mul_u32_u24_e32 v42, 0x90, v0
	v_lshl_add_u32 v45, v0, 1, v43
	v_add_u32_e32 v47, 0x800, v46
	v_add_u32_e32 v48, 0x1000, v46
	;; [unrolled: 1-line block ×3, first 2 shown]
	s_addc_u32 s1, s5, 0
	v_mov_b32_e32 v22, 0xfeffffff
	v_lshlrev_b32_e32 v50, 2, v23
	v_add_u32_e32 v31, 32, v3
	v_xor_b32_e32 v36, 16, v30
	v_xor_b32_e32 v32, 8, v30
	s_mov_b32 s14, 0x3fb8aa3b
	s_mov_b32 s15, 0xc2ce8ed0
	;; [unrolled: 1-line block ×4, first 2 shown]
	v_xor_b32_e32 v35, 4, v30
	v_xor_b32_e32 v34, 2, v30
	;; [unrolled: 1-line block ×3, first 2 shown]
	v_mov_b32_e32 v51, s31
	v_mov_b32_e32 v52, 0x7f800000
	v_add_u32_e32 v53, 0x400, v37
	v_add_u32_e32 v54, 0x800, v37
	;; [unrolled: 1-line block ×7, first 2 shown]
	v_mov_b32_e32 v44, 0
.LBB46_9:                               ; =>This Inner Loop Header: Depth=1
	s_mul_hi_i32 s25, s6, s9
	s_mul_i32 s24, s6, s9
	s_lshl_b64 s[24:25], s[24:25], 2
	s_add_u32 s24, s10, s24
	s_addc_u32 s25, s11, s25
	v_add_co_u32_e32 v2, vcc, s24, v6
	v_mov_b32_e32 v3, s25
	v_addc_co_u32_e32 v3, vcc, v3, v7, vcc
	v_add_co_u32_e32 v2, vcc, v2, v50
	v_addc_co_u32_e32 v3, vcc, 0, v3, vcc
	v_mov_b32_e32 v1, v22
	global_load_dwordx4 v[22:25], v[2:3], off
	v_add_co_u32_e32 v2, vcc, s24, v8
	v_mov_b32_e32 v3, s25
	v_addc_co_u32_e32 v3, vcc, v3, v9, vcc
	v_add_co_u32_e32 v2, vcc, v2, v50
	v_addc_co_u32_e32 v3, vcc, 0, v3, vcc
	s_waitcnt vmcnt(0)
	ds_write_b128 v38, v[22:25]
	global_load_dwordx4 v[22:25], v[2:3], off
	v_add_co_u32_e32 v2, vcc, s24, v10
	v_mov_b32_e32 v3, s25
	v_addc_co_u32_e32 v3, vcc, v3, v11, vcc
	v_add_co_u32_e32 v2, vcc, v2, v50
	v_addc_co_u32_e32 v3, vcc, 0, v3, vcc
	s_waitcnt vmcnt(0)
	ds_write_b128 v39, v[22:25]
	global_load_dwordx4 v[22:25], v[2:3], off
	v_add_co_u32_e32 v2, vcc, s24, v12
	v_mov_b32_e32 v3, s25
	v_addc_co_u32_e32 v3, vcc, v3, v13, vcc
	v_add_co_u32_e32 v2, vcc, v2, v50
	v_addc_co_u32_e32 v3, vcc, 0, v3, vcc
	v_cmp_lt_i32_e32 vcc, v36, v31
	v_cndmask_b32_e32 v4, v30, v36, vcc
	v_cmp_lt_i32_e32 vcc, v32, v31
	v_lshlrev_b32_e32 v4, 2, v4
	s_mul_hi_i32 s25, s6, s8
	s_mul_i32 s24, s6, s8
	s_lshl_b64 s[24:25], s[24:25], 2
	s_add_u32 s24, s12, s24
	s_addc_u32 s25, s13, s25
	s_waitcnt vmcnt(0)
	ds_write_b128 v40, v[22:25]
	global_load_dwordx4 v[22:25], v[2:3], off
	v_mov_b32_e32 v2, 0
	v_mov_b32_e32 v3, 0
	s_waitcnt vmcnt(0)
	ds_write_b128 v41, v[22:25]
	s_waitcnt lgkmcnt(0)
	s_barrier
	ds_read_b128 v[22:25], v42
	ds_read_b128 v[61:64], v42 offset:4608
	ds_read_b128 v[65:68], v29
	s_waitcnt lgkmcnt(0)
	;;#ASMSTART
	v_dot2_f32_f16 v2, v22, v65, v2
	;;#ASMEND
	;;#ASMSTART
	v_dot2_f32_f16 v2, v23, v66, v2
	;;#ASMEND
	;;#ASMSTART
	v_dot2_f32_f16 v2, v24, v67, v2
	;;#ASMEND
	;;#ASMSTART
	v_dot2_f32_f16 v2, v25, v68, v2
	;;#ASMEND
	;;#ASMSTART
	v_dot2_f32_f16 v3, v61, v65, v3
	;;#ASMEND
	;;#ASMSTART
	v_dot2_f32_f16 v3, v62, v66, v3
	;;#ASMEND
	;;#ASMSTART
	v_dot2_f32_f16 v3, v63, v67, v3
	;;#ASMEND
	;;#ASMSTART
	v_dot2_f32_f16 v3, v64, v68, v3
	;;#ASMEND
	ds_read_b128 v[22:25], v42 offset:16
	ds_read_b128 v[61:64], v42 offset:4624
	ds_read_b128 v[65:68], v29 offset:16
	s_waitcnt lgkmcnt(0)
	;;#ASMSTART
	v_dot2_f32_f16 v2, v22, v65, v2
	;;#ASMEND
	;;#ASMSTART
	v_dot2_f32_f16 v2, v23, v66, v2
	;;#ASMEND
	;;#ASMSTART
	v_dot2_f32_f16 v2, v24, v67, v2
	;;#ASMEND
	;;#ASMSTART
	v_dot2_f32_f16 v2, v25, v68, v2
	;;#ASMEND
	;;#ASMSTART
	v_dot2_f32_f16 v3, v61, v65, v3
	;;#ASMEND
	;;#ASMSTART
	v_dot2_f32_f16 v3, v62, v66, v3
	;;#ASMEND
	;;#ASMSTART
	v_dot2_f32_f16 v3, v63, v67, v3
	;;#ASMEND
	;;#ASMSTART
	v_dot2_f32_f16 v3, v64, v68, v3
	;;#ASMEND
	ds_read_b128 v[22:25], v42 offset:32
	ds_read_b128 v[61:64], v42 offset:4640
	ds_read_b128 v[65:68], v29 offset:32
	;; [unrolled: 28-line block ×7, first 2 shown]
	s_waitcnt lgkmcnt(0)
	;;#ASMSTART
	v_dot2_f32_f16 v2, v22, v65, v2
	;;#ASMEND
	;;#ASMSTART
	v_dot2_f32_f16 v2, v23, v66, v2
	;;#ASMEND
	v_add_u32_e32 v22, s6, v5
	;;#ASMSTART
	v_dot2_f32_f16 v2, v24, v67, v2
	;;#ASMEND
	v_cndmask_b32_e32 v24, v30, v32, vcc
	v_cmp_lt_i32_e32 vcc, v35, v31
	v_ashrrev_i32_e32 v23, 31, v22
	;;#ASMSTART
	v_dot2_f32_f16 v2, v25, v68, v2
	;;#ASMEND
	v_cndmask_b32_e32 v25, v30, v35, vcc
	v_cmp_lt_i32_e32 vcc, v34, v31
	v_lshlrev_b64 v[22:23], 1, v[22:23]
	;;#ASMSTART
	v_dot2_f32_f16 v3, v61, v65, v3
	;;#ASMEND
	v_cndmask_b32_e32 v26, v30, v34, vcc
	v_cmp_lt_i32_e32 vcc, v33, v31
	;;#ASMSTART
	v_dot2_f32_f16 v3, v62, v66, v3
	;;#ASMEND
	v_cndmask_b32_e32 v61, v30, v33, vcc
	v_add_co_u32_e32 v22, vcc, s30, v22
	;;#ASMSTART
	v_dot2_f32_f16 v3, v63, v67, v3
	;;#ASMEND
	v_addc_co_u32_e32 v23, vcc, v51, v23, vcc
	;;#ASMSTART
	v_dot2_f32_f16 v3, v64, v68, v3
	;;#ASMEND
	global_load_ushort v62, v[22:23], off
	s_waitcnt vmcnt(0)
	v_cvt_f32_f16_e32 v62, v62
	global_load_ushort v22, v[22:23], off offset:64
	v_lshlrev_b32_e32 v23, 2, v24
	v_lshlrev_b32_e32 v24, 2, v25
	v_add_f32_e32 v2, v2, v62
	v_add_f32_e32 v62, 0x40051340, v2
	v_lshlrev_b32_e32 v25, 2, v26
	v_lshlrev_b32_e32 v26, 2, v61
	s_waitcnt vmcnt(0)
	s_barrier
	v_cvt_f32_f16_e32 v22, v22
	v_add_f32_e32 v3, v3, v22
	v_add_f32_e32 v22, 0x40051340, v3
	v_max3_f32 v22, v1, v62, v22
	ds_bpermute_b32 v4, v4, v22
	s_waitcnt lgkmcnt(0)
	v_max_f32_e32 v4, v4, v4
	v_max_f32_e32 v4, v22, v4
	ds_bpermute_b32 v22, v23, v4
	s_waitcnt lgkmcnt(0)
	v_max_f32_e32 v22, v22, v22
	v_max_f32_e32 v4, v4, v22
	;; [unrolled: 4-line block ×4, first 2 shown]
	ds_bpermute_b32 v22, v26, v4
	v_mov_b32_e32 v26, s25
	s_waitcnt lgkmcnt(0)
	v_max_f32_e32 v22, v22, v22
	v_max_f32_e32 v22, v4, v22
	v_sub_f32_e32 v2, v2, v22
	v_mul_f32_e32 v4, 0x3fb8aa3b, v2
	v_fma_f32 v23, v2, s14, -v4
	v_rndne_f32_e32 v24, v4
	v_fmac_f32_e32 v23, 0x32a5705f, v2
	v_sub_f32_e32 v4, v4, v24
	v_add_f32_e32 v4, v4, v23
	v_exp_f32_e32 v4, v4
	v_cvt_i32_f32_e32 v23, v24
	v_sub_f32_e32 v3, v3, v22
	v_cmp_ngt_f32_e32 vcc, s15, v2
	v_sub_f32_e32 v1, v1, v22
	v_ldexp_f32 v4, v4, v23
	v_mul_f32_e32 v23, 0x3fb8aa3b, v3
	v_fma_f32 v24, v3, s14, -v23
	v_rndne_f32_e32 v25, v23
	v_fmac_f32_e32 v24, 0x32a5705f, v3
	v_sub_f32_e32 v23, v23, v25
	v_add_f32_e32 v23, v23, v24
	v_exp_f32_e32 v23, v23
	v_cvt_i32_f32_e32 v24, v25
	v_cndmask_b32_e32 v4, 0, v4, vcc
	v_cmp_nlt_f32_e32 vcc, s18, v2
	v_cndmask_b32_e32 v2, v52, v4, vcc
	v_ldexp_f32 v23, v23, v24
	v_cmp_ngt_f32_e32 vcc, s15, v3
	v_cndmask_b32_e32 v23, 0, v23, vcc
	v_cmp_nlt_f32_e32 vcc, s18, v3
	v_cndmask_b32_e32 v3, v52, v23, vcc
	v_mul_f32_e32 v23, 0x3fb8aa3b, v1
	v_fma_f32 v24, v1, s14, -v23
	v_rndne_f32_e32 v25, v23
	v_fmac_f32_e32 v24, 0x32a5705f, v1
	v_sub_f32_e32 v23, v23, v25
	v_add_f32_e32 v23, v23, v24
	v_exp_f32_e32 v23, v23
	v_cvt_i32_f32_e32 v24, v25
	v_cmp_ngt_f32_e32 vcc, s15, v1
	v_cvt_f16_f32_e32 v4, v2
	v_add_f32_e32 v2, v2, v3
	v_ldexp_f32 v23, v23, v24
	v_cndmask_b32_e32 v23, 0, v23, vcc
	v_cmp_nlt_f32_e32 vcc, s18, v1
	v_cndmask_b32_e32 v1, v52, v23, vcc
	v_mov_b32_e32 v23, v44
	v_mov_b32_e32 v44, v2
	v_fmac_f32_e32 v44, v23, v1
	v_cvt_f16_f32_e32 v1, v1
	v_mov_b32_e32 v2, s25
	v_cvt_f16_f32_e32 v3, v3
	ds_write_b16 v45, v4
	ds_write_b16 v45, v3 offset:64
	v_mul_u32_u24_e32 v61, 0x10001, v1
	v_add_co_u32_e32 v1, vcc, s24, v14
	v_addc_co_u32_e32 v2, vcc, v2, v15, vcc
	v_add_co_u32_e32 v1, vcc, v1, v50
	v_addc_co_u32_e32 v2, vcc, 0, v2, vcc
	v_add_co_u32_e32 v3, vcc, s24, v16
	v_mov_b32_e32 v4, s25
	v_addc_co_u32_e32 v4, vcc, v4, v17, vcc
	v_add_co_u32_e32 v3, vcc, v3, v50
	v_addc_co_u32_e32 v4, vcc, 0, v4, vcc
	global_load_dwordx4 v[62:65], v[1:2], off
	v_add_co_u32_e32 v23, vcc, s24, v18
	global_load_dwordx4 v[1:4], v[3:4], off
	v_mov_b32_e32 v24, s25
	v_addc_co_u32_e32 v24, vcc, v24, v19, vcc
	v_add_co_u32_e32 v23, vcc, v23, v50
	v_addc_co_u32_e32 v24, vcc, 0, v24, vcc
	v_add_co_u32_e32 v25, vcc, s24, v20
	v_addc_co_u32_e32 v26, vcc, v26, v21, vcc
	v_add_co_u32_e32 v25, vcc, v25, v50
	v_addc_co_u32_e32 v26, vcc, 0, v26, vcc
	s_waitcnt vmcnt(1)
	ds_write_b128 v46, v[62:65]
	s_waitcnt vmcnt(0)
	ds_write_b128 v47, v[1:4]
	global_load_dwordx4 v[1:4], v[23:24], off
	s_waitcnt vmcnt(0)
	ds_write_b128 v48, v[1:4]
	global_load_dwordx4 v[1:4], v[25:26], off
	s_waitcnt vmcnt(0)
	ds_write_b128 v49, v[1:4]
	s_waitcnt lgkmcnt(0)
	s_barrier
	ds_read2_b32 v[70:71], v37 offset1:32
	ds_read_b128 v[23:26], v43
	ds_read_b128 v[62:65], v43 offset:16
	ds_read_b128 v[66:69], v43 offset:32
	;; [unrolled: 1-line block ×3, first 2 shown]
	s_waitcnt lgkmcnt(3)
	v_mul_u32_u24_sdwa v72, v23, s19 dst_sel:DWORD dst_unused:UNUSED_PAD src0_sel:WORD_0 src1_sel:DWORD
	v_pk_mul_f16 v70, v70, v72
	v_pk_fma_f16 v60, v60, v61, v70
	v_mul_u32_u24_sdwa v23, v23, s19 dst_sel:DWORD dst_unused:UNUSED_PAD src0_sel:WORD_1 src1_sel:DWORD
	v_pk_fma_f16 v23, v71, v23, v60
	ds_read2_b32 v[60:61], v37 offset0:64 offset1:96
	v_mul_u32_u24_sdwa v70, v24, s19 dst_sel:DWORD dst_unused:UNUSED_PAD src0_sel:WORD_0 src1_sel:DWORD
	v_mul_u32_u24_sdwa v24, v24, s19 dst_sel:DWORD dst_unused:UNUSED_PAD src0_sel:WORD_1 src1_sel:DWORD
	s_waitcnt lgkmcnt(0)
	v_pk_fma_f16 v23, v60, v70, v23
	v_pk_fma_f16 v60, v61, v24, v23
	ds_read2_b32 v[23:24], v37 offset0:128 offset1:160
	v_mul_u32_u24_sdwa v61, v25, s19 dst_sel:DWORD dst_unused:UNUSED_PAD src0_sel:WORD_0 src1_sel:DWORD
	v_mul_u32_u24_sdwa v25, v25, s19 dst_sel:DWORD dst_unused:UNUSED_PAD src0_sel:WORD_1 src1_sel:DWORD
	s_waitcnt lgkmcnt(0)
	v_pk_fma_f16 v23, v23, v61, v60
	v_pk_fma_f16 v25, v24, v25, v23
	ds_read2_b32 v[23:24], v37 offset0:192 offset1:224
	v_mul_u32_u24_sdwa v60, v26, s19 dst_sel:DWORD dst_unused:UNUSED_PAD src0_sel:WORD_0 src1_sel:DWORD
	s_waitcnt lgkmcnt(0)
	v_pk_fma_f16 v23, v23, v60, v25
	v_mul_u32_u24_sdwa v25, v26, s19 dst_sel:DWORD dst_unused:UNUSED_PAD src0_sel:WORD_1 src1_sel:DWORD
	v_pk_fma_f16 v25, v24, v25, v23
	ds_read2_b32 v[23:24], v53 offset1:32
	v_mul_u32_u24_sdwa v26, v62, s19 dst_sel:DWORD dst_unused:UNUSED_PAD src0_sel:WORD_0 src1_sel:DWORD
	s_waitcnt lgkmcnt(0)
	v_pk_fma_f16 v23, v23, v26, v25
	v_mul_u32_u24_sdwa v25, v62, s19 dst_sel:DWORD dst_unused:UNUSED_PAD src0_sel:WORD_1 src1_sel:DWORD
	v_pk_fma_f16 v25, v24, v25, v23
	ds_read2_b32 v[23:24], v53 offset0:64 offset1:96
	v_mul_u32_u24_sdwa v26, v63, s19 dst_sel:DWORD dst_unused:UNUSED_PAD src0_sel:WORD_0 src1_sel:DWORD
	s_waitcnt lgkmcnt(0)
	v_pk_fma_f16 v23, v23, v26, v25
	v_mul_u32_u24_sdwa v25, v63, s19 dst_sel:DWORD dst_unused:UNUSED_PAD src0_sel:WORD_1 src1_sel:DWORD
	v_pk_fma_f16 v25, v24, v25, v23
	ds_read2_b32 v[23:24], v53 offset0:128 offset1:160
	v_mul_u32_u24_sdwa v26, v64, s19 dst_sel:DWORD dst_unused:UNUSED_PAD src0_sel:WORD_0 src1_sel:DWORD
	s_waitcnt lgkmcnt(0)
	v_pk_fma_f16 v23, v23, v26, v25
	v_mul_u32_u24_sdwa v25, v64, s19 dst_sel:DWORD dst_unused:UNUSED_PAD src0_sel:WORD_1 src1_sel:DWORD
	v_pk_fma_f16 v25, v24, v25, v23
	ds_read2_b32 v[23:24], v53 offset0:192 offset1:224
	v_mul_u32_u24_sdwa v26, v65, s19 dst_sel:DWORD dst_unused:UNUSED_PAD src0_sel:WORD_0 src1_sel:DWORD
	s_waitcnt lgkmcnt(0)
	v_pk_fma_f16 v23, v23, v26, v25
	v_mul_u32_u24_sdwa v25, v65, s19 dst_sel:DWORD dst_unused:UNUSED_PAD src0_sel:WORD_1 src1_sel:DWORD
	v_pk_fma_f16 v25, v24, v25, v23
	ds_read2_b32 v[23:24], v54 offset1:32
	v_mul_u32_u24_sdwa v26, v66, s19 dst_sel:DWORD dst_unused:UNUSED_PAD src0_sel:WORD_0 src1_sel:DWORD
	s_waitcnt lgkmcnt(0)
	v_pk_fma_f16 v23, v23, v26, v25
	v_mul_u32_u24_sdwa v25, v66, s19 dst_sel:DWORD dst_unused:UNUSED_PAD src0_sel:WORD_1 src1_sel:DWORD
	v_pk_fma_f16 v25, v24, v25, v23
	ds_read2_b32 v[23:24], v54 offset0:64 offset1:96
	v_mul_u32_u24_sdwa v26, v67, s19 dst_sel:DWORD dst_unused:UNUSED_PAD src0_sel:WORD_0 src1_sel:DWORD
	s_waitcnt lgkmcnt(0)
	v_pk_fma_f16 v23, v23, v26, v25
	v_mul_u32_u24_sdwa v25, v67, s19 dst_sel:DWORD dst_unused:UNUSED_PAD src0_sel:WORD_1 src1_sel:DWORD
	v_pk_fma_f16 v25, v24, v25, v23
	ds_read2_b32 v[23:24], v54 offset0:128 offset1:160
	v_mul_u32_u24_sdwa v26, v68, s19 dst_sel:DWORD dst_unused:UNUSED_PAD src0_sel:WORD_0 src1_sel:DWORD
	s_waitcnt lgkmcnt(0)
	v_pk_fma_f16 v23, v23, v26, v25
	v_mul_u32_u24_sdwa v25, v68, s19 dst_sel:DWORD dst_unused:UNUSED_PAD src0_sel:WORD_1 src1_sel:DWORD
	v_pk_fma_f16 v25, v24, v25, v23
	ds_read2_b32 v[23:24], v54 offset0:192 offset1:224
	v_mul_u32_u24_sdwa v26, v69, s19 dst_sel:DWORD dst_unused:UNUSED_PAD src0_sel:WORD_0 src1_sel:DWORD
	s_waitcnt lgkmcnt(0)
	v_pk_fma_f16 v23, v23, v26, v25
	v_mul_u32_u24_sdwa v25, v69, s19 dst_sel:DWORD dst_unused:UNUSED_PAD src0_sel:WORD_1 src1_sel:DWORD
	v_pk_fma_f16 v25, v24, v25, v23
	ds_read2_b32 v[23:24], v55 offset1:32
	v_mul_u32_u24_sdwa v26, v1, s19 dst_sel:DWORD dst_unused:UNUSED_PAD src0_sel:WORD_0 src1_sel:DWORD
	v_mul_u32_u24_sdwa v1, v1, s19 dst_sel:DWORD dst_unused:UNUSED_PAD src0_sel:WORD_1 src1_sel:DWORD
	s_waitcnt lgkmcnt(0)
	v_pk_fma_f16 v23, v23, v26, v25
	v_pk_fma_f16 v1, v24, v1, v23
	ds_read2_b32 v[23:24], v55 offset0:64 offset1:96
	v_mul_u32_u24_sdwa v25, v2, s19 dst_sel:DWORD dst_unused:UNUSED_PAD src0_sel:WORD_0 src1_sel:DWORD
	v_mul_u32_u24_sdwa v2, v2, s19 dst_sel:DWORD dst_unused:UNUSED_PAD src0_sel:WORD_1 src1_sel:DWORD
	s_waitcnt lgkmcnt(0)
	v_pk_fma_f16 v1, v23, v25, v1
	v_pk_fma_f16 v23, v24, v2, v1
	ds_read2_b32 v[1:2], v55 offset0:128 offset1:160
	;; [unrolled: 6-line block ×3, first 2 shown]
	v_mul_u32_u24_sdwa v23, v4, s19 dst_sel:DWORD dst_unused:UNUSED_PAD src0_sel:WORD_0 src1_sel:DWORD
	s_waitcnt lgkmcnt(0)
	v_pk_fma_f16 v1, v1, v23, v3
	v_mul_u32_u24_sdwa v3, v4, s19 dst_sel:DWORD dst_unused:UNUSED_PAD src0_sel:WORD_1 src1_sel:DWORD
	v_pk_fma_f16 v25, v2, v3, v1
	ds_read2_b32 v[23:24], v56 offset1:32
	ds_read_b128 v[1:4], v43 offset:64
	s_waitcnt lgkmcnt(0)
	v_mul_u32_u24_sdwa v26, v1, s19 dst_sel:DWORD dst_unused:UNUSED_PAD src0_sel:WORD_0 src1_sel:DWORD
	v_pk_fma_f16 v23, v23, v26, v25
	v_mul_u32_u24_sdwa v1, v1, s19 dst_sel:DWORD dst_unused:UNUSED_PAD src0_sel:WORD_1 src1_sel:DWORD
	v_pk_fma_f16 v1, v24, v1, v23
	ds_read2_b32 v[23:24], v56 offset0:64 offset1:96
	v_mul_u32_u24_sdwa v25, v2, s19 dst_sel:DWORD dst_unused:UNUSED_PAD src0_sel:WORD_0 src1_sel:DWORD
	v_mul_u32_u24_sdwa v2, v2, s19 dst_sel:DWORD dst_unused:UNUSED_PAD src0_sel:WORD_1 src1_sel:DWORD
	s_waitcnt lgkmcnt(0)
	v_pk_fma_f16 v1, v23, v25, v1
	v_pk_fma_f16 v23, v24, v2, v1
	ds_read2_b32 v[1:2], v56 offset0:128 offset1:160
	v_mul_u32_u24_sdwa v24, v3, s19 dst_sel:DWORD dst_unused:UNUSED_PAD src0_sel:WORD_0 src1_sel:DWORD
	v_mul_u32_u24_sdwa v3, v3, s19 dst_sel:DWORD dst_unused:UNUSED_PAD src0_sel:WORD_1 src1_sel:DWORD
	s_waitcnt lgkmcnt(0)
	v_pk_fma_f16 v1, v1, v24, v23
	v_pk_fma_f16 v3, v2, v3, v1
	ds_read2_b32 v[1:2], v56 offset0:192 offset1:224
	v_mul_u32_u24_sdwa v23, v4, s19 dst_sel:DWORD dst_unused:UNUSED_PAD src0_sel:WORD_0 src1_sel:DWORD
	s_waitcnt lgkmcnt(0)
	v_pk_fma_f16 v1, v1, v23, v3
	v_mul_u32_u24_sdwa v3, v4, s19 dst_sel:DWORD dst_unused:UNUSED_PAD src0_sel:WORD_1 src1_sel:DWORD
	v_pk_fma_f16 v25, v2, v3, v1
	ds_read2_b32 v[23:24], v57 offset1:32
	ds_read_b128 v[1:4], v43 offset:80
	s_waitcnt lgkmcnt(0)
	v_mul_u32_u24_sdwa v26, v1, s19 dst_sel:DWORD dst_unused:UNUSED_PAD src0_sel:WORD_0 src1_sel:DWORD
	v_pk_fma_f16 v23, v23, v26, v25
	v_mul_u32_u24_sdwa v1, v1, s19 dst_sel:DWORD dst_unused:UNUSED_PAD src0_sel:WORD_1 src1_sel:DWORD
	v_pk_fma_f16 v1, v24, v1, v23
	ds_read2_b32 v[23:24], v57 offset0:64 offset1:96
	v_mul_u32_u24_sdwa v25, v2, s19 dst_sel:DWORD dst_unused:UNUSED_PAD src0_sel:WORD_0 src1_sel:DWORD
	v_mul_u32_u24_sdwa v2, v2, s19 dst_sel:DWORD dst_unused:UNUSED_PAD src0_sel:WORD_1 src1_sel:DWORD
	s_waitcnt lgkmcnt(0)
	v_pk_fma_f16 v1, v23, v25, v1
	v_pk_fma_f16 v23, v24, v2, v1
	ds_read2_b32 v[1:2], v57 offset0:128 offset1:160
	v_mul_u32_u24_sdwa v24, v3, s19 dst_sel:DWORD dst_unused:UNUSED_PAD src0_sel:WORD_0 src1_sel:DWORD
	v_mul_u32_u24_sdwa v3, v3, s19 dst_sel:DWORD dst_unused:UNUSED_PAD src0_sel:WORD_1 src1_sel:DWORD
	s_waitcnt lgkmcnt(0)
	v_pk_fma_f16 v1, v1, v24, v23
	v_pk_fma_f16 v3, v2, v3, v1
	ds_read2_b32 v[1:2], v57 offset0:192 offset1:224
	;; [unrolled: 25-line block ×4, first 2 shown]
	s_waitcnt lgkmcnt(0)
	s_barrier
	s_load_dword s24, s[0:1], 0x4
	v_mul_u32_u24_sdwa v23, v4, s19 dst_sel:DWORD dst_unused:UNUSED_PAD src0_sel:WORD_0 src1_sel:DWORD
	v_pk_fma_f16 v1, v1, v23, v3
	v_mul_u32_u24_sdwa v3, v4, s19 dst_sel:DWORD dst_unused:UNUSED_PAD src0_sel:WORD_1 src1_sel:DWORD
	v_pk_fma_f16 v60, v2, v3, v1
	s_waitcnt lgkmcnt(0)
	s_lshl_b32 s24, s24, 6
	s_add_i32 s6, s24, s6
	s_cmp_ge_i32 s6, s28
	s_cbranch_scc0 .LBB46_9
.LBB46_10:
	v_cmp_lt_i32_e32 vcc, v36, v31
	v_cndmask_b32_e32 v2, v30, v36, vcc
	v_lshlrev_b32_e32 v2, 2, v2
	ds_bpermute_b32 v2, v2, v44
	v_cmp_lt_i32_e32 vcc, v32, v31
	v_cndmask_b32_e32 v3, v30, v32, vcc
	v_lshlrev_b32_e32 v3, 2, v3
	v_cmp_lt_i32_e32 vcc, v35, v31
	s_waitcnt lgkmcnt(0)
	v_add_f32_e32 v2, v44, v2
	ds_bpermute_b32 v3, v3, v2
	v_cndmask_b32_e32 v4, v30, v35, vcc
	v_lshlrev_b32_e32 v4, 2, v4
	v_cmp_lt_i32_e32 vcc, v34, v31
	s_cmp_lg_u64 s[16:17], 0
	s_waitcnt lgkmcnt(0)
	v_add_f32_e32 v2, v2, v3
	ds_bpermute_b32 v3, v4, v2
	v_cndmask_b32_e32 v4, v30, v34, vcc
	v_lshlrev_b32_e32 v4, 2, v4
	v_cmp_lt_i32_e32 vcc, v33, v31
	s_cselect_b64 s[0:1], -1, 0
	s_waitcnt lgkmcnt(0)
	v_add_f32_e32 v2, v2, v3
	ds_bpermute_b32 v3, v4, v2
	v_cndmask_b32_e32 v4, v30, v33, vcc
	v_lshlrev_b32_e32 v4, 2, v4
	s_cmp_eq_u32 s7, 0
	s_cselect_b64 s[8:9], -1, 0
	s_waitcnt lgkmcnt(0)
	v_add_f32_e32 v2, v2, v3
	ds_bpermute_b32 v3, v4, v2
	s_and_b64 s[0:1], s[8:9], s[0:1]
	v_lshlrev_b32_e32 v1, 1, v0
	s_and_b64 vcc, exec, s[0:1]
	s_waitcnt lgkmcnt(0)
	v_add_f32_e32 v23, v2, v3
	s_cbranch_vccz .LBB46_12
; %bb.11:
	v_add_u32_e32 v2, s29, v27
	v_ashrrev_i32_e32 v3, 31, v2
	v_lshlrev_b64 v[2:3], 2, v[2:3]
	v_mov_b32_e32 v4, s17
	v_add_co_u32_e32 v2, vcc, s16, v2
	v_addc_co_u32_e32 v3, vcc, v4, v3, vcc
	global_load_dword v2, v[2:3], off
	v_max_f32_e32 v3, v22, v22
	s_mov_b32 s0, 0x3fb8aa3b
	s_mov_b32 s1, 0xc2ce8ed0
	s_waitcnt vmcnt(0)
	v_max_f32_e32 v4, v2, v2
	v_max_f32_e32 v3, v3, v4
	v_sub_f32_e32 v4, v22, v3
	v_sub_f32_e32 v2, v2, v3
	v_mul_f32_e32 v5, 0x3fb8aa3b, v4
	v_mul_f32_e32 v6, 0x3fb8aa3b, v2
	v_fma_f32 v7, v4, s0, -v5
	v_rndne_f32_e32 v8, v5
	v_fma_f32 v9, v2, s0, -v6
	v_rndne_f32_e32 v10, v6
	v_fmac_f32_e32 v7, 0x32a5705f, v4
	v_sub_f32_e32 v5, v5, v8
	v_fmac_f32_e32 v9, 0x32a5705f, v2
	v_sub_f32_e32 v6, v6, v10
	v_add_f32_e32 v5, v5, v7
	v_cvt_i32_f32_e32 v8, v8
	v_add_f32_e32 v6, v6, v9
	v_exp_f32_e32 v5, v5
	v_cvt_i32_f32_e32 v10, v10
	v_exp_f32_e32 v6, v6
	v_cmp_ngt_f32_e32 vcc, s1, v4
	v_ldexp_f32 v5, v5, v8
	s_mov_b32 s0, 0x42b17218
	v_ldexp_f32 v6, v6, v10
	v_cndmask_b32_e32 v5, 0, v5, vcc
	v_cmp_ngt_f32_e32 vcc, s1, v2
	v_mov_b32_e32 v7, 0x7f800000
	v_cndmask_b32_e32 v6, 0, v6, vcc
	v_cmp_nlt_f32_e32 vcc, s0, v4
	v_cndmask_b32_e32 v4, v7, v5, vcc
	v_cvt_f16_f32_e32 v5, v4
	v_cmp_nlt_f32_e32 vcc, s0, v2
	v_cndmask_b32_e32 v2, v7, v6, vcc
	v_fmac_f32_e32 v2, v23, v4
	v_mov_b32_e32 v23, v2
	v_mul_u32_u24_e32 v2, 0x10001, v5
	v_pk_mul_f16 v60, v60, v2
	v_mov_b32_e32 v22, v3
.LBB46_12:
	v_cmp_gt_i32_e32 vcc, s2, v28
	s_and_saveexec_b64 s[0:1], vcc
	s_cbranch_execz .LBB46_15
; %bb.13:
	v_div_scale_f32 v2, s[0:1], v23, v23, 1.0
	v_div_scale_f32 v3, vcc, 1.0, v23, 1.0
	s_mul_i32 s33, s33, s2
	v_add_u32_e32 v5, s33, v28
	s_load_dword s0, s[4:5], 0xd4
	v_mul_lo_u32 v5, v5, s3
	v_add3_u32 v5, s29, v27, v5
	s_waitcnt lgkmcnt(0)
	v_mul_lo_u32 v5, s0, v5
	s_cmp_lg_u32 s0, 1
	v_rcp_f32_e32 v4, v2
	v_fma_f32 v6, -v2, v4, 1.0
	v_fmac_f32_e32 v4, v6, v4
	v_mul_f32_e32 v6, v3, v4
	v_fma_f32 v7, -v2, v6, v3
	v_fmac_f32_e32 v6, v7, v4
	v_fma_f32 v2, -v2, v6, v3
	v_div_fmas_f32 v3, v2, v4, v6
	v_cmp_eq_u32_e32 vcc, 0, v0
	v_add_u32_e32 v0, s7, v5
	v_mov_b32_e32 v2, 0
	v_lshl_add_u32 v1, v0, 6, v1
	v_lshlrev_b64 v[1:2], 2, v[1:2]
	v_cvt_f32_f16_e32 v4, v60
	v_cvt_f32_f16_sdwa v6, v60 dst_sel:DWORD dst_unused:UNUSED_PAD src0_sel:WORD_1
	v_mov_b32_e32 v7, s21
	v_add_co_u32_e64 v1, s[0:1], s20, v1
	v_addc_co_u32_e64 v2, s[0:1], v7, v2, s[0:1]
	s_cselect_b64 s[0:1], -1, 0
	v_div_fixup_f32 v3, v3, v23, 1.0
	v_cndmask_b32_e64 v5, v3, 1.0, s[0:1]
	v_mul_f32_e32 v3, v5, v4
	v_mul_f32_e32 v4, v5, v6
	s_and_b64 s[0:1], vcc, s[0:1]
	global_store_dwordx2 v[1:2], v[3:4], off
	s_and_b64 exec, exec, s[0:1]
	s_cbranch_execz .LBB46_15
; %bb.14:
	v_ashrrev_i32_e32 v1, 31, v0
	v_lshlrev_b64 v[0:1], 3, v[0:1]
	v_mov_b32_e32 v2, s23
	v_add_co_u32_e32 v0, vcc, s22, v0
	v_addc_co_u32_e32 v1, vcc, v2, v1, vcc
	global_store_dwordx2 v[0:1], v[22:23], off
.LBB46_15:
	s_endpgm
	.section	.rodata,"a",@progbits
	.p2align	6, 0x0
	.amdhsa_kernel _ZL15flash_attn_tileILi64ELi64ELi2ELi2ELb0EEvPKcS1_S1_S1_S1_PKiPfP15HIP_vector_typeIfLj2EEffffjfiS5_IjLj3EEiiiiiiiiiiiliiliiiiil
		.amdhsa_group_segment_fixed_size 10240
		.amdhsa_private_segment_fixed_size 0
		.amdhsa_kernarg_size 464
		.amdhsa_user_sgpr_count 6
		.amdhsa_user_sgpr_private_segment_buffer 1
		.amdhsa_user_sgpr_dispatch_ptr 0
		.amdhsa_user_sgpr_queue_ptr 0
		.amdhsa_user_sgpr_kernarg_segment_ptr 1
		.amdhsa_user_sgpr_dispatch_id 0
		.amdhsa_user_sgpr_flat_scratch_init 0
		.amdhsa_user_sgpr_private_segment_size 0
		.amdhsa_uses_dynamic_stack 0
		.amdhsa_system_sgpr_private_segment_wavefront_offset 0
		.amdhsa_system_sgpr_workgroup_id_x 1
		.amdhsa_system_sgpr_workgroup_id_y 1
		.amdhsa_system_sgpr_workgroup_id_z 1
		.amdhsa_system_sgpr_workgroup_info 0
		.amdhsa_system_vgpr_workitem_id 1
		.amdhsa_next_free_vgpr 73
		.amdhsa_next_free_sgpr 98
		.amdhsa_reserve_vcc 1
		.amdhsa_reserve_flat_scratch 0
		.amdhsa_float_round_mode_32 0
		.amdhsa_float_round_mode_16_64 0
		.amdhsa_float_denorm_mode_32 3
		.amdhsa_float_denorm_mode_16_64 3
		.amdhsa_dx10_clamp 1
		.amdhsa_ieee_mode 1
		.amdhsa_fp16_overflow 0
		.amdhsa_exception_fp_ieee_invalid_op 0
		.amdhsa_exception_fp_denorm_src 0
		.amdhsa_exception_fp_ieee_div_zero 0
		.amdhsa_exception_fp_ieee_overflow 0
		.amdhsa_exception_fp_ieee_underflow 0
		.amdhsa_exception_fp_ieee_inexact 0
		.amdhsa_exception_int_div_zero 0
	.end_amdhsa_kernel
	.section	.text._ZL15flash_attn_tileILi64ELi64ELi2ELi2ELb0EEvPKcS1_S1_S1_S1_PKiPfP15HIP_vector_typeIfLj2EEffffjfiS5_IjLj3EEiiiiiiiiiiiliiliiiiil,"axG",@progbits,_ZL15flash_attn_tileILi64ELi64ELi2ELi2ELb0EEvPKcS1_S1_S1_S1_PKiPfP15HIP_vector_typeIfLj2EEffffjfiS5_IjLj3EEiiiiiiiiiiiliiliiiiil,comdat
.Lfunc_end46:
	.size	_ZL15flash_attn_tileILi64ELi64ELi2ELi2ELb0EEvPKcS1_S1_S1_S1_PKiPfP15HIP_vector_typeIfLj2EEffffjfiS5_IjLj3EEiiiiiiiiiiiliiliiiiil, .Lfunc_end46-_ZL15flash_attn_tileILi64ELi64ELi2ELi2ELb0EEvPKcS1_S1_S1_S1_PKiPfP15HIP_vector_typeIfLj2EEffffjfiS5_IjLj3EEiiiiiiiiiiiliiliiiiil
                                        ; -- End function
	.set _ZL15flash_attn_tileILi64ELi64ELi2ELi2ELb0EEvPKcS1_S1_S1_S1_PKiPfP15HIP_vector_typeIfLj2EEffffjfiS5_IjLj3EEiiiiiiiiiiiliiliiiiil.num_vgpr, 73
	.set _ZL15flash_attn_tileILi64ELi64ELi2ELi2ELb0EEvPKcS1_S1_S1_S1_PKiPfP15HIP_vector_typeIfLj2EEffffjfiS5_IjLj3EEiiiiiiiiiiiliiliiiiil.num_agpr, 0
	.set _ZL15flash_attn_tileILi64ELi64ELi2ELi2ELb0EEvPKcS1_S1_S1_S1_PKiPfP15HIP_vector_typeIfLj2EEffffjfiS5_IjLj3EEiiiiiiiiiiiliiliiiiil.numbered_sgpr, 39
	.set _ZL15flash_attn_tileILi64ELi64ELi2ELi2ELb0EEvPKcS1_S1_S1_S1_PKiPfP15HIP_vector_typeIfLj2EEffffjfiS5_IjLj3EEiiiiiiiiiiiliiliiiiil.num_named_barrier, 0
	.set _ZL15flash_attn_tileILi64ELi64ELi2ELi2ELb0EEvPKcS1_S1_S1_S1_PKiPfP15HIP_vector_typeIfLj2EEffffjfiS5_IjLj3EEiiiiiiiiiiiliiliiiiil.private_seg_size, 0
	.set _ZL15flash_attn_tileILi64ELi64ELi2ELi2ELb0EEvPKcS1_S1_S1_S1_PKiPfP15HIP_vector_typeIfLj2EEffffjfiS5_IjLj3EEiiiiiiiiiiiliiliiiiil.uses_vcc, 1
	.set _ZL15flash_attn_tileILi64ELi64ELi2ELi2ELb0EEvPKcS1_S1_S1_S1_PKiPfP15HIP_vector_typeIfLj2EEffffjfiS5_IjLj3EEiiiiiiiiiiiliiliiiiil.uses_flat_scratch, 0
	.set _ZL15flash_attn_tileILi64ELi64ELi2ELi2ELb0EEvPKcS1_S1_S1_S1_PKiPfP15HIP_vector_typeIfLj2EEffffjfiS5_IjLj3EEiiiiiiiiiiiliiliiiiil.has_dyn_sized_stack, 0
	.set _ZL15flash_attn_tileILi64ELi64ELi2ELi2ELb0EEvPKcS1_S1_S1_S1_PKiPfP15HIP_vector_typeIfLj2EEffffjfiS5_IjLj3EEiiiiiiiiiiiliiliiiiil.has_recursion, 0
	.set _ZL15flash_attn_tileILi64ELi64ELi2ELi2ELb0EEvPKcS1_S1_S1_S1_PKiPfP15HIP_vector_typeIfLj2EEffffjfiS5_IjLj3EEiiiiiiiiiiiliiliiiiil.has_indirect_call, 0
	.section	.AMDGPU.csdata,"",@progbits
; Kernel info:
; codeLenInByte = 5384
; TotalNumSgprs: 43
; NumVgprs: 73
; ScratchSize: 0
; MemoryBound: 0
; FloatMode: 240
; IeeeMode: 1
; LDSByteSize: 10240 bytes/workgroup (compile time only)
; SGPRBlocks: 12
; VGPRBlocks: 18
; NumSGPRsForWavesPerEU: 102
; NumVGPRsForWavesPerEU: 73
; Occupancy: 3
; WaveLimiterHint : 1
; COMPUTE_PGM_RSRC2:SCRATCH_EN: 0
; COMPUTE_PGM_RSRC2:USER_SGPR: 6
; COMPUTE_PGM_RSRC2:TRAP_HANDLER: 0
; COMPUTE_PGM_RSRC2:TGID_X_EN: 1
; COMPUTE_PGM_RSRC2:TGID_Y_EN: 1
; COMPUTE_PGM_RSRC2:TGID_Z_EN: 1
; COMPUTE_PGM_RSRC2:TIDIG_COMP_CNT: 1
	.section	.text._ZL33flash_attn_stream_k_fixup_uniformILi64ELi2ELi2EEvPfPK15HIP_vector_typeIfLj2EEiiiiiiS1_IjLj3EES5_S5_,"axG",@progbits,_ZL33flash_attn_stream_k_fixup_uniformILi64ELi2ELi2EEvPfPK15HIP_vector_typeIfLj2EEiiiiiiS1_IjLj3EES5_S5_,comdat
	.globl	_ZL33flash_attn_stream_k_fixup_uniformILi64ELi2ELi2EEvPfPK15HIP_vector_typeIfLj2EEiiiiiiS1_IjLj3EES5_S5_ ; -- Begin function _ZL33flash_attn_stream_k_fixup_uniformILi64ELi2ELi2EEvPfPK15HIP_vector_typeIfLj2EEiiiiiiS1_IjLj3EES5_S5_
	.p2align	8
	.type	_ZL33flash_attn_stream_k_fixup_uniformILi64ELi2ELi2EEvPfPK15HIP_vector_typeIfLj2EEiiiiiiS1_IjLj3EES5_S5_,@function
_ZL33flash_attn_stream_k_fixup_uniformILi64ELi2ELi2EEvPfPK15HIP_vector_typeIfLj2EEiiiiiiS1_IjLj3EES5_S5_: ; @_ZL33flash_attn_stream_k_fixup_uniformILi64ELi2ELi2EEvPfPK15HIP_vector_typeIfLj2EEiiiiiiS1_IjLj3EES5_S5_
; %bb.0:
	s_load_dwordx8 s[12:19], s[4:5], 0x1c
	s_load_dwordx2 s[10:11], s[4:5], 0x10
	s_load_dwordx4 s[0:3], s[4:5], 0x3c
	s_waitcnt lgkmcnt(0)
	s_mul_hi_u32 s9, s15, s6
	s_add_i32 s9, s6, s9
	s_lshr_b32 s9, s9, s16
	s_mul_i32 s15, s9, s17
	s_sub_i32 s15, s6, s15
	s_mul_hi_u32 s16, s15, s18
	s_add_i32 s16, s15, s16
	s_lshr_b32 s16, s16, s19
	s_mul_i32 s0, s16, s0
	s_sub_i32 s0, s15, s0
	;; [unrolled: 5-line block ×3, first 2 shown]
	s_lshl_b32 s0, s17, 1
	s_lshl_b32 s15, s1, 1
	s_add_i32 s0, s0, s7
	s_cmp_lt_i32 s0, s10
	s_cselect_b64 s[0:1], -1, 0
	s_add_i32 s2, s15, s8
	s_cmp_lt_i32 s2, s13
	s_cselect_b64 s[2:3], -1, 0
	s_and_b64 s[0:1], s[0:1], s[2:3]
	s_andn2_b64 vcc, exec, s[0:1]
	s_cbranch_vccnz .LBB47_6
; %bb.1:
	s_load_dwordx4 s[0:3], s[4:5], 0x0
	s_mul_i32 s4, s9, s10
	s_add_i32 s4, s4, s7
	s_mul_i32 s4, s4, s11
	s_mul_i32 s16, s16, s13
	s_add_i32 s4, s4, s8
	s_add_i32 s4, s4, s16
	s_mul_i32 s5, s11, s17
	s_add_i32 s4, s4, s15
	s_lshl_b32 s5, s5, 7
	s_lshl_b32 s4, s4, 6
	s_add_i32 s5, s5, s4
	v_or_b32_e32 v1, s5, v0
	v_ashrrev_i32_e32 v2, 31, v1
	v_lshlrev_b64 v[1:2], 2, v[1:2]
	s_waitcnt lgkmcnt(0)
	v_mov_b32_e32 v3, s1
	v_add_co_u32_e32 v1, vcc, s0, v1
	v_addc_co_u32_e32 v2, vcc, v3, v2, vcc
	global_load_dword v8, v[1:2], off
	s_mul_i32 s9, s14, s6
	s_lshl_b32 s4, s7, 1
	s_add_i32 s11, s9, s14
	s_add_i32 s0, s4, s8
	s_lshl_b32 s1, s11, 2
	s_add_i32 s0, s0, s1
	s_add_i32 s0, s0, -4
	s_ashr_i32 s1, s0, 31
	s_lshl_b64 s[0:1], s[0:1], 3
	s_add_u32 s0, s2, s0
	s_addc_u32 s1, s3, s1
	s_load_dword s5, s[0:1], 0x4
	s_add_i32 s10, s11, -2
	s_cmp_lt_i32 s10, s9
	s_cbranch_scc1 .LBB47_4
; %bb.2:
	s_lshl_b32 s16, s12, 4
	s_ashr_i32 s17, s16, 31
	s_lshl_b64 s[16:17], s[16:17], 2
	s_add_u32 s10, s2, s16
	s_addc_u32 s13, s3, s17
	s_add_i32 s6, s6, 1
	s_load_dword s0, s[0:1], 0x0
	s_mul_i32 s1, s14, s6
	s_lshl_b32 s7, s7, 7
	s_lshl_b32 s14, s8, 6
	s_lshl_b32 s6, s1, 8
	s_add_i32 s7, s14, s7
	s_lshl_b32 s1, s1, 2
	s_add_i32 s7, s7, s6
	s_add_i32 s1, s8, s1
	s_lshl_b32 s6, s12, 2
	s_add_i32 s1, s1, s6
	v_or_b32_e32 v0, s7, v0
	s_add_i32 s1, s1, s4
	s_add_i32 s11, s11, -1
	v_add_u32_e32 v3, 0xfffffe00, v0
	s_add_i32 s4, s1, -8
	s_waitcnt lgkmcnt(0)
	v_mov_b32_e32 v7, s5
	v_mov_b32_e32 v6, s0
	;; [unrolled: 1-line block ×3, first 2 shown]
	s_mov_b32 s6, 0x3fb8aa3b
	s_mov_b32 s7, 0xc2ce8ed0
	;; [unrolled: 1-line block ×3, first 2 shown]
	v_mov_b32_e32 v5, 0x7f800000
	s_mov_b32 s12, 0xc1a00000
.LBB47_3:                               ; =>This Inner Loop Header: Depth=1
	v_ashrrev_i32_e32 v4, 31, v3
	v_lshlrev_b64 v[9:10], 2, v[3:4]
	s_ashr_i32 s5, s4, 31
	v_add_co_u32_e32 v9, vcc, s10, v9
	v_addc_co_u32_e32 v10, vcc, v0, v10, vcc
	global_load_dword v4, v[9:10], off
	s_lshl_b64 s[0:1], s[4:5], 3
	s_add_u32 s0, s2, s0
	s_addc_u32 s1, s3, s1
	s_load_dwordx2 s[14:15], s[0:1], 0x0
	s_waitcnt vmcnt(1)
	v_mov_b32_e32 v9, v8
	v_max_f32_e32 v8, v6, v6
	v_mov_b32_e32 v10, v7
	s_add_i32 s11, s11, -1
	s_waitcnt lgkmcnt(0)
	v_max_f32_e64 v7, s14, s14
	v_max_f32_e32 v7, v8, v7
	v_sub_f32_e32 v11, s14, v7
	v_sub_f32_e32 v8, v6, v7
	v_mul_f32_e32 v12, 0x3fb8aa3b, v11
	v_mov_b32_e32 v6, v7
	v_mul_f32_e32 v7, 0x3fb8aa3b, v8
	v_fma_f32 v15, v11, s6, -v12
	v_rndne_f32_e32 v16, v12
	v_fma_f32 v13, v8, s6, -v7
	v_rndne_f32_e32 v14, v7
	v_fmac_f32_e32 v15, 0x32a5705f, v11
	v_sub_f32_e32 v12, v12, v16
	v_fmac_f32_e32 v13, 0x32a5705f, v8
	v_sub_f32_e32 v7, v7, v14
	v_add_f32_e32 v12, v12, v15
	v_cvt_i32_f32_e32 v16, v16
	v_add_f32_e32 v7, v7, v13
	v_exp_f32_e32 v12, v12
	v_cvt_i32_f32_e32 v14, v14
	v_exp_f32_e32 v7, v7
	v_cmp_ngt_f32_e32 vcc, s7, v11
	v_ldexp_f32 v12, v12, v16
	v_cmp_ngt_f32_e64 s[0:1], s7, v8
	v_ldexp_f32 v7, v7, v14
	v_cndmask_b32_e32 v12, 0, v12, vcc
	v_cmp_nlt_f32_e32 vcc, s8, v11
	v_cndmask_b32_e64 v7, 0, v7, s[0:1]
	v_cmp_nlt_f32_e64 s[0:1], s8, v8
	v_cndmask_b32_e32 v12, v5, v12, vcc
	v_cmp_le_f32_e32 vcc, s12, v11
	v_cndmask_b32_e64 v7, v5, v7, s[0:1]
	v_cmp_le_f32_e64 s[0:1], s12, v8
	v_cndmask_b32_e32 v8, 0, v12, vcc
	s_add_i32 s4, s4, -4
	v_cndmask_b32_e64 v11, 0, v7, s[0:1]
	v_mul_f32_e32 v7, s15, v8
	v_add_u32_e32 v3, 0xffffff00, v3
	s_cmp_le_i32 s11, s9
	v_fmac_f32_e32 v7, v10, v11
	s_waitcnt vmcnt(0)
	v_mul_f32_e32 v8, v4, v8
	v_fmac_f32_e32 v8, v9, v11
	s_cbranch_scc0 .LBB47_3
	s_branch .LBB47_5
.LBB47_4:
	s_waitcnt lgkmcnt(0)
	v_mov_b32_e32 v7, s5
.LBB47_5:
	s_waitcnt vmcnt(0)
	v_div_scale_f32 v0, s[0:1], v7, v7, v8
	v_div_scale_f32 v3, vcc, v8, v7, v8
	v_rcp_f32_e32 v4, v0
	v_fma_f32 v5, -v0, v4, 1.0
	v_fmac_f32_e32 v4, v5, v4
	v_mul_f32_e32 v5, v3, v4
	v_fma_f32 v6, -v0, v5, v3
	v_fmac_f32_e32 v5, v6, v4
	v_fma_f32 v0, -v0, v5, v3
	v_div_fmas_f32 v0, v0, v4, v5
	v_div_fixup_f32 v0, v0, v7, v8
	global_store_dword v[1:2], v0, off
.LBB47_6:
	s_endpgm
	.section	.rodata,"a",@progbits
	.p2align	6, 0x0
	.amdhsa_kernel _ZL33flash_attn_stream_k_fixup_uniformILi64ELi2ELi2EEvPfPK15HIP_vector_typeIfLj2EEiiiiiiS1_IjLj3EES5_S5_
		.amdhsa_group_segment_fixed_size 0
		.amdhsa_private_segment_fixed_size 0
		.amdhsa_kernarg_size 76
		.amdhsa_user_sgpr_count 6
		.amdhsa_user_sgpr_private_segment_buffer 1
		.amdhsa_user_sgpr_dispatch_ptr 0
		.amdhsa_user_sgpr_queue_ptr 0
		.amdhsa_user_sgpr_kernarg_segment_ptr 1
		.amdhsa_user_sgpr_dispatch_id 0
		.amdhsa_user_sgpr_flat_scratch_init 0
		.amdhsa_user_sgpr_private_segment_size 0
		.amdhsa_uses_dynamic_stack 0
		.amdhsa_system_sgpr_private_segment_wavefront_offset 0
		.amdhsa_system_sgpr_workgroup_id_x 1
		.amdhsa_system_sgpr_workgroup_id_y 1
		.amdhsa_system_sgpr_workgroup_id_z 1
		.amdhsa_system_sgpr_workgroup_info 0
		.amdhsa_system_vgpr_workitem_id 0
		.amdhsa_next_free_vgpr 17
		.amdhsa_next_free_sgpr 20
		.amdhsa_reserve_vcc 1
		.amdhsa_reserve_flat_scratch 0
		.amdhsa_float_round_mode_32 0
		.amdhsa_float_round_mode_16_64 0
		.amdhsa_float_denorm_mode_32 3
		.amdhsa_float_denorm_mode_16_64 3
		.amdhsa_dx10_clamp 1
		.amdhsa_ieee_mode 1
		.amdhsa_fp16_overflow 0
		.amdhsa_exception_fp_ieee_invalid_op 0
		.amdhsa_exception_fp_denorm_src 0
		.amdhsa_exception_fp_ieee_div_zero 0
		.amdhsa_exception_fp_ieee_overflow 0
		.amdhsa_exception_fp_ieee_underflow 0
		.amdhsa_exception_fp_ieee_inexact 0
		.amdhsa_exception_int_div_zero 0
	.end_amdhsa_kernel
	.section	.text._ZL33flash_attn_stream_k_fixup_uniformILi64ELi2ELi2EEvPfPK15HIP_vector_typeIfLj2EEiiiiiiS1_IjLj3EES5_S5_,"axG",@progbits,_ZL33flash_attn_stream_k_fixup_uniformILi64ELi2ELi2EEvPfPK15HIP_vector_typeIfLj2EEiiiiiiS1_IjLj3EES5_S5_,comdat
.Lfunc_end47:
	.size	_ZL33flash_attn_stream_k_fixup_uniformILi64ELi2ELi2EEvPfPK15HIP_vector_typeIfLj2EEiiiiiiS1_IjLj3EES5_S5_, .Lfunc_end47-_ZL33flash_attn_stream_k_fixup_uniformILi64ELi2ELi2EEvPfPK15HIP_vector_typeIfLj2EEiiiiiiS1_IjLj3EES5_S5_
                                        ; -- End function
	.set _ZL33flash_attn_stream_k_fixup_uniformILi64ELi2ELi2EEvPfPK15HIP_vector_typeIfLj2EEiiiiiiS1_IjLj3EES5_S5_.num_vgpr, 17
	.set _ZL33flash_attn_stream_k_fixup_uniformILi64ELi2ELi2EEvPfPK15HIP_vector_typeIfLj2EEiiiiiiS1_IjLj3EES5_S5_.num_agpr, 0
	.set _ZL33flash_attn_stream_k_fixup_uniformILi64ELi2ELi2EEvPfPK15HIP_vector_typeIfLj2EEiiiiiiS1_IjLj3EES5_S5_.numbered_sgpr, 20
	.set _ZL33flash_attn_stream_k_fixup_uniformILi64ELi2ELi2EEvPfPK15HIP_vector_typeIfLj2EEiiiiiiS1_IjLj3EES5_S5_.num_named_barrier, 0
	.set _ZL33flash_attn_stream_k_fixup_uniformILi64ELi2ELi2EEvPfPK15HIP_vector_typeIfLj2EEiiiiiiS1_IjLj3EES5_S5_.private_seg_size, 0
	.set _ZL33flash_attn_stream_k_fixup_uniformILi64ELi2ELi2EEvPfPK15HIP_vector_typeIfLj2EEiiiiiiS1_IjLj3EES5_S5_.uses_vcc, 1
	.set _ZL33flash_attn_stream_k_fixup_uniformILi64ELi2ELi2EEvPfPK15HIP_vector_typeIfLj2EEiiiiiiS1_IjLj3EES5_S5_.uses_flat_scratch, 0
	.set _ZL33flash_attn_stream_k_fixup_uniformILi64ELi2ELi2EEvPfPK15HIP_vector_typeIfLj2EEiiiiiiS1_IjLj3EES5_S5_.has_dyn_sized_stack, 0
	.set _ZL33flash_attn_stream_k_fixup_uniformILi64ELi2ELi2EEvPfPK15HIP_vector_typeIfLj2EEiiiiiiS1_IjLj3EES5_S5_.has_recursion, 0
	.set _ZL33flash_attn_stream_k_fixup_uniformILi64ELi2ELi2EEvPfPK15HIP_vector_typeIfLj2EEiiiiiiS1_IjLj3EES5_S5_.has_indirect_call, 0
	.section	.AMDGPU.csdata,"",@progbits
; Kernel info:
; codeLenInByte = 856
; TotalNumSgprs: 24
; NumVgprs: 17
; ScratchSize: 0
; MemoryBound: 0
; FloatMode: 240
; IeeeMode: 1
; LDSByteSize: 0 bytes/workgroup (compile time only)
; SGPRBlocks: 2
; VGPRBlocks: 4
; NumSGPRsForWavesPerEU: 24
; NumVGPRsForWavesPerEU: 17
; Occupancy: 10
; WaveLimiterHint : 0
; COMPUTE_PGM_RSRC2:SCRATCH_EN: 0
; COMPUTE_PGM_RSRC2:USER_SGPR: 6
; COMPUTE_PGM_RSRC2:TRAP_HANDLER: 0
; COMPUTE_PGM_RSRC2:TGID_X_EN: 1
; COMPUTE_PGM_RSRC2:TGID_Y_EN: 1
; COMPUTE_PGM_RSRC2:TGID_Z_EN: 1
; COMPUTE_PGM_RSRC2:TIDIG_COMP_CNT: 0
	.section	.text._ZL33flash_attn_stream_k_fixup_generalILi64ELi2ELi2EEvPfPK15HIP_vector_typeIfLj2EEiiiiS1_IjLj3EES5_S5_S5_,"axG",@progbits,_ZL33flash_attn_stream_k_fixup_generalILi64ELi2ELi2EEvPfPK15HIP_vector_typeIfLj2EEiiiiS1_IjLj3EES5_S5_S5_,comdat
	.globl	_ZL33flash_attn_stream_k_fixup_generalILi64ELi2ELi2EEvPfPK15HIP_vector_typeIfLj2EEiiiiS1_IjLj3EES5_S5_S5_ ; -- Begin function _ZL33flash_attn_stream_k_fixup_generalILi64ELi2ELi2EEvPfPK15HIP_vector_typeIfLj2EEiiiiS1_IjLj3EES5_S5_S5_
	.p2align	8
	.type	_ZL33flash_attn_stream_k_fixup_generalILi64ELi2ELi2EEvPfPK15HIP_vector_typeIfLj2EEiiiiS1_IjLj3EES5_S5_S5_,@function
_ZL33flash_attn_stream_k_fixup_generalILi64ELi2ELi2EEvPfPK15HIP_vector_typeIfLj2EEiiiiS1_IjLj3EES5_S5_S5_: ; @_ZL33flash_attn_stream_k_fixup_generalILi64ELi2ELi2EEvPfPK15HIP_vector_typeIfLj2EEiiiiS1_IjLj3EES5_S5_S5_
; %bb.0:
	s_load_dwordx4 s[0:3], s[4:5], 0x10
	s_load_dword s22, s[4:5], 0x50
	s_mov_b32 s12, 0
	s_waitcnt lgkmcnt(0)
	s_mul_hi_i32 s13, s3, s6
	s_cmp_lg_u64 s[12:13], 0
	s_mul_i32 s9, s3, s6
	s_cbranch_scc0 .LBB48_20
; %bb.1:
	s_add_u32 s10, s22, 0
	s_addc_u32 s11, 0, 0
	s_xor_b64 s[10:11], s[10:11], 0
	v_cvt_f32_u32_e32 v1, s10
	v_cvt_f32_u32_e32 v2, s11
	s_sub_u32 s12, 0, s10
	s_subb_u32 s18, 0, s11
	v_madmk_f32 v1, v2, 0x4f800000, v1
	v_rcp_f32_e32 v1, v1
	v_mul_f32_e32 v1, 0x5f7ffffc, v1
	v_mul_f32_e32 v2, 0x2f800000, v1
	v_trunc_f32_e32 v2, v2
	v_madmk_f32 v1, v2, 0xcf800000, v1
	v_cvt_u32_f32_e32 v2, v2
	v_cvt_u32_f32_e32 v1, v1
	v_readfirstlane_b32 s19, v2
	v_readfirstlane_b32 s14, v1
	s_mul_i32 s15, s12, s19
	s_mul_hi_u32 s21, s12, s14
	s_mul_i32 s20, s18, s14
	s_add_i32 s15, s21, s15
	s_add_i32 s15, s15, s20
	s_mul_i32 s23, s12, s14
	s_mul_i32 s21, s14, s15
	s_mul_hi_u32 s24, s14, s23
	s_mul_hi_u32 s20, s14, s15
	s_add_u32 s21, s24, s21
	s_addc_u32 s20, 0, s20
	s_mul_hi_u32 s25, s19, s23
	s_mul_i32 s23, s19, s23
	s_add_u32 s21, s21, s23
	s_mul_hi_u32 s24, s19, s15
	s_addc_u32 s20, s20, s25
	s_addc_u32 s21, s24, 0
	s_mul_i32 s15, s19, s15
	s_add_u32 s15, s20, s15
	s_addc_u32 s20, 0, s21
	s_add_u32 s21, s14, s15
	s_cselect_b64 s[14:15], -1, 0
	s_cmp_lg_u64 s[14:15], 0
	s_addc_u32 s19, s19, s20
	s_mul_i32 s14, s12, s19
	s_mul_hi_u32 s15, s12, s21
	s_add_i32 s14, s15, s14
	s_mul_i32 s18, s18, s21
	s_add_i32 s14, s14, s18
	s_mul_i32 s12, s12, s21
	s_mul_hi_u32 s18, s19, s12
	s_mul_i32 s20, s19, s12
	s_mul_i32 s24, s21, s14
	s_mul_hi_u32 s12, s21, s12
	s_mul_hi_u32 s23, s21, s14
	s_add_u32 s12, s12, s24
	s_addc_u32 s23, 0, s23
	s_add_u32 s12, s12, s20
	s_mul_hi_u32 s15, s19, s14
	s_addc_u32 s12, s23, s18
	s_addc_u32 s15, s15, 0
	s_mul_i32 s14, s19, s14
	s_add_u32 s12, s12, s14
	s_addc_u32 s18, 0, s15
	s_add_u32 s20, s21, s12
	s_cselect_b64 s[14:15], -1, 0
	s_cmp_lg_u64 s[14:15], 0
	s_addc_u32 s18, s19, s18
	s_ashr_i32 s14, s13, 31
	s_add_u32 s12, s9, s14
	s_mov_b32 s15, s14
	s_addc_u32 s13, s13, s14
	s_xor_b64 s[12:13], s[12:13], s[14:15]
	s_mul_i32 s21, s12, s18
	s_mul_hi_u32 s23, s12, s20
	s_mul_hi_u32 s19, s12, s18
	s_add_u32 s21, s23, s21
	s_addc_u32 s19, 0, s19
	s_mul_hi_u32 s24, s13, s20
	s_mul_i32 s20, s13, s20
	s_add_u32 s20, s21, s20
	s_mul_hi_u32 s23, s13, s18
	s_addc_u32 s19, s19, s24
	s_addc_u32 s20, s23, 0
	s_mul_i32 s18, s13, s18
	s_add_u32 s23, s19, s18
	s_addc_u32 s24, 0, s20
	s_mul_i32 s18, s10, s24
	s_mul_hi_u32 s19, s10, s23
	s_add_i32 s18, s19, s18
	s_mul_i32 s19, s11, s23
	s_add_i32 s25, s18, s19
	s_sub_i32 s20, s13, s25
	s_mul_i32 s18, s10, s23
	s_sub_u32 s12, s12, s18
	s_cselect_b64 s[18:19], -1, 0
	s_cmp_lg_u64 s[18:19], 0
	s_subb_u32 s26, s20, s11
	s_sub_u32 s27, s12, s10
	s_cselect_b64 s[20:21], -1, 0
	s_cmp_lg_u64 s[20:21], 0
	s_subb_u32 s20, s26, 0
	s_cmp_ge_u32 s20, s11
	s_cselect_b32 s21, -1, 0
	s_cmp_ge_u32 s27, s10
	s_cselect_b32 s26, -1, 0
	s_cmp_eq_u32 s20, s11
	s_cselect_b32 s20, s26, s21
	s_add_u32 s21, s23, 1
	s_addc_u32 s26, s24, 0
	s_add_u32 s27, s23, 2
	s_addc_u32 s28, s24, 0
	s_cmp_lg_u32 s20, 0
	s_cselect_b32 s20, s27, s21
	s_cselect_b32 s21, s28, s26
	s_cmp_lg_u64 s[18:19], 0
	s_subb_u32 s13, s13, s25
	s_cmp_ge_u32 s13, s11
	s_cselect_b32 s18, -1, 0
	s_cmp_ge_u32 s12, s10
	s_cselect_b32 s10, -1, 0
	s_cmp_eq_u32 s13, s11
	s_cselect_b32 s10, s10, s18
	s_cmp_lg_u32 s10, 0
	s_cselect_b32 s11, s21, s24
	s_cselect_b32 s10, s20, s23
	s_xor_b64 s[12:13], s[14:15], 0
	s_xor_b64 s[10:11], s[10:11], s[12:13]
	s_sub_u32 s10, s10, s12
	s_load_dwordx4 s[12:15], s[4:5], 0x44
	s_cbranch_execnz .LBB48_3
.LBB48_2:
	v_cvt_f32_u32_e32 v1, s22
	s_sub_i32 s10, 0, s22
	v_rcp_iflag_f32_e32 v1, v1
	v_mul_f32_e32 v1, 0x4f7ffffe, v1
	v_cvt_u32_f32_e32 v1, v1
	v_readfirstlane_b32 s11, v1
	s_mul_i32 s10, s10, s11
	s_mul_hi_u32 s10, s11, s10
	s_add_i32 s11, s11, s10
	s_mul_hi_u32 s10, s9, s11
	s_waitcnt lgkmcnt(0)
	s_mul_i32 s15, s10, s22
	s_sub_i32 s9, s9, s15
	s_add_i32 s11, s10, 1
	s_sub_i32 s15, s9, s22
	s_cmp_ge_u32 s9, s22
	s_cselect_b32 s10, s11, s10
	s_cselect_b32 s9, s15, s9
	s_add_i32 s11, s10, 1
	s_cmp_ge_u32 s9, s22
	s_cselect_b32 s10, s11, s10
.LBB48_3:
	s_add_i32 s9, s6, 1
	s_mul_hi_i32 s21, s3, s9
	s_mov_b32 s20, 0
	s_cmp_lg_u64 s[20:21], 0
	s_mul_i32 s9, s3, s9
	s_cbranch_scc0 .LBB48_21
; %bb.4:
	s_add_u32 s16, s22, 0
	s_addc_u32 s17, 0, 0
	s_xor_b64 s[18:19], s[16:17], 0
	v_cvt_f32_u32_e32 v1, s18
	v_cvt_f32_u32_e32 v2, s19
	s_sub_u32 s11, 0, s18
	s_waitcnt lgkmcnt(0)
	s_subb_u32 s15, 0, s19
	v_madmk_f32 v1, v2, 0x4f800000, v1
	v_rcp_f32_e32 v1, v1
	v_mul_f32_e32 v1, 0x5f7ffffc, v1
	v_mul_f32_e32 v2, 0x2f800000, v1
	v_trunc_f32_e32 v2, v2
	v_madmk_f32 v1, v2, 0xcf800000, v1
	v_cvt_u32_f32_e32 v2, v2
	v_cvt_u32_f32_e32 v1, v1
	v_readfirstlane_b32 s20, v2
	v_readfirstlane_b32 s23, v1
	s_mul_i32 s24, s11, s20
	s_mul_hi_u32 s26, s11, s23
	s_mul_i32 s25, s15, s23
	s_add_i32 s24, s26, s24
	s_add_i32 s24, s24, s25
	s_mul_i32 s27, s11, s23
	s_mul_i32 s26, s23, s24
	s_mul_hi_u32 s28, s23, s27
	s_mul_hi_u32 s25, s23, s24
	s_add_u32 s26, s28, s26
	s_addc_u32 s25, 0, s25
	s_mul_hi_u32 s29, s20, s27
	s_mul_i32 s27, s20, s27
	s_add_u32 s26, s26, s27
	s_mul_hi_u32 s28, s20, s24
	s_addc_u32 s25, s25, s29
	s_addc_u32 s26, s28, 0
	s_mul_i32 s24, s20, s24
	s_add_u32 s24, s25, s24
	s_addc_u32 s26, 0, s26
	s_add_u32 s23, s23, s24
	s_cselect_b64 s[24:25], -1, 0
	s_cmp_lg_u64 s[24:25], 0
	s_addc_u32 s20, s20, s26
	s_mul_i32 s24, s11, s20
	s_mul_hi_u32 s25, s11, s23
	s_add_i32 s24, s25, s24
	s_mul_i32 s15, s15, s23
	s_add_i32 s24, s24, s15
	s_mul_i32 s11, s11, s23
	s_mul_hi_u32 s25, s20, s11
	s_mul_i32 s26, s20, s11
	s_mul_i32 s28, s23, s24
	s_mul_hi_u32 s11, s23, s11
	s_mul_hi_u32 s27, s23, s24
	s_add_u32 s11, s11, s28
	s_addc_u32 s27, 0, s27
	s_add_u32 s11, s11, s26
	s_mul_hi_u32 s15, s20, s24
	s_addc_u32 s11, s27, s25
	s_addc_u32 s15, s15, 0
	s_mul_i32 s24, s20, s24
	s_add_u32 s11, s11, s24
	s_addc_u32 s15, 0, s15
	s_add_u32 s11, s23, s11
	s_cselect_b64 s[24:25], -1, 0
	s_cmp_lg_u64 s[24:25], 0
	s_addc_u32 s15, s20, s15
	s_ashr_i32 s24, s21, 31
	s_add_u32 s20, s9, s24
	s_mov_b32 s25, s24
	s_addc_u32 s21, s21, s24
	s_xor_b64 s[20:21], s[20:21], s[24:25]
	s_mul_i32 s26, s20, s15
	s_mul_hi_u32 s27, s20, s11
	s_mul_hi_u32 s23, s20, s15
	s_add_u32 s26, s27, s26
	s_addc_u32 s23, 0, s23
	s_mul_hi_u32 s28, s21, s11
	s_mul_i32 s11, s21, s11
	s_add_u32 s11, s26, s11
	s_mul_hi_u32 s27, s21, s15
	s_addc_u32 s11, s23, s28
	s_addc_u32 s23, s27, 0
	s_mul_i32 s15, s21, s15
	s_add_u32 s11, s11, s15
	s_addc_u32 s15, 0, s23
	s_mul_i32 s23, s18, s15
	s_mul_hi_u32 s26, s18, s11
	s_add_i32 s23, s26, s23
	s_mul_i32 s26, s19, s11
	s_add_i32 s23, s23, s26
	s_sub_i32 s28, s21, s23
	s_mul_i32 s26, s18, s11
	s_sub_u32 s20, s20, s26
	s_cselect_b64 s[26:27], -1, 0
	s_cmp_lg_u64 s[26:27], 0
	s_subb_u32 s30, s28, s19
	s_sub_u32 s31, s20, s18
	s_cselect_b64 s[28:29], -1, 0
	s_cmp_lg_u64 s[28:29], 0
	s_subb_u32 s28, s30, 0
	s_cmp_ge_u32 s28, s19
	s_cselect_b32 s29, -1, 0
	s_cmp_ge_u32 s31, s18
	s_cselect_b32 s30, -1, 0
	s_cmp_eq_u32 s28, s19
	s_cselect_b32 s28, s30, s29
	s_add_u32 s29, s11, 1
	s_addc_u32 s30, s15, 0
	s_add_u32 s31, s11, 2
	s_addc_u32 s33, s15, 0
	s_cmp_lg_u32 s28, 0
	s_cselect_b32 s28, s31, s29
	s_cselect_b32 s29, s33, s30
	s_cmp_lg_u64 s[26:27], 0
	s_subb_u32 s21, s21, s23
	s_cmp_ge_u32 s21, s19
	s_cselect_b32 s23, -1, 0
	s_cmp_ge_u32 s20, s18
	s_cselect_b32 s18, -1, 0
	s_cmp_eq_u32 s21, s19
	s_cselect_b32 s18, s18, s23
	s_cmp_lg_u32 s18, 0
	s_cselect_b32 s19, s29, s15
	s_cselect_b32 s18, s28, s11
	s_xor_b64 s[20:21], s[24:25], 0
	s_xor_b64 s[18:19], s[18:19], s[20:21]
	s_sub_u32 s18, s18, s20
	s_cbranch_execnz .LBB48_6
.LBB48_5:
	v_cvt_f32_u32_e32 v1, s22
	s_sub_i32 s11, 0, s22
	v_rcp_iflag_f32_e32 v1, v1
	v_mul_f32_e32 v1, 0x4f7ffffe, v1
	v_cvt_u32_f32_e32 v1, v1
	s_waitcnt lgkmcnt(0)
	v_readfirstlane_b32 s15, v1
	s_mul_i32 s11, s11, s15
	s_mul_hi_u32 s11, s15, s11
	s_add_i32 s15, s15, s11
	s_mul_hi_u32 s11, s9, s15
	s_mul_i32 s16, s11, s22
	s_sub_i32 s9, s9, s16
	s_add_i32 s15, s11, 1
	s_sub_i32 s16, s9, s22
	s_cmp_ge_u32 s9, s22
	s_cselect_b32 s11, s15, s11
	s_cselect_b32 s9, s16, s9
	s_add_i32 s15, s11, 1
	s_cmp_ge_u32 s9, s22
	s_cselect_b32 s18, s15, s11
.LBB48_6:
	s_cmp_eq_u32 s10, s18
	s_waitcnt lgkmcnt(0)
	s_mul_hi_u32 s9, s10, s12
	s_cselect_b64 s[16:17], -1, 0
	s_add_i32 s9, s9, s10
	s_lshr_b32 s11, s9, s13
	s_mul_i32 s9, s11, s14
	s_cmp_eq_u32 s9, s10
	s_mul_hi_u32 s9, s18, s12
	s_cselect_b64 s[20:21], -1, 0
	s_add_i32 s9, s9, s18
	s_lshr_b32 s9, s9, s13
	s_cmp_eq_u32 s11, s9
	s_mul_i32 s9, s9, s14
	s_cselect_b64 s[24:25], -1, 0
	s_cmp_lg_u32 s9, s18
	s_cselect_b64 s[18:19], -1, 0
	s_and_b64 s[18:19], s[24:25], s[18:19]
	s_or_b64 s[16:17], s[16:17], s[20:21]
	s_or_b64 s[16:17], s[16:17], s[18:19]
	s_and_b64 vcc, exec, s[16:17]
	s_cbranch_vccnz .LBB48_23
; %bb.7:
	s_load_dwordx8 s[24:31], s[4:5], 0x20
	s_load_dword s15, s[4:5], 0x40
	s_waitcnt lgkmcnt(0)
	s_mul_hi_u32 s9, s10, s24
	s_add_i32 s9, s9, s10
	s_lshr_b32 s9, s9, s25
	s_mul_i32 s16, s9, s26
	s_sub_i32 s16, s10, s16
	s_mul_hi_u32 s17, s16, s27
	s_add_i32 s17, s16, s17
	s_lshr_b32 s23, s17, s28
	s_mul_i32 s17, s23, s29
	s_sub_i32 s16, s16, s17
	;; [unrolled: 5-line block ×3, first 2 shown]
	s_mul_hi_u32 s16, s15, s12
	s_add_i32 s15, s15, s16
	s_lshr_b32 s25, s15, s13
	s_lshl_b32 s15, s25, 1
	s_lshl_b32 s24, s17, 1
	s_add_i32 s15, s15, s7
	s_cmp_lt_i32 s15, s0
	s_cselect_b64 s[16:17], -1, 0
	s_add_i32 s15, s24, s8
	s_cmp_lt_i32 s15, s2
	s_cselect_b64 s[18:19], -1, 0
	s_and_b64 s[16:17], s[16:17], s[18:19]
	s_andn2_b64 vcc, exec, s[16:17]
	s_cbranch_vccnz .LBB48_23
; %bb.8:
	s_load_dwordx4 s[16:19], s[4:5], 0x0
	s_mov_b32 s4, 0
	s_lshl_b32 s15, s7, 1
	s_lshl_b32 s20, s22, 4
	s_mov_b32 s21, s4
	s_add_i32 s15, s15, s8
	s_lshl_b64 s[20:21], s[20:21], 2
	s_waitcnt lgkmcnt(0)
	s_add_u32 s20, s18, s20
	s_mul_i32 s0, s9, s0
	s_addc_u32 s21, s19, s21
	s_add_i32 s0, s0, s7
	s_mul_i32 s0, s0, s1
	s_mul_i32 s23, s23, s2
	s_add_i32 s0, s0, s8
	s_add_i32 s0, s0, s23
	s_mul_i32 s2, s1, s25
	s_add_i32 s0, s0, s24
	s_lshl_b32 s2, s2, 7
	s_lshl_b32 s0, s0, 6
	s_add_i32 s2, s2, s0
	v_or_b32_e32 v1, s2, v0
	v_ashrrev_i32_e32 v2, 31, v1
	v_lshlrev_b64 v[1:2], 2, v[1:2]
	v_mov_b32_e32 v3, s17
	v_add_co_u32_e32 v1, vcc, s16, v1
	v_addc_co_u32_e32 v2, vcc, v3, v2, vcc
	global_load_dword v3, v[1:2], off
	v_cvt_f32_u32_e32 v4, s22
	s_lshl_b32 s0, s6, 2
	s_add_i32 s0, s15, s0
	s_ashr_i32 s1, s0, 31
	s_lshl_b64 s[0:1], s[0:1], 3
	v_rcp_iflag_f32_e32 v4, v4
	s_add_u32 s0, s18, s0
	s_addc_u32 s1, s19, s1
	s_load_dwordx2 s[0:1], s[0:1], 0x0
	v_mul_f32_e32 v4, 0x4f7ffffe, v4
	v_cvt_u32_f32_e32 v4, v4
	s_add_i32 s24, s6, -1
	v_lshl_or_b32 v0, s15, 6, v0
	s_waitcnt lgkmcnt(0)
	v_mov_b32_e32 v6, s1
	v_mov_b32_e32 v7, s0
	s_mov_b32 s2, 0x3fb8aa3b
	s_mov_b32 s16, 0xc2ce8ed0
	s_mov_b32 s17, 0x42b17218
	s_mov_b32 s23, 0xc1a00000
	v_mov_b32_e32 v5, 0x7f800000
	s_mul_hi_i32 s5, s24, s3
	s_cmp_lg_u64 s[4:5], 0
	s_mul_i32 s8, s24, s3
	s_cbranch_scc0 .LBB48_19
.LBB48_9:
	s_add_u32 s0, s22, 0
	s_addc_u32 s1, 0, 0
	s_xor_b64 s[0:1], s[0:1], 0
	v_cvt_f32_u32_e32 v8, s0
	v_cvt_f32_u32_e32 v9, s1
	s_sub_u32 s9, 0, s0
	s_subb_u32 s25, 0, s1
	v_mac_f32_e32 v8, 0x4f800000, v9
	v_rcp_f32_e32 v8, v8
	v_mul_f32_e32 v8, 0x5f7ffffc, v8
	v_mul_f32_e32 v9, 0x2f800000, v8
	v_trunc_f32_e32 v9, v9
	v_mac_f32_e32 v8, 0xcf800000, v9
	v_cvt_u32_f32_e32 v9, v9
	v_cvt_u32_f32_e32 v8, v8
	v_readfirstlane_b32 s26, v9
	v_readfirstlane_b32 s6, v8
	s_mul_i32 s7, s9, s26
	s_mul_hi_u32 s28, s9, s6
	s_mul_i32 s27, s25, s6
	s_add_i32 s7, s28, s7
	s_mul_i32 s29, s9, s6
	s_add_i32 s7, s7, s27
	s_mul_i32 s28, s6, s7
	s_mul_hi_u32 s30, s6, s29
	s_mul_hi_u32 s27, s6, s7
	s_add_u32 s28, s30, s28
	s_addc_u32 s27, 0, s27
	s_mul_hi_u32 s31, s26, s29
	s_mul_i32 s29, s26, s29
	s_add_u32 s28, s28, s29
	s_mul_hi_u32 s30, s26, s7
	s_addc_u32 s27, s27, s31
	s_addc_u32 s28, s30, 0
	s_mul_i32 s7, s26, s7
	s_add_u32 s7, s27, s7
	s_addc_u32 s27, 0, s28
	s_add_u32 s28, s6, s7
	s_cselect_b64 s[6:7], -1, 0
	s_cmp_lg_u64 s[6:7], 0
	s_addc_u32 s26, s26, s27
	s_mul_i32 s6, s9, s26
	s_mul_hi_u32 s7, s9, s28
	s_add_i32 s6, s7, s6
	s_mul_i32 s25, s25, s28
	s_add_i32 s6, s6, s25
	s_mul_i32 s9, s9, s28
	s_mul_hi_u32 s25, s26, s9
	s_mul_i32 s27, s26, s9
	s_mul_i32 s30, s28, s6
	s_mul_hi_u32 s9, s28, s9
	s_mul_hi_u32 s29, s28, s6
	s_add_u32 s9, s9, s30
	s_addc_u32 s29, 0, s29
	s_add_u32 s9, s9, s27
	s_mul_hi_u32 s7, s26, s6
	s_addc_u32 s9, s29, s25
	s_addc_u32 s7, s7, 0
	s_mul_i32 s6, s26, s6
	s_add_u32 s6, s9, s6
	s_addc_u32 s9, 0, s7
	s_add_u32 s25, s28, s6
	s_cselect_b64 s[6:7], -1, 0
	s_cmp_lg_u64 s[6:7], 0
	s_addc_u32 s9, s26, s9
	s_ashr_i32 s6, s5, 31
	s_add_u32 s26, s8, s6
	s_mov_b32 s7, s6
	s_addc_u32 s27, s5, s6
	s_xor_b64 s[26:27], s[26:27], s[6:7]
	s_mul_i32 s28, s26, s9
	s_mul_hi_u32 s29, s26, s25
	s_mul_hi_u32 s5, s26, s9
	s_add_u32 s28, s29, s28
	s_addc_u32 s5, 0, s5
	s_mul_hi_u32 s30, s27, s25
	s_mul_i32 s25, s27, s25
	s_add_u32 s25, s28, s25
	s_mul_hi_u32 s29, s27, s9
	s_addc_u32 s5, s5, s30
	s_addc_u32 s25, s29, 0
	s_mul_i32 s9, s27, s9
	s_add_u32 s5, s5, s9
	s_addc_u32 s9, 0, s25
	s_mul_i32 s25, s0, s9
	s_mul_hi_u32 s28, s0, s5
	s_add_i32 s25, s28, s25
	s_mul_i32 s28, s1, s5
	s_add_i32 s25, s25, s28
	s_sub_i32 s30, s27, s25
	s_mul_i32 s28, s0, s5
	s_sub_u32 s26, s26, s28
	s_cselect_b64 s[28:29], -1, 0
	s_cmp_lg_u64 s[28:29], 0
	s_subb_u32 s33, s30, s1
	s_sub_u32 s34, s26, s0
	s_cselect_b64 s[30:31], -1, 0
	s_cmp_lg_u64 s[30:31], 0
	s_subb_u32 s30, s33, 0
	s_cmp_ge_u32 s30, s1
	s_cselect_b32 s31, -1, 0
	s_cmp_ge_u32 s34, s0
	s_cselect_b32 s33, -1, 0
	s_cmp_eq_u32 s30, s1
	s_cselect_b32 s30, s33, s31
	s_add_u32 s31, s5, 1
	s_addc_u32 s33, s9, 0
	s_add_u32 s34, s5, 2
	s_addc_u32 s35, s9, 0
	s_cmp_lg_u32 s30, 0
	s_cselect_b32 s30, s34, s31
	s_cselect_b32 s31, s35, s33
	s_cmp_lg_u64 s[28:29], 0
	s_subb_u32 s25, s27, s25
	s_cmp_ge_u32 s25, s1
	s_cselect_b32 s27, -1, 0
	s_cmp_ge_u32 s26, s0
	s_cselect_b32 s0, -1, 0
	s_cmp_eq_u32 s25, s1
	s_cselect_b32 s0, s0, s27
	s_cmp_lg_u32 s0, 0
	s_cselect_b32 s1, s31, s9
	s_cselect_b32 s0, s30, s5
	s_xor_b64 s[6:7], s[6:7], 0
	s_xor_b64 s[0:1], s[0:1], s[6:7]
	s_sub_u32 s6, s0, s6
	s_cbranch_execnz .LBB48_11
.LBB48_10:
	s_sub_i32 s0, 0, s22
	v_readfirstlane_b32 s1, v4
	s_mul_i32 s0, s0, s1
	s_mul_hi_u32 s0, s1, s0
	s_add_i32 s1, s1, s0
	s_mul_hi_u32 s0, s8, s1
	s_mul_i32 s5, s0, s22
	s_sub_i32 s5, s8, s5
	s_add_i32 s1, s0, 1
	s_sub_i32 s6, s5, s22
	s_cmp_ge_u32 s5, s22
	s_cselect_b32 s0, s1, s0
	s_cselect_b32 s5, s6, s5
	s_add_i32 s1, s0, 1
	s_cmp_ge_u32 s5, s22
	s_cselect_b32 s6, s1, s0
.LBB48_11:
	s_cmp_lg_u32 s10, s6
	s_mov_b64 s[8:9], -1
                                        ; implicit-def: $sgpr0_sgpr1
                                        ; implicit-def: $vgpr10
                                        ; implicit-def: $vgpr8
                                        ; implicit-def: $vgpr9
                                        ; implicit-def: $sgpr5
                                        ; implicit-def: $sgpr7
	s_cbranch_scc1 .LBB48_14
; %bb.12:
	s_andn2_b64 vcc, exec, s[8:9]
	s_cbranch_vccz .LBB48_17
.LBB48_13:
	s_andn2_b64 vcc, exec, s[0:1]
	s_cbranch_vccnz .LBB48_18
	s_branch .LBB48_22
.LBB48_14:
	s_add_i32 s0, s24, s22
	s_lshl_b32 s0, s0, 2
	s_add_i32 s0, s0, s15
	s_mov_b32 s1, s4
	s_lshl_b64 s[0:1], s[0:1], 3
	s_add_u32 s8, s18, s0
	s_mul_hi_u32 s0, s6, s12
	s_addc_u32 s9, s19, s1
	s_add_i32 s0, s0, s6
	s_lshr_b32 s5, s0, s13
	s_mul_i32 s0, s5, s14
	s_cmp_eq_u32 s0, s6
	s_cselect_b64 s[0:1], -1, 0
	s_cmp_lt_u32 s5, s11
	s_cselect_b64 s[26:27], -1, 0
	s_or_b64 s[26:27], s[26:27], s[0:1]
	s_mov_b64 s[0:1], -1
	s_and_b64 vcc, exec, s[26:27]
	s_mov_b32 s5, s24
	s_mov_b32 s7, s10
	s_cbranch_vccnz .LBB48_16
; %bb.15:
	s_add_i32 s5, s24, -1
	s_mov_b64 s[0:1], 0
	s_mov_b32 s7, s6
.LBB48_16:
	v_lshl_add_u32 v8, s24, 8, v0
	v_ashrrev_i32_e32 v9, 31, v8
	v_lshlrev_b64 v[8:9], 2, v[8:9]
	v_mov_b32_e32 v10, s21
	v_add_co_u32_e32 v8, vcc, s20, v8
	v_addc_co_u32_e32 v9, vcc, v10, v9, vcc
	global_load_dword v10, v[8:9], off
	s_load_dwordx2 s[8:9], s[8:9], 0x0
	v_max_f32_e32 v8, v7, v7
	s_waitcnt lgkmcnt(0)
	v_max_f32_e64 v9, s8, s8
	v_max_f32_e32 v8, v8, v9
	v_sub_f32_e32 v9, v7, v8
	v_sub_f32_e32 v11, s8, v8
	v_mul_f32_e32 v12, 0x3fb8aa3b, v9
	v_mul_f32_e32 v13, 0x3fb8aa3b, v11
	v_fma_f32 v14, v9, s2, -v12
	v_rndne_f32_e32 v15, v12
	v_fma_f32 v16, v11, s2, -v13
	v_rndne_f32_e32 v17, v13
	v_fmac_f32_e32 v14, 0x32a5705f, v9
	v_sub_f32_e32 v12, v12, v15
	v_fmac_f32_e32 v16, 0x32a5705f, v11
	v_sub_f32_e32 v13, v13, v17
	v_add_f32_e32 v12, v12, v14
	v_cvt_i32_f32_e32 v15, v15
	v_add_f32_e32 v13, v13, v16
	v_exp_f32_e32 v12, v12
	v_cvt_i32_f32_e32 v17, v17
	v_exp_f32_e32 v13, v13
	v_cmp_ngt_f32_e32 vcc, s16, v9
	v_ldexp_f32 v12, v12, v15
	v_cndmask_b32_e32 v12, 0, v12, vcc
	v_ldexp_f32 v13, v13, v17
	v_cmp_ngt_f32_e32 vcc, s16, v11
	v_cndmask_b32_e32 v13, 0, v13, vcc
	v_cmp_nlt_f32_e32 vcc, s17, v9
	v_cndmask_b32_e32 v12, v5, v12, vcc
	v_cmp_nlt_f32_e32 vcc, s17, v11
	v_cndmask_b32_e32 v13, v5, v13, vcc
	v_cmp_le_f32_e32 vcc, s23, v9
	v_cndmask_b32_e32 v12, 0, v12, vcc
	v_cmp_le_f32_e32 vcc, s23, v11
	v_cndmask_b32_e32 v11, 0, v13, vcc
	v_mul_f32_e32 v9, s9, v11
	v_fmac_f32_e32 v9, v6, v12
	s_waitcnt vmcnt(0)
	v_mul_f32_e32 v10, v10, v11
	v_fmac_f32_e32 v10, v3, v12
	s_cbranch_execnz .LBB48_13
.LBB48_17:
	s_add_i32 s5, s24, -1
	s_mov_b32 s7, s10
	v_mov_b32_e32 v9, v6
	v_mov_b32_e32 v8, v7
	s_waitcnt vmcnt(0)
	v_mov_b32_e32 v10, v3
	s_cbranch_execz .LBB48_22
.LBB48_18:
	s_mov_b32 s10, s7
	s_mov_b32 s24, s5
	v_mov_b32_e32 v6, v9
	v_mov_b32_e32 v7, v8
	s_waitcnt vmcnt(0)
	v_mov_b32_e32 v3, v10
	s_mul_hi_i32 s5, s24, s3
	s_cmp_lg_u64 s[4:5], 0
	s_mul_i32 s8, s24, s3
	s_cbranch_scc1 .LBB48_9
.LBB48_19:
                                        ; implicit-def: $sgpr6_sgpr7
	s_branch .LBB48_10
.LBB48_20:
                                        ; implicit-def: $sgpr10_sgpr11
	s_load_dwordx4 s[12:15], s[4:5], 0x44
	s_branch .LBB48_2
.LBB48_21:
                                        ; implicit-def: $sgpr18_sgpr19
	s_branch .LBB48_5
.LBB48_22:
	v_div_scale_f32 v0, s[0:1], v9, v9, v10
	s_waitcnt vmcnt(0)
	v_div_scale_f32 v3, vcc, v10, v9, v10
	v_rcp_f32_e32 v4, v0
	v_fma_f32 v5, -v0, v4, 1.0
	v_fmac_f32_e32 v4, v5, v4
	v_mul_f32_e32 v5, v3, v4
	v_fma_f32 v6, -v0, v5, v3
	v_fmac_f32_e32 v5, v6, v4
	v_fma_f32 v0, -v0, v5, v3
	v_div_fmas_f32 v0, v0, v4, v5
	v_div_fixup_f32 v0, v0, v9, v10
	global_store_dword v[1:2], v0, off
.LBB48_23:
	s_endpgm
	.section	.rodata,"a",@progbits
	.p2align	6, 0x0
	.amdhsa_kernel _ZL33flash_attn_stream_k_fixup_generalILi64ELi2ELi2EEvPfPK15HIP_vector_typeIfLj2EEiiiiS1_IjLj3EES5_S5_S5_
		.amdhsa_group_segment_fixed_size 0
		.amdhsa_private_segment_fixed_size 0
		.amdhsa_kernarg_size 336
		.amdhsa_user_sgpr_count 6
		.amdhsa_user_sgpr_private_segment_buffer 1
		.amdhsa_user_sgpr_dispatch_ptr 0
		.amdhsa_user_sgpr_queue_ptr 0
		.amdhsa_user_sgpr_kernarg_segment_ptr 1
		.amdhsa_user_sgpr_dispatch_id 0
		.amdhsa_user_sgpr_flat_scratch_init 0
		.amdhsa_user_sgpr_private_segment_size 0
		.amdhsa_uses_dynamic_stack 0
		.amdhsa_system_sgpr_private_segment_wavefront_offset 0
		.amdhsa_system_sgpr_workgroup_id_x 1
		.amdhsa_system_sgpr_workgroup_id_y 1
		.amdhsa_system_sgpr_workgroup_id_z 1
		.amdhsa_system_sgpr_workgroup_info 0
		.amdhsa_system_vgpr_workitem_id 0
		.amdhsa_next_free_vgpr 18
		.amdhsa_next_free_sgpr 36
		.amdhsa_reserve_vcc 1
		.amdhsa_reserve_flat_scratch 0
		.amdhsa_float_round_mode_32 0
		.amdhsa_float_round_mode_16_64 0
		.amdhsa_float_denorm_mode_32 3
		.amdhsa_float_denorm_mode_16_64 3
		.amdhsa_dx10_clamp 1
		.amdhsa_ieee_mode 1
		.amdhsa_fp16_overflow 0
		.amdhsa_exception_fp_ieee_invalid_op 0
		.amdhsa_exception_fp_denorm_src 0
		.amdhsa_exception_fp_ieee_div_zero 0
		.amdhsa_exception_fp_ieee_overflow 0
		.amdhsa_exception_fp_ieee_underflow 0
		.amdhsa_exception_fp_ieee_inexact 0
		.amdhsa_exception_int_div_zero 0
	.end_amdhsa_kernel
	.section	.text._ZL33flash_attn_stream_k_fixup_generalILi64ELi2ELi2EEvPfPK15HIP_vector_typeIfLj2EEiiiiS1_IjLj3EES5_S5_S5_,"axG",@progbits,_ZL33flash_attn_stream_k_fixup_generalILi64ELi2ELi2EEvPfPK15HIP_vector_typeIfLj2EEiiiiS1_IjLj3EES5_S5_S5_,comdat
.Lfunc_end48:
	.size	_ZL33flash_attn_stream_k_fixup_generalILi64ELi2ELi2EEvPfPK15HIP_vector_typeIfLj2EEiiiiS1_IjLj3EES5_S5_S5_, .Lfunc_end48-_ZL33flash_attn_stream_k_fixup_generalILi64ELi2ELi2EEvPfPK15HIP_vector_typeIfLj2EEiiiiS1_IjLj3EES5_S5_S5_
                                        ; -- End function
	.set _ZL33flash_attn_stream_k_fixup_generalILi64ELi2ELi2EEvPfPK15HIP_vector_typeIfLj2EEiiiiS1_IjLj3EES5_S5_S5_.num_vgpr, 18
	.set _ZL33flash_attn_stream_k_fixup_generalILi64ELi2ELi2EEvPfPK15HIP_vector_typeIfLj2EEiiiiS1_IjLj3EES5_S5_S5_.num_agpr, 0
	.set _ZL33flash_attn_stream_k_fixup_generalILi64ELi2ELi2EEvPfPK15HIP_vector_typeIfLj2EEiiiiS1_IjLj3EES5_S5_S5_.numbered_sgpr, 36
	.set _ZL33flash_attn_stream_k_fixup_generalILi64ELi2ELi2EEvPfPK15HIP_vector_typeIfLj2EEiiiiS1_IjLj3EES5_S5_S5_.num_named_barrier, 0
	.set _ZL33flash_attn_stream_k_fixup_generalILi64ELi2ELi2EEvPfPK15HIP_vector_typeIfLj2EEiiiiS1_IjLj3EES5_S5_S5_.private_seg_size, 0
	.set _ZL33flash_attn_stream_k_fixup_generalILi64ELi2ELi2EEvPfPK15HIP_vector_typeIfLj2EEiiiiS1_IjLj3EES5_S5_S5_.uses_vcc, 1
	.set _ZL33flash_attn_stream_k_fixup_generalILi64ELi2ELi2EEvPfPK15HIP_vector_typeIfLj2EEiiiiS1_IjLj3EES5_S5_S5_.uses_flat_scratch, 0
	.set _ZL33flash_attn_stream_k_fixup_generalILi64ELi2ELi2EEvPfPK15HIP_vector_typeIfLj2EEiiiiS1_IjLj3EES5_S5_S5_.has_dyn_sized_stack, 0
	.set _ZL33flash_attn_stream_k_fixup_generalILi64ELi2ELi2EEvPfPK15HIP_vector_typeIfLj2EEiiiiS1_IjLj3EES5_S5_S5_.has_recursion, 0
	.set _ZL33flash_attn_stream_k_fixup_generalILi64ELi2ELi2EEvPfPK15HIP_vector_typeIfLj2EEiiiiS1_IjLj3EES5_S5_S5_.has_indirect_call, 0
	.section	.AMDGPU.csdata,"",@progbits
; Kernel info:
; codeLenInByte = 2940
; TotalNumSgprs: 40
; NumVgprs: 18
; ScratchSize: 0
; MemoryBound: 0
; FloatMode: 240
; IeeeMode: 1
; LDSByteSize: 0 bytes/workgroup (compile time only)
; SGPRBlocks: 4
; VGPRBlocks: 4
; NumSGPRsForWavesPerEU: 40
; NumVGPRsForWavesPerEU: 18
; Occupancy: 10
; WaveLimiterHint : 0
; COMPUTE_PGM_RSRC2:SCRATCH_EN: 0
; COMPUTE_PGM_RSRC2:USER_SGPR: 6
; COMPUTE_PGM_RSRC2:TRAP_HANDLER: 0
; COMPUTE_PGM_RSRC2:TGID_X_EN: 1
; COMPUTE_PGM_RSRC2:TGID_Y_EN: 1
; COMPUTE_PGM_RSRC2:TGID_Z_EN: 1
; COMPUTE_PGM_RSRC2:TIDIG_COMP_CNT: 0
	.section	.text._ZL15flash_attn_tileILi64ELi64ELi1ELi2ELb0EEvPKcS1_S1_S1_S1_PKiPfP15HIP_vector_typeIfLj2EEffffjfiS5_IjLj3EEiiiiiiiiiiiliiliiiiil,"axG",@progbits,_ZL15flash_attn_tileILi64ELi64ELi1ELi2ELb0EEvPKcS1_S1_S1_S1_PKiPfP15HIP_vector_typeIfLj2EEffffjfiS5_IjLj3EEiiiiiiiiiiiliiliiiiil,comdat
	.globl	_ZL15flash_attn_tileILi64ELi64ELi1ELi2ELb0EEvPKcS1_S1_S1_S1_PKiPfP15HIP_vector_typeIfLj2EEffffjfiS5_IjLj3EEiiiiiiiiiiiliiliiiiil ; -- Begin function _ZL15flash_attn_tileILi64ELi64ELi1ELi2ELb0EEvPKcS1_S1_S1_S1_PKiPfP15HIP_vector_typeIfLj2EEffffjfiS5_IjLj3EEiiiiiiiiiiiliiliiiiil
	.p2align	8
	.type	_ZL15flash_attn_tileILi64ELi64ELi1ELi2ELb0EEvPKcS1_S1_S1_S1_PKiPfP15HIP_vector_typeIfLj2EEffffjfiS5_IjLj3EEiiiiiiiiiiiliiliiiiil,@function
_ZL15flash_attn_tileILi64ELi64ELi1ELi2ELb0EEvPKcS1_S1_S1_S1_PKiPfP15HIP_vector_typeIfLj2EEffffjfiS5_IjLj3EEiiiiiiiiiiiliiliiiiil: ; @_ZL15flash_attn_tileILi64ELi64ELi1ELi2ELb0EEvPKcS1_S1_S1_S1_PKiPfP15HIP_vector_typeIfLj2EEffffjfiS5_IjLj3EEiiiiiiiiiiiliiliiiiil
; %bb.0:
	s_load_dwordx4 s[0:3], s[4:5], 0x5c
	s_load_dwordx2 s[28:29], s[4:5], 0x80
	s_load_dwordx2 s[34:35], s[4:5], 0xb8
	s_mov_b64 s[30:31], 0
	s_waitcnt lgkmcnt(0)
	s_lshr_b32 s9, s3, 31
	s_add_i32 s9, s3, s9
	s_ashr_i32 s9, s9, 1
	v_cvt_f32_u32_e32 v2, s9
	s_sub_i32 s10, 0, s9
	v_rcp_iflag_f32_e32 v2, v2
	v_mul_f32_e32 v2, 0x4f7ffffe, v2
	v_cvt_u32_f32_e32 v2, v2
	v_readfirstlane_b32 s11, v2
	s_mul_i32 s10, s10, s11
	s_mul_hi_u32 s10, s11, s10
	s_add_i32 s11, s11, s10
	s_mul_hi_u32 s10, s8, s11
	s_mul_i32 s11, s10, s9
	s_sub_i32 s11, s8, s11
	s_add_i32 s12, s10, 1
	s_sub_i32 s13, s11, s9
	s_cmp_ge_u32 s11, s9
	s_cselect_b32 s10, s12, s10
	s_cselect_b32 s11, s13, s11
	s_add_i32 s12, s10, 1
	s_cmp_ge_u32 s11, s9
	s_cselect_b32 s33, s12, s10
	s_abs_i32 s9, s29
	v_cvt_f32_u32_e32 v2, s9
	s_lshl_b32 s8, s8, 1
	s_mul_i32 s12, s33, s3
	s_xor_b32 s10, s3, s29
	v_rcp_iflag_f32_e32 v2, v2
	s_sub_i32 s13, 0, s9
	s_sub_i32 s29, s8, s12
	s_abs_i32 s11, s3
	v_mul_f32_e32 v2, 0x4f7ffffe, v2
	v_cvt_u32_f32_e32 v2, v2
	s_ashr_i32 s10, s10, 31
	v_readfirstlane_b32 s8, v2
	s_mul_i32 s13, s13, s8
	s_mul_hi_u32 s12, s8, s13
	s_add_i32 s8, s8, s12
	s_mul_hi_u32 s8, s11, s8
	s_mul_i32 s12, s8, s9
	s_sub_i32 s11, s11, s12
	s_add_i32 s13, s8, 1
	s_sub_i32 s12, s11, s9
	s_cmp_ge_u32 s11, s9
	s_cselect_b32 s8, s13, s8
	s_cselect_b32 s11, s12, s11
	s_add_i32 s12, s8, 1
	s_cmp_ge_u32 s11, s9
	s_cselect_b32 s8, s12, s8
	s_xor_b32 s8, s8, s10
	s_sub_i32 s37, s8, s10
	s_abs_i32 s36, s37
	v_cvt_f32_u32_e32 v2, s36
	s_load_dwordx16 s[8:23], s[4:5], 0x0
	v_rcp_iflag_f32_e32 v2, v2
	s_waitcnt lgkmcnt(0)
	s_cmp_eq_u64 s[14:15], 0
	v_mul_f32_e32 v2, 0x4f7ffffe, v2
	v_cvt_u32_f32_e32 v2, v2
	v_readfirstlane_b32 s38, v2
	s_cbranch_scc1 .LBB49_2
; %bb.1:
	s_abs_i32 s26, s34
	v_cvt_f32_u32_e32 v2, s26
	s_sub_i32 s31, 0, s26
	s_abs_i32 s30, s33
	s_ashr_i32 s27, s33, 31
	v_rcp_iflag_f32_e32 v2, v2
	s_load_dwordx2 s[24:25], s[4:5], 0xc8
	v_mul_f32_e32 v2, 0x4f7ffffe, v2
	v_cvt_u32_f32_e32 v2, v2
	v_readfirstlane_b32 s34, v2
	s_mul_i32 s31, s31, s34
	s_mul_hi_u32 s31, s34, s31
	s_add_i32 s34, s34, s31
	s_mul_hi_u32 s31, s30, s34
	s_mul_i32 s31, s31, s26
	s_sub_i32 s30, s30, s31
	s_sub_i32 s31, s30, s26
	s_cmp_ge_u32 s30, s26
	s_cselect_b32 s30, s31, s30
	s_sub_i32 s31, s30, s26
	s_cmp_ge_u32 s30, s26
	s_cselect_b32 s26, s31, s30
	s_xor_b32 s26, s26, s27
	s_sub_i32 s26, s26, s27
	s_ashr_i32 s27, s26, 31
	s_waitcnt lgkmcnt(0)
	s_mul_hi_u32 s30, s24, s26
	s_mul_i32 s27, s24, s27
	s_mul_i32 s25, s25, s26
	s_add_i32 s27, s30, s27
	s_add_i32 s27, s27, s25
	s_mul_i32 s24, s24, s26
	s_add_u32 s30, s14, s24
	s_addc_u32 s31, s15, s27
.LBB49_2:
	v_lshrrev_b32_e32 v2, 1, v1
	s_load_dwordx4 s[24:27], s[4:5], 0x70
	v_add_u32_e32 v28, s6, v2
	v_mul_hi_u32 v2, s0, v28
	v_and_b32_e32 v27, 1, v1
	s_waitcnt lgkmcnt(0)
	s_mul_i32 s0, s33, s26
	v_add_u32_e32 v2, v28, v2
	s_ashr_i32 s15, s0, 31
	v_lshrrev_b32_e32 v2, s1, v2
	s_mul_i32 s14, s29, s25
	s_add_u32 s0, s8, s0
	v_mul_lo_u32 v2, v2, s2
	s_addc_u32 s8, s9, s15
	s_ashr_i32 s9, s14, 31
	s_add_u32 s14, s0, s14
	s_addc_u32 s15, s8, s9
	s_ashr_i32 s1, s25, 31
	s_mov_b32 s0, s25
	s_ashr_i32 s25, s24, 31
	v_sub_u32_e32 v2, v28, v2
	s_lshr_b64 s[8:9], s[24:25], 2
	v_mad_u64_u32 v[3:4], s[8:9], s8, v2, 0
	s_lshr_b64 s[8:9], s[0:1], 2
	s_lshr_b32 s0, s1, 2
	v_mul_lo_u32 v6, s0, v27
	s_lshr_b32 s0, s25, 2
	v_mad_u64_u32 v[4:5], s[0:1], s0, v2, v[4:5]
	v_mul_lo_u32 v5, s8, v27
	v_mov_b32_e32 v7, s15
	v_lshlrev_b64 v[3:4], 2, v[3:4]
	s_load_dword s0, s[4:5], 0x40
	v_lshlrev_b64 v[5:6], 2, v[5:6]
	s_cmp_eq_u64 s[18:19], 0
	v_add_co_u32_e32 v5, vcc, s14, v5
	v_addc_co_u32_e32 v6, vcc, v7, v6, vcc
	v_add_co_u32_e32 v3, vcc, v5, v3
	v_addc_co_u32_e32 v4, vcc, v6, v4, vcc
	v_lshlrev_b32_e32 v5, 3, v0
	v_add_co_u32_e32 v3, vcc, v3, v5
	v_addc_co_u32_e32 v4, vcc, 0, v4, vcc
	global_load_dwordx2 v[3:4], v[3:4], off
	v_mov_b32_e32 v5, 0x1200
	v_lshl_add_u32 v29, v1, 7, v5
	v_lshl_add_u32 v5, v0, 2, v29
	s_waitcnt vmcnt(0) lgkmcnt(0)
	v_fma_mixlo_f16 v4, s0, v4, 0
	v_fma_mixlo_f16 v3, s0, v3, 0
	v_lshlrev_b32_e32 v4, 16, v4
	v_or_b32_sdwa v3, v4, v3 dst_sel:DWORD dst_unused:UNUSED_PAD src0_sel:DWORD src1_sel:WORD_0
	ds_write_b32 v5, v3
	s_waitcnt lgkmcnt(0)
	; wave barrier
	s_cbranch_scc1 .LBB49_4
; %bb.3:
	s_load_dword s0, s[4:5], 0xd0
	s_mov_b32 s1, 0
	s_waitcnt lgkmcnt(0)
	s_mul_i32 s0, s0, s33
	s_add_i32 s0, s0, s6
	s_lshl_b64 s[0:1], s[0:1], 2
	s_add_u32 s0, s18, s0
	s_addc_u32 s1, s19, s1
	s_load_dword s28, s[0:1], 0x0
.LBB49_4:
	s_lshl_b32 s6, s7, 5
	s_waitcnt lgkmcnt(0)
	s_cmp_lt_i32 s6, s28
	v_mbcnt_lo_u32_b32 v3, -1, 0
	s_cbranch_scc1 .LBB49_7
; %bb.5:
	v_mbcnt_hi_u32_b32 v30, -1, v3
	v_and_b32_e32 v4, 0x60, v30
	v_add_u32_e32 v31, 32, v4
	v_xor_b32_e32 v36, 16, v30
	v_xor_b32_e32 v32, 8, v30
	;; [unrolled: 1-line block ×5, first 2 shown]
	s_cbranch_execz .LBB49_8
; %bb.6:
	v_mov_b32_e32 v40, 0
	v_mov_b32_e32 v26, 0xfeffffff
	;; [unrolled: 1-line block ×3, first 2 shown]
	s_branch .LBB49_10
.LBB49_7:
                                        ; implicit-def: $vgpr30
                                        ; implicit-def: $vgpr31
                                        ; implicit-def: $vgpr36
                                        ; implicit-def: $vgpr32
                                        ; implicit-def: $vgpr35
                                        ; implicit-def: $vgpr33
                                        ; implicit-def: $vgpr34
.LBB49_8:
	s_sub_i32 s0, 0, s36
	s_mul_i32 s0, s0, s38
	s_mul_hi_u32 s0, s38, s0
	s_add_i32 s38, s38, s0
	s_load_dwordx2 s[0:1], s[4:5], 0x8c
	s_load_dwordx4 s[24:27], s[4:5], 0x98
	s_abs_i32 s18, s29
	s_mul_hi_u32 s19, s18, s38
	s_ashr_i32 s34, s29, 31
	s_waitcnt lgkmcnt(0)
	s_ashr_i32 s9, s0, 2
	s_ashr_i32 s8, s26, 2
	s_ashr_i32 s26, s33, 31
	s_ashr_i32 s0, s35, 1
	s_mul_hi_u32 s35, s24, s33
	s_mul_i32 s38, s24, s26
	s_add_i32 s35, s35, s38
	s_mul_i32 s25, s25, s33
	s_ashr_i32 s37, s37, 31
	s_add_i32 s35, s35, s25
	s_mul_i32 s24, s24, s33
	s_add_u32 s10, s10, s24
	s_mul_i32 s25, s19, s36
	s_addc_u32 s11, s11, s35
	s_sub_i32 s18, s18, s25
	s_xor_b32 s24, s34, s37
	s_add_i32 s25, s19, 1
	s_sub_i32 s34, s18, s36
	s_cmp_ge_u32 s18, s36
	s_cselect_b32 s19, s25, s19
	s_cselect_b32 s18, s34, s18
	s_add_i32 s25, s19, 1
	s_cmp_ge_u32 s18, s36
	s_cselect_b32 s18, s25, s19
	s_load_dwordx2 s[14:15], s[4:5], 0xa8
	s_xor_b32 s18, s18, s24
	s_sub_i32 s18, s18, s24
	s_mul_i32 s1, s18, s1
	s_ashr_i32 s19, s1, 31
	s_add_u32 s10, s10, s1
	s_addc_u32 s11, s11, s19
	s_waitcnt lgkmcnt(0)
	s_mul_hi_u32 s1, s14, s33
	s_mul_i32 s19, s14, s26
	s_add_i32 s1, s1, s19
	s_mul_i32 s15, s15, s33
	s_add_i32 s1, s1, s15
	s_mul_i32 s14, s14, s33
	v_lshrrev_b32_e32 v4, 3, v0
	s_add_u32 s12, s12, s14
	s_mul_i32 s18, s18, s27
	v_lshl_add_u32 v8, v1, 2, v4
	s_addc_u32 s1, s13, s1
	s_ashr_i32 s13, s18, 31
	v_lshlrev_b32_e32 v37, 2, v0
	v_mul_lo_u32 v4, s9, v8
	s_add_u32 s12, s12, s18
	v_and_b32_e32 v12, 28, v37
	s_addc_u32 s13, s1, s13
	v_lshlrev_b32_e32 v11, 2, v12
	s_movk_i32 s1, 0x90
	v_mad_u32_u24 v38, v8, s1, v11
	s_lshl_b32 s1, s9, 3
	v_add_u32_e32 v6, s1, v4
	v_mul_lo_u32 v18, s8, v8
	v_add_u32_e32 v14, s1, v6
	v_add_u32_e32 v16, s1, v14
	v_mad_u64_u32 v[9:10], s[0:1], v2, s0, v[0:1]
	v_mov_b32_e32 v2, 0x1300
	s_lshl_b32 s0, s8, 3
	v_lshl_add_u32 v41, v1, 6, v2
	v_add_u32_e32 v1, s0, v18
	v_add_u32_e32 v22, s0, v1
	;; [unrolled: 1-line block ×3, first 2 shown]
	v_ashrrev_i32_e32 v5, 31, v4
	v_ashrrev_i32_e32 v7, 31, v6
	;; [unrolled: 1-line block ×8, first 2 shown]
	v_mbcnt_hi_u32_b32 v30, -1, v3
	v_lshl_or_b32 v42, v8, 7, v11
	s_add_u32 s0, s4, 0xd0
	v_lshlrev_b64 v[10:11], 2, v[4:5]
	v_lshlrev_b32_e32 v45, 2, v12
	v_lshlrev_b64 v[12:13], 2, v[6:7]
	v_lshlrev_b64 v[14:15], 2, v[14:15]
	;; [unrolled: 1-line block ×3, first 2 shown]
	v_and_b32_e32 v3, 0x60, v30
	v_lshlrev_b64 v[18:19], 2, v[18:19]
	v_lshlrev_b64 v[20:21], 2, v[1:2]
	;; [unrolled: 1-line block ×4, first 2 shown]
	v_mov_b32_e32 v43, 0
	v_mul_u32_u24_e32 v39, 0x90, v0
	v_add_u32_e32 v44, 0xc00, v42
	s_addc_u32 s1, s5, 0
	v_mov_b32_e32 v26, 0xfeffffff
	v_mov_b32_e32 v46, s31
	v_add_u32_e32 v31, 32, v3
	v_xor_b32_e32 v36, 16, v30
	v_xor_b32_e32 v32, 8, v30
	s_mov_b32 s14, 0x3fb8aa3b
	s_mov_b32 s15, 0xc2ce8ed0
	;; [unrolled: 1-line block ×4, first 2 shown]
	v_xor_b32_e32 v35, 4, v30
	v_xor_b32_e32 v33, 2, v30
	;; [unrolled: 1-line block ×3, first 2 shown]
	v_mov_b32_e32 v47, 0x7f800000
	v_add_u32_e32 v48, 0x400, v37
	v_add_u32_e32 v49, 0x800, v37
	;; [unrolled: 1-line block ×3, first 2 shown]
	v_mov_b32_e32 v40, 0
.LBB49_9:                               ; =>This Inner Loop Header: Depth=1
	s_mul_hi_i32 s25, s6, s9
	s_mul_i32 s24, s6, s9
	s_lshl_b64 s[24:25], s[24:25], 2
	s_add_u32 s24, s10, s24
	s_addc_u32 s25, s11, s25
	v_add_co_u32_e32 v2, vcc, s24, v10
	v_mov_b32_e32 v3, s25
	v_addc_co_u32_e32 v3, vcc, v3, v11, vcc
	v_add_co_u32_e32 v2, vcc, v2, v45
	v_addc_co_u32_e32 v3, vcc, 0, v3, vcc
	global_load_dwordx4 v[2:5], v[2:3], off
	v_add_u32_e32 v6, 0x480, v38
	v_mov_b32_e32 v1, v26
	v_max_f32_e32 v26, v1, v1
	s_waitcnt vmcnt(0)
	ds_write_b128 v38, v[2:5]
	v_add_co_u32_e32 v2, vcc, s24, v12
	v_mov_b32_e32 v3, s25
	v_addc_co_u32_e32 v3, vcc, v3, v13, vcc
	v_add_co_u32_e32 v2, vcc, v2, v45
	v_addc_co_u32_e32 v3, vcc, 0, v3, vcc
	global_load_dwordx4 v[2:5], v[2:3], off
	s_waitcnt vmcnt(0)
	ds_write_b128 v6, v[2:5]
	v_add_co_u32_e32 v2, vcc, s24, v14
	v_mov_b32_e32 v3, s25
	v_addc_co_u32_e32 v3, vcc, v3, v15, vcc
	v_add_co_u32_e32 v2, vcc, v2, v45
	v_addc_co_u32_e32 v3, vcc, 0, v3, vcc
	global_load_dwordx4 v[2:5], v[2:3], off
	v_add_u32_e32 v6, 0x900, v38
	s_waitcnt vmcnt(0)
	ds_write_b128 v6, v[2:5]
	v_add_co_u32_e32 v2, vcc, s24, v16
	v_mov_b32_e32 v3, s25
	v_addc_co_u32_e32 v3, vcc, v3, v17, vcc
	v_add_co_u32_e32 v2, vcc, v2, v45
	v_addc_co_u32_e32 v3, vcc, 0, v3, vcc
	global_load_dwordx4 v[2:5], v[2:3], off
	v_add_u32_e32 v6, 0xd80, v38
	s_mul_hi_i32 s25, s6, s8
	s_mul_i32 s24, s6, s8
	s_lshl_b64 s[24:25], s[24:25], 2
	s_add_u32 s24, s12, s24
	s_addc_u32 s25, s13, s25
	s_waitcnt vmcnt(0)
	ds_write_b128 v6, v[2:5]
	s_waitcnt lgkmcnt(0)
	; wave barrier
	ds_read_b128 v[3:6], v39
	ds_read_b128 v[51:54], v29
	v_mov_b32_e32 v2, 0
	s_waitcnt lgkmcnt(0)
	;;#ASMSTART
	v_dot2_f32_f16 v2, v3, v51, v2
	;;#ASMEND
	;;#ASMSTART
	v_dot2_f32_f16 v2, v4, v52, v2
	;;#ASMEND
	;;#ASMSTART
	v_dot2_f32_f16 v2, v5, v53, v2
	;;#ASMEND
	;;#ASMSTART
	v_dot2_f32_f16 v2, v6, v54, v2
	;;#ASMEND
	ds_read_b128 v[3:6], v39 offset:16
	ds_read_b128 v[51:54], v29 offset:16
	s_waitcnt lgkmcnt(0)
	;;#ASMSTART
	v_dot2_f32_f16 v2, v3, v51, v2
	;;#ASMEND
	;;#ASMSTART
	v_dot2_f32_f16 v2, v4, v52, v2
	;;#ASMEND
	;;#ASMSTART
	v_dot2_f32_f16 v2, v5, v53, v2
	;;#ASMEND
	;;#ASMSTART
	v_dot2_f32_f16 v2, v6, v54, v2
	;;#ASMEND
	ds_read_b128 v[3:6], v39 offset:32
	ds_read_b128 v[51:54], v29 offset:32
	;; [unrolled: 15-line block ×7, first 2 shown]
	s_waitcnt lgkmcnt(0)
	;;#ASMSTART
	v_dot2_f32_f16 v2, v3, v51, v2
	;;#ASMEND
	v_add_u32_e32 v3, s6, v9
	;;#ASMSTART
	v_dot2_f32_f16 v2, v4, v52, v2
	;;#ASMEND
	v_ashrrev_i32_e32 v4, 31, v3
	v_lshlrev_b64 v[3:4], 1, v[3:4]
	;;#ASMSTART
	v_dot2_f32_f16 v2, v5, v53, v2
	;;#ASMEND
	v_add_co_u32_e32 v3, vcc, s30, v3
	v_addc_co_u32_e32 v4, vcc, v46, v4, vcc
	;;#ASMSTART
	v_dot2_f32_f16 v2, v6, v54, v2
	;;#ASMEND
	global_load_ushort v3, v[3:4], off
	v_cmp_lt_i32_e32 vcc, v36, v31
	v_cndmask_b32_e32 v4, v30, v36, vcc
	v_lshlrev_b32_e32 v4, 2, v4
	v_cmp_lt_i32_e32 vcc, v32, v31
	v_cndmask_b32_e32 v5, v30, v32, vcc
	v_lshlrev_b32_e32 v5, 2, v5
	;; [unrolled: 3-line block ×5, first 2 shown]
	s_waitcnt vmcnt(0)
	; wave barrier
	v_cvt_f32_f16_e32 v3, v3
	v_add_f32_e32 v2, v2, v3
	v_add_f32_e32 v3, 0x40051340, v2
	v_max_f32_e32 v3, v26, v3
	ds_bpermute_b32 v4, v4, v3
	s_waitcnt lgkmcnt(0)
	v_max_f32_e32 v4, v4, v4
	v_max_f32_e32 v3, v3, v4
	ds_bpermute_b32 v4, v5, v3
	s_waitcnt lgkmcnt(0)
	v_max_f32_e32 v4, v4, v4
	;; [unrolled: 4-line block ×5, first 2 shown]
	v_max_f32_e32 v26, v3, v4
	v_sub_f32_e32 v2, v2, v26
	v_mul_f32_e32 v3, 0x3fb8aa3b, v2
	v_fma_f32 v4, v2, s14, -v3
	v_rndne_f32_e32 v5, v3
	v_fmac_f32_e32 v4, 0x32a5705f, v2
	v_sub_f32_e32 v3, v3, v5
	v_add_f32_e32 v3, v3, v4
	v_exp_f32_e32 v3, v3
	v_cvt_i32_f32_e32 v4, v5
	v_sub_f32_e32 v1, v1, v26
	v_cmp_ngt_f32_e32 vcc, s15, v2
	v_ldexp_f32 v3, v3, v4
	v_mul_f32_e32 v4, 0x3fb8aa3b, v1
	v_fma_f32 v5, v1, s14, -v4
	v_rndne_f32_e32 v6, v4
	v_fmac_f32_e32 v5, 0x32a5705f, v1
	v_sub_f32_e32 v4, v4, v6
	v_add_f32_e32 v4, v4, v5
	v_exp_f32_e32 v4, v4
	v_cvt_i32_f32_e32 v5, v6
	v_cndmask_b32_e32 v3, 0, v3, vcc
	v_cmp_nlt_f32_e32 vcc, s18, v2
	v_cndmask_b32_e32 v2, v47, v3, vcc
	v_ldexp_f32 v4, v4, v5
	v_cmp_ngt_f32_e32 vcc, s15, v1
	v_cndmask_b32_e32 v4, 0, v4, vcc
	v_cmp_nlt_f32_e32 vcc, s18, v1
	v_cndmask_b32_e32 v1, v47, v4, vcc
	v_mov_b32_e32 v4, v40
	v_mov_b32_e32 v40, v2
	v_fmac_f32_e32 v40, v4, v1
	v_cvt_f16_f32_e32 v1, v1
	v_cvt_f16_f32_e32 v3, v2
	v_mov_b32_e32 v2, s25
	v_mov_b32_e32 v4, s25
	v_mul_u32_u24_e32 v51, 0x10001, v1
	v_lshl_add_u32 v1, v0, 1, v41
	ds_write_b16 v1, v3
	v_add_co_u32_e32 v1, vcc, s24, v18
	v_addc_co_u32_e32 v2, vcc, v2, v19, vcc
	v_add_co_u32_e32 v1, vcc, v1, v45
	v_addc_co_u32_e32 v2, vcc, 0, v2, vcc
	;; [unrolled: 2-line block ×4, first 2 shown]
	v_add_co_u32_e32 v3, vcc, s24, v22
	v_mov_b32_e32 v4, s25
	v_addc_co_u32_e32 v4, vcc, v4, v23, vcc
	v_add_co_u32_e32 v7, vcc, v3, v45
	v_addc_co_u32_e32 v8, vcc, 0, v4, vcc
	v_add_co_u32_e32 v3, vcc, s24, v24
	v_mov_b32_e32 v4, s25
	v_addc_co_u32_e32 v4, vcc, v4, v25, vcc
	v_add_co_u32_e32 v5, vcc, v3, v45
	v_addc_co_u32_e32 v6, vcc, 0, v4, vcc
	global_load_dwordx4 v[1:4], v[1:2], off
	s_waitcnt vmcnt(0)
	ds_write_b128 v42, v[1:4]
	global_load_dwordx4 v[1:4], v[52:53], off
	v_add_u32_e32 v52, 0x400, v42
	s_waitcnt vmcnt(0)
	ds_write_b128 v52, v[1:4]
	global_load_dwordx4 v[1:4], v[7:8], off
	v_add_u32_e32 v7, 0x800, v42
	s_waitcnt vmcnt(0)
	ds_write_b128 v7, v[1:4]
	global_load_dwordx4 v[1:4], v[5:6], off
	s_waitcnt vmcnt(0)
	ds_write_b128 v44, v[1:4]
	s_waitcnt lgkmcnt(0)
	; wave barrier
	ds_read2_b32 v[60:61], v37 offset1:32
	ds_read_b128 v[52:55], v41
	ds_read_b128 v[56:59], v41 offset:16
	ds_read_b128 v[5:8], v41 offset:32
	;; [unrolled: 1-line block ×3, first 2 shown]
	s_waitcnt lgkmcnt(3)
	v_mul_u32_u24_sdwa v62, v52, s19 dst_sel:DWORD dst_unused:UNUSED_PAD src0_sel:WORD_0 src1_sel:DWORD
	v_pk_mul_f16 v60, v60, v62
	v_pk_fma_f16 v43, v43, v51, v60
	v_mul_u32_u24_sdwa v51, v52, s19 dst_sel:DWORD dst_unused:UNUSED_PAD src0_sel:WORD_1 src1_sel:DWORD
	v_pk_fma_f16 v43, v61, v51, v43
	ds_read2_b32 v[51:52], v37 offset0:64 offset1:96
	v_mul_u32_u24_sdwa v60, v53, s19 dst_sel:DWORD dst_unused:UNUSED_PAD src0_sel:WORD_0 src1_sel:DWORD
	s_waitcnt lgkmcnt(0)
	v_pk_fma_f16 v43, v51, v60, v43
	v_mul_u32_u24_sdwa v51, v53, s19 dst_sel:DWORD dst_unused:UNUSED_PAD src0_sel:WORD_1 src1_sel:DWORD
	v_pk_fma_f16 v43, v52, v51, v43
	ds_read2_b32 v[51:52], v37 offset0:128 offset1:160
	v_mul_u32_u24_sdwa v53, v54, s19 dst_sel:DWORD dst_unused:UNUSED_PAD src0_sel:WORD_0 src1_sel:DWORD
	s_waitcnt lgkmcnt(0)
	;; [unrolled: 6-line block ×3, first 2 shown]
	v_pk_fma_f16 v43, v51, v53, v43
	v_mul_u32_u24_sdwa v51, v55, s19 dst_sel:DWORD dst_unused:UNUSED_PAD src0_sel:WORD_1 src1_sel:DWORD
	v_pk_fma_f16 v43, v52, v51, v43
	ds_read2_b32 v[51:52], v48 offset1:32
	v_mul_u32_u24_sdwa v53, v56, s19 dst_sel:DWORD dst_unused:UNUSED_PAD src0_sel:WORD_0 src1_sel:DWORD
	s_waitcnt lgkmcnt(0)
	v_pk_fma_f16 v43, v51, v53, v43
	v_mul_u32_u24_sdwa v51, v56, s19 dst_sel:DWORD dst_unused:UNUSED_PAD src0_sel:WORD_1 src1_sel:DWORD
	v_pk_fma_f16 v43, v52, v51, v43
	ds_read2_b32 v[51:52], v48 offset0:64 offset1:96
	v_mul_u32_u24_sdwa v53, v57, s19 dst_sel:DWORD dst_unused:UNUSED_PAD src0_sel:WORD_0 src1_sel:DWORD
	s_waitcnt lgkmcnt(0)
	v_pk_fma_f16 v43, v51, v53, v43
	v_mul_u32_u24_sdwa v51, v57, s19 dst_sel:DWORD dst_unused:UNUSED_PAD src0_sel:WORD_1 src1_sel:DWORD
	v_pk_fma_f16 v43, v52, v51, v43
	ds_read2_b32 v[51:52], v48 offset0:128 offset1:160
	;; [unrolled: 6-line block ×3, first 2 shown]
	v_mul_u32_u24_sdwa v53, v59, s19 dst_sel:DWORD dst_unused:UNUSED_PAD src0_sel:WORD_0 src1_sel:DWORD
	s_waitcnt lgkmcnt(0)
	v_pk_fma_f16 v43, v51, v53, v43
	v_mul_u32_u24_sdwa v51, v59, s19 dst_sel:DWORD dst_unused:UNUSED_PAD src0_sel:WORD_1 src1_sel:DWORD
	v_pk_fma_f16 v43, v52, v51, v43
	ds_read2_b32 v[51:52], v49 offset1:32
	v_mul_u32_u24_sdwa v53, v5, s19 dst_sel:DWORD dst_unused:UNUSED_PAD src0_sel:WORD_0 src1_sel:DWORD
	v_mul_u32_u24_sdwa v5, v5, s19 dst_sel:DWORD dst_unused:UNUSED_PAD src0_sel:WORD_1 src1_sel:DWORD
	s_waitcnt lgkmcnt(0)
	v_pk_fma_f16 v43, v51, v53, v43
	v_pk_fma_f16 v5, v52, v5, v43
	ds_read2_b32 v[51:52], v49 offset0:64 offset1:96
	v_mul_u32_u24_sdwa v43, v6, s19 dst_sel:DWORD dst_unused:UNUSED_PAD src0_sel:WORD_0 src1_sel:DWORD
	v_mul_u32_u24_sdwa v6, v6, s19 dst_sel:DWORD dst_unused:UNUSED_PAD src0_sel:WORD_1 src1_sel:DWORD
	s_waitcnt lgkmcnt(0)
	v_pk_fma_f16 v5, v51, v43, v5
	v_pk_fma_f16 v43, v52, v6, v5
	ds_read2_b32 v[5:6], v49 offset0:128 offset1:160
	;; [unrolled: 6-line block ×3, first 2 shown]
	v_mul_u32_u24_sdwa v43, v8, s19 dst_sel:DWORD dst_unused:UNUSED_PAD src0_sel:WORD_0 src1_sel:DWORD
	s_waitcnt lgkmcnt(0)
	v_pk_fma_f16 v5, v5, v43, v7
	v_mul_u32_u24_sdwa v7, v8, s19 dst_sel:DWORD dst_unused:UNUSED_PAD src0_sel:WORD_1 src1_sel:DWORD
	v_pk_fma_f16 v7, v6, v7, v5
	ds_read2_b32 v[5:6], v50 offset1:32
	v_mul_u32_u24_sdwa v8, v1, s19 dst_sel:DWORD dst_unused:UNUSED_PAD src0_sel:WORD_0 src1_sel:DWORD
	v_mul_u32_u24_sdwa v1, v1, s19 dst_sel:DWORD dst_unused:UNUSED_PAD src0_sel:WORD_1 src1_sel:DWORD
	s_waitcnt lgkmcnt(0)
	v_pk_fma_f16 v5, v5, v8, v7
	v_pk_fma_f16 v1, v6, v1, v5
	ds_read2_b32 v[5:6], v50 offset0:64 offset1:96
	v_mul_u32_u24_sdwa v7, v2, s19 dst_sel:DWORD dst_unused:UNUSED_PAD src0_sel:WORD_0 src1_sel:DWORD
	v_mul_u32_u24_sdwa v2, v2, s19 dst_sel:DWORD dst_unused:UNUSED_PAD src0_sel:WORD_1 src1_sel:DWORD
	s_waitcnt lgkmcnt(0)
	v_pk_fma_f16 v1, v5, v7, v1
	v_pk_fma_f16 v5, v6, v2, v1
	ds_read2_b32 v[1:2], v50 offset0:128 offset1:160
	v_mul_u32_u24_sdwa v6, v3, s19 dst_sel:DWORD dst_unused:UNUSED_PAD src0_sel:WORD_0 src1_sel:DWORD
	v_mul_u32_u24_sdwa v3, v3, s19 dst_sel:DWORD dst_unused:UNUSED_PAD src0_sel:WORD_1 src1_sel:DWORD
	s_waitcnt lgkmcnt(0)
	v_pk_fma_f16 v1, v1, v6, v5
	v_pk_fma_f16 v3, v2, v3, v1
	ds_read2_b32 v[1:2], v50 offset0:192 offset1:224
	s_waitcnt lgkmcnt(0)
	; wave barrier
	s_load_dword s24, s[0:1], 0x4
	v_mul_u32_u24_sdwa v5, v4, s19 dst_sel:DWORD dst_unused:UNUSED_PAD src0_sel:WORD_0 src1_sel:DWORD
	v_pk_fma_f16 v1, v1, v5, v3
	v_mul_u32_u24_sdwa v3, v4, s19 dst_sel:DWORD dst_unused:UNUSED_PAD src0_sel:WORD_1 src1_sel:DWORD
	v_pk_fma_f16 v43, v2, v3, v1
	s_waitcnt lgkmcnt(0)
	s_lshl_b32 s24, s24, 5
	s_add_i32 s6, s24, s6
	s_cmp_ge_i32 s6, s28
	s_cbranch_scc0 .LBB49_9
.LBB49_10:
	v_cmp_lt_i32_e32 vcc, v36, v31
	v_cndmask_b32_e32 v1, v30, v36, vcc
	v_lshlrev_b32_e32 v1, 2, v1
	ds_bpermute_b32 v1, v1, v40
	v_cmp_lt_i32_e32 vcc, v32, v31
	v_cndmask_b32_e32 v2, v30, v32, vcc
	v_lshlrev_b32_e32 v2, 2, v2
	v_cmp_lt_i32_e32 vcc, v35, v31
	s_waitcnt lgkmcnt(0)
	v_add_f32_e32 v1, v40, v1
	ds_bpermute_b32 v2, v2, v1
	v_cndmask_b32_e32 v4, v30, v35, vcc
	v_lshlrev_b32_e32 v4, 2, v4
	v_cmp_lt_i32_e32 vcc, v33, v31
	s_cmp_lg_u64 s[16:17], 0
	s_waitcnt lgkmcnt(0)
	v_add_f32_e32 v1, v1, v2
	ds_bpermute_b32 v2, v4, v1
	v_cndmask_b32_e32 v4, v30, v33, vcc
	v_lshlrev_b32_e32 v4, 2, v4
	v_cmp_lt_i32_e32 vcc, v34, v31
	v_cndmask_b32_e32 v5, v30, v34, vcc
	s_waitcnt lgkmcnt(0)
	v_add_f32_e32 v2, v1, v2
	ds_bpermute_b32 v4, v4, v2
	v_lshlrev_b32_e32 v5, 2, v5
	s_cselect_b64 s[0:1], -1, 0
	s_cmp_eq_u32 s7, 0
	s_cselect_b64 s[8:9], -1, 0
	s_waitcnt lgkmcnt(0)
	v_add_f32_e32 v2, v2, v4
	ds_bpermute_b32 v4, v5, v2
	s_and_b64 s[0:1], s[8:9], s[0:1]
	v_lshlrev_b32_e32 v3, 1, v0
	v_add_u32_e32 v1, s29, v27
	s_and_b64 vcc, exec, s[0:1]
	s_waitcnt lgkmcnt(0)
	v_add_f32_e32 v27, v2, v4
	s_cbranch_vccz .LBB49_12
; %bb.11:
	v_ashrrev_i32_e32 v2, 31, v1
	v_lshlrev_b64 v[4:5], 2, v[1:2]
	v_mov_b32_e32 v2, s17
	v_add_co_u32_e32 v4, vcc, s16, v4
	v_addc_co_u32_e32 v5, vcc, v2, v5, vcc
	global_load_dword v2, v[4:5], off
	v_max_f32_e32 v4, v26, v26
	s_mov_b32 s0, 0x3fb8aa3b
	s_mov_b32 s1, 0xc2ce8ed0
	s_waitcnt vmcnt(0)
	v_max_f32_e32 v5, v2, v2
	v_max_f32_e32 v4, v4, v5
	v_sub_f32_e32 v5, v26, v4
	v_sub_f32_e32 v2, v2, v4
	v_mul_f32_e32 v6, 0x3fb8aa3b, v5
	v_mul_f32_e32 v7, 0x3fb8aa3b, v2
	v_fma_f32 v8, v5, s0, -v6
	v_rndne_f32_e32 v9, v6
	v_fma_f32 v10, v2, s0, -v7
	v_rndne_f32_e32 v11, v7
	v_fmac_f32_e32 v8, 0x32a5705f, v5
	v_sub_f32_e32 v6, v6, v9
	v_fmac_f32_e32 v10, 0x32a5705f, v2
	v_sub_f32_e32 v7, v7, v11
	v_add_f32_e32 v6, v6, v8
	v_cvt_i32_f32_e32 v9, v9
	v_add_f32_e32 v7, v7, v10
	v_exp_f32_e32 v6, v6
	v_cvt_i32_f32_e32 v11, v11
	v_exp_f32_e32 v7, v7
	v_cmp_ngt_f32_e32 vcc, s1, v5
	v_ldexp_f32 v6, v6, v9
	s_mov_b32 s0, 0x42b17218
	v_ldexp_f32 v7, v7, v11
	v_cndmask_b32_e32 v6, 0, v6, vcc
	v_cmp_ngt_f32_e32 vcc, s1, v2
	v_mov_b32_e32 v8, 0x7f800000
	v_cndmask_b32_e32 v7, 0, v7, vcc
	v_cmp_nlt_f32_e32 vcc, s0, v5
	v_cndmask_b32_e32 v5, v8, v6, vcc
	v_cvt_f16_f32_e32 v6, v5
	v_cmp_nlt_f32_e32 vcc, s0, v2
	v_cndmask_b32_e32 v2, v8, v7, vcc
	v_fmac_f32_e32 v2, v27, v5
	v_mov_b32_e32 v27, v2
	v_mul_u32_u24_e32 v2, 0x10001, v6
	v_pk_mul_f16 v43, v43, v2
	v_mov_b32_e32 v26, v4
.LBB49_12:
	v_div_scale_f32 v2, s[0:1], v27, v27, 1.0
	v_div_scale_f32 v4, vcc, 1.0, v27, 1.0
	s_mul_i32 s33, s33, s2
	s_load_dword s4, s[4:5], 0xd4
	v_add_u32_e32 v6, s33, v28
	s_waitcnt lgkmcnt(0)
	s_cmp_lg_u32 s4, 1
	v_rcp_f32_e32 v5, v2
	v_fma_f32 v7, -v2, v5, 1.0
	v_fmac_f32_e32 v5, v7, v5
	v_mul_f32_e32 v7, v4, v5
	v_fma_f32 v8, -v2, v7, v4
	v_fmac_f32_e32 v7, v8, v5
	v_fma_f32 v2, -v2, v7, v4
	v_div_fmas_f32 v4, v2, v5, v7
	v_mad_u64_u32 v[1:2], s[0:1], v6, s3, v[1:2]
	v_cmp_eq_u32_e32 vcc, 0, v0
	v_mov_b32_e32 v2, 0
	v_mul_lo_u32 v1, s4, v1
	v_cvt_f32_f16_e32 v5, v43
	v_cvt_f32_f16_sdwa v6, v43 dst_sel:DWORD dst_unused:UNUSED_PAD src0_sel:WORD_1
	v_mov_b32_e32 v7, s21
	v_add_u32_e32 v0, s7, v1
	v_lshl_add_u32 v1, v0, 6, v3
	v_lshlrev_b64 v[1:2], 2, v[1:2]
	v_add_co_u32_e64 v1, s[0:1], s20, v1
	v_addc_co_u32_e64 v2, s[0:1], v7, v2, s[0:1]
	v_div_fixup_f32 v3, v4, v27, 1.0
	s_cselect_b64 s[0:1], -1, 0
	v_cndmask_b32_e64 v4, v3, 1.0, s[0:1]
	v_mul_f32_e32 v3, v4, v5
	v_mul_f32_e32 v4, v4, v6
	s_and_b64 s[0:1], vcc, s[0:1]
	global_store_dwordx2 v[1:2], v[3:4], off
	s_and_saveexec_b64 s[2:3], s[0:1]
	s_cbranch_execz .LBB49_14
; %bb.13:
	v_ashrrev_i32_e32 v1, 31, v0
	v_lshlrev_b64 v[0:1], 3, v[0:1]
	v_mov_b32_e32 v2, s23
	v_add_co_u32_e32 v0, vcc, s22, v0
	v_addc_co_u32_e32 v1, vcc, v2, v1, vcc
	global_store_dwordx2 v[0:1], v[26:27], off
.LBB49_14:
	s_endpgm
	.section	.rodata,"a",@progbits
	.p2align	6, 0x0
	.amdhsa_kernel _ZL15flash_attn_tileILi64ELi64ELi1ELi2ELb0EEvPKcS1_S1_S1_S1_PKiPfP15HIP_vector_typeIfLj2EEffffjfiS5_IjLj3EEiiiiiiiiiiiliiliiiiil
		.amdhsa_group_segment_fixed_size 4992
		.amdhsa_private_segment_fixed_size 0
		.amdhsa_kernarg_size 464
		.amdhsa_user_sgpr_count 6
		.amdhsa_user_sgpr_private_segment_buffer 1
		.amdhsa_user_sgpr_dispatch_ptr 0
		.amdhsa_user_sgpr_queue_ptr 0
		.amdhsa_user_sgpr_kernarg_segment_ptr 1
		.amdhsa_user_sgpr_dispatch_id 0
		.amdhsa_user_sgpr_flat_scratch_init 0
		.amdhsa_user_sgpr_private_segment_size 0
		.amdhsa_uses_dynamic_stack 0
		.amdhsa_system_sgpr_private_segment_wavefront_offset 0
		.amdhsa_system_sgpr_workgroup_id_x 1
		.amdhsa_system_sgpr_workgroup_id_y 1
		.amdhsa_system_sgpr_workgroup_id_z 1
		.amdhsa_system_sgpr_workgroup_info 0
		.amdhsa_system_vgpr_workitem_id 1
		.amdhsa_next_free_vgpr 63
		.amdhsa_next_free_sgpr 98
		.amdhsa_reserve_vcc 1
		.amdhsa_reserve_flat_scratch 0
		.amdhsa_float_round_mode_32 0
		.amdhsa_float_round_mode_16_64 0
		.amdhsa_float_denorm_mode_32 3
		.amdhsa_float_denorm_mode_16_64 3
		.amdhsa_dx10_clamp 1
		.amdhsa_ieee_mode 1
		.amdhsa_fp16_overflow 0
		.amdhsa_exception_fp_ieee_invalid_op 0
		.amdhsa_exception_fp_denorm_src 0
		.amdhsa_exception_fp_ieee_div_zero 0
		.amdhsa_exception_fp_ieee_overflow 0
		.amdhsa_exception_fp_ieee_underflow 0
		.amdhsa_exception_fp_ieee_inexact 0
		.amdhsa_exception_int_div_zero 0
	.end_amdhsa_kernel
	.section	.text._ZL15flash_attn_tileILi64ELi64ELi1ELi2ELb0EEvPKcS1_S1_S1_S1_PKiPfP15HIP_vector_typeIfLj2EEffffjfiS5_IjLj3EEiiiiiiiiiiiliiliiiiil,"axG",@progbits,_ZL15flash_attn_tileILi64ELi64ELi1ELi2ELb0EEvPKcS1_S1_S1_S1_PKiPfP15HIP_vector_typeIfLj2EEffffjfiS5_IjLj3EEiiiiiiiiiiiliiliiiiil,comdat
.Lfunc_end49:
	.size	_ZL15flash_attn_tileILi64ELi64ELi1ELi2ELb0EEvPKcS1_S1_S1_S1_PKiPfP15HIP_vector_typeIfLj2EEffffjfiS5_IjLj3EEiiiiiiiiiiiliiliiiiil, .Lfunc_end49-_ZL15flash_attn_tileILi64ELi64ELi1ELi2ELb0EEvPKcS1_S1_S1_S1_PKiPfP15HIP_vector_typeIfLj2EEffffjfiS5_IjLj3EEiiiiiiiiiiiliiliiiiil
                                        ; -- End function
	.set _ZL15flash_attn_tileILi64ELi64ELi1ELi2ELb0EEvPKcS1_S1_S1_S1_PKiPfP15HIP_vector_typeIfLj2EEffffjfiS5_IjLj3EEiiiiiiiiiiiliiliiiiil.num_vgpr, 63
	.set _ZL15flash_attn_tileILi64ELi64ELi1ELi2ELb0EEvPKcS1_S1_S1_S1_PKiPfP15HIP_vector_typeIfLj2EEffffjfiS5_IjLj3EEiiiiiiiiiiiliiliiiiil.num_agpr, 0
	.set _ZL15flash_attn_tileILi64ELi64ELi1ELi2ELb0EEvPKcS1_S1_S1_S1_PKiPfP15HIP_vector_typeIfLj2EEffffjfiS5_IjLj3EEiiiiiiiiiiiliiliiiiil.numbered_sgpr, 39
	.set _ZL15flash_attn_tileILi64ELi64ELi1ELi2ELb0EEvPKcS1_S1_S1_S1_PKiPfP15HIP_vector_typeIfLj2EEffffjfiS5_IjLj3EEiiiiiiiiiiiliiliiiiil.num_named_barrier, 0
	.set _ZL15flash_attn_tileILi64ELi64ELi1ELi2ELb0EEvPKcS1_S1_S1_S1_PKiPfP15HIP_vector_typeIfLj2EEffffjfiS5_IjLj3EEiiiiiiiiiiiliiliiiiil.private_seg_size, 0
	.set _ZL15flash_attn_tileILi64ELi64ELi1ELi2ELb0EEvPKcS1_S1_S1_S1_PKiPfP15HIP_vector_typeIfLj2EEffffjfiS5_IjLj3EEiiiiiiiiiiiliiliiiiil.uses_vcc, 1
	.set _ZL15flash_attn_tileILi64ELi64ELi1ELi2ELb0EEvPKcS1_S1_S1_S1_PKiPfP15HIP_vector_typeIfLj2EEffffjfiS5_IjLj3EEiiiiiiiiiiiliiliiiiil.uses_flat_scratch, 0
	.set _ZL15flash_attn_tileILi64ELi64ELi1ELi2ELb0EEvPKcS1_S1_S1_S1_PKiPfP15HIP_vector_typeIfLj2EEffffjfiS5_IjLj3EEiiiiiiiiiiiliiliiiiil.has_dyn_sized_stack, 0
	.set _ZL15flash_attn_tileILi64ELi64ELi1ELi2ELb0EEvPKcS1_S1_S1_S1_PKiPfP15HIP_vector_typeIfLj2EEffffjfiS5_IjLj3EEiiiiiiiiiiiliiliiiiil.has_recursion, 0
	.set _ZL15flash_attn_tileILi64ELi64ELi1ELi2ELb0EEvPKcS1_S1_S1_S1_PKiPfP15HIP_vector_typeIfLj2EEffffjfiS5_IjLj3EEiiiiiiiiiiiliiliiiiil.has_indirect_call, 0
	.section	.AMDGPU.csdata,"",@progbits
; Kernel info:
; codeLenInByte = 4144
; TotalNumSgprs: 43
; NumVgprs: 63
; ScratchSize: 0
; MemoryBound: 0
; FloatMode: 240
; IeeeMode: 1
; LDSByteSize: 4992 bytes/workgroup (compile time only)
; SGPRBlocks: 12
; VGPRBlocks: 15
; NumSGPRsForWavesPerEU: 102
; NumVGPRsForWavesPerEU: 63
; Occupancy: 4
; WaveLimiterHint : 1
; COMPUTE_PGM_RSRC2:SCRATCH_EN: 0
; COMPUTE_PGM_RSRC2:USER_SGPR: 6
; COMPUTE_PGM_RSRC2:TRAP_HANDLER: 0
; COMPUTE_PGM_RSRC2:TGID_X_EN: 1
; COMPUTE_PGM_RSRC2:TGID_Y_EN: 1
; COMPUTE_PGM_RSRC2:TGID_Z_EN: 1
; COMPUTE_PGM_RSRC2:TIDIG_COMP_CNT: 1
	.section	.text._ZL33flash_attn_stream_k_fixup_uniformILi64ELi1ELi2EEvPfPK15HIP_vector_typeIfLj2EEiiiiiiS1_IjLj3EES5_S5_,"axG",@progbits,_ZL33flash_attn_stream_k_fixup_uniformILi64ELi1ELi2EEvPfPK15HIP_vector_typeIfLj2EEiiiiiiS1_IjLj3EES5_S5_,comdat
	.globl	_ZL33flash_attn_stream_k_fixup_uniformILi64ELi1ELi2EEvPfPK15HIP_vector_typeIfLj2EEiiiiiiS1_IjLj3EES5_S5_ ; -- Begin function _ZL33flash_attn_stream_k_fixup_uniformILi64ELi1ELi2EEvPfPK15HIP_vector_typeIfLj2EEiiiiiiS1_IjLj3EES5_S5_
	.p2align	8
	.type	_ZL33flash_attn_stream_k_fixup_uniformILi64ELi1ELi2EEvPfPK15HIP_vector_typeIfLj2EEiiiiiiS1_IjLj3EES5_S5_,@function
_ZL33flash_attn_stream_k_fixup_uniformILi64ELi1ELi2EEvPfPK15HIP_vector_typeIfLj2EEiiiiiiS1_IjLj3EES5_S5_: ; @_ZL33flash_attn_stream_k_fixup_uniformILi64ELi1ELi2EEvPfPK15HIP_vector_typeIfLj2EEiiiiiiS1_IjLj3EES5_S5_
; %bb.0:
	s_load_dwordx8 s[12:19], s[4:5], 0x1c
	s_load_dwordx2 s[10:11], s[4:5], 0x10
	s_load_dwordx4 s[0:3], s[4:5], 0x3c
	s_waitcnt lgkmcnt(0)
	s_mul_hi_u32 s9, s15, s6
	s_add_i32 s9, s6, s9
	s_lshr_b32 s9, s9, s16
	s_mul_i32 s15, s9, s17
	s_sub_i32 s16, s6, s15
	s_mul_hi_u32 s15, s16, s18
	s_add_i32 s15, s16, s15
	s_lshr_b32 s15, s15, s19
	s_mul_i32 s0, s15, s0
	s_sub_i32 s0, s16, s0
	;; [unrolled: 5-line block ×3, first 2 shown]
	s_lshl_b32 s17, s1, 1
	s_add_i32 s16, s16, s7
	s_cmp_lt_i32 s16, s10
	s_cselect_b64 s[0:1], -1, 0
	s_add_i32 s17, s17, s8
	s_cmp_lt_i32 s17, s13
	s_cselect_b64 s[2:3], -1, 0
	s_and_b64 s[0:1], s[0:1], s[2:3]
	s_andn2_b64 vcc, exec, s[0:1]
	s_cbranch_vccnz .LBB50_6
; %bb.1:
	s_mul_i32 s9, s9, s10
	s_load_dwordx4 s[0:3], s[4:5], 0x0
	s_mul_i32 s15, s15, s13
	s_add_i32 s4, s16, s9
	s_mul_i32 s4, s4, s11
	s_add_i32 s5, s17, s15
	s_add_i32 s5, s5, s4
	v_lshl_or_b32 v1, s5, 6, v0
	v_ashrrev_i32_e32 v2, 31, v1
	v_lshlrev_b64 v[1:2], 2, v[1:2]
	s_waitcnt lgkmcnt(0)
	v_mov_b32_e32 v3, s1
	v_add_co_u32_e32 v1, vcc, s0, v1
	v_addc_co_u32_e32 v2, vcc, v3, v2, vcc
	global_load_dword v8, v[1:2], off
	s_mul_i32 s9, s14, s6
	s_add_i32 s4, s9, s14
	s_add_i32 s0, s7, s4
	s_lshl_b32 s0, s0, 1
	s_add_i32 s0, s0, s8
	s_add_i32 s0, s0, -2
	s_ashr_i32 s1, s0, 31
	s_lshl_b64 s[0:1], s[0:1], 3
	s_add_u32 s0, s2, s0
	s_addc_u32 s1, s3, s1
	s_load_dword s5, s[0:1], 0x4
	s_add_i32 s10, s4, -2
	s_cmp_lt_i32 s10, s9
	s_cbranch_scc1 .LBB50_4
; %bb.2:
	s_lshl_b32 s10, s12, 3
	s_ashr_i32 s11, s10, 31
	s_lshl_b64 s[10:11], s[10:11], 2
	s_add_u32 s10, s2, s10
	s_addc_u32 s13, s3, s11
	s_load_dword s0, s[0:1], 0x0
	s_add_i32 s6, s6, 1
	s_lshl_b32 s1, s8, 6
	s_add_i32 s12, s7, s12
	s_mul_i32 s6, s14, s6
	s_lshl_b32 s7, s7, 7
	s_add_i32 s12, s12, s4
	s_lshl_b32 s6, s6, 7
	s_add_i32 s1, s1, s7
	s_add_i32 s11, s4, -1
	s_lshl_b32 s4, s12, 1
	s_add_i32 s1, s1, s6
	s_add_i32 s4, s8, s4
	v_or_b32_e32 v0, s1, v0
	s_add_i32 s4, s4, -4
	v_add_u32_e32 v3, 0xffffff00, v0
	s_waitcnt lgkmcnt(0)
	v_mov_b32_e32 v7, s5
	v_mov_b32_e32 v6, s0
	;; [unrolled: 1-line block ×3, first 2 shown]
	s_mov_b32 s6, 0x3fb8aa3b
	s_mov_b32 s7, 0xc2ce8ed0
	;; [unrolled: 1-line block ×3, first 2 shown]
	v_mov_b32_e32 v5, 0x7f800000
	s_mov_b32 s12, 0xc1a00000
.LBB50_3:                               ; =>This Inner Loop Header: Depth=1
	v_ashrrev_i32_e32 v4, 31, v3
	v_lshlrev_b64 v[9:10], 2, v[3:4]
	s_ashr_i32 s5, s4, 31
	v_add_co_u32_e32 v9, vcc, s10, v9
	v_addc_co_u32_e32 v10, vcc, v0, v10, vcc
	global_load_dword v4, v[9:10], off
	s_lshl_b64 s[0:1], s[4:5], 3
	s_add_u32 s0, s2, s0
	s_addc_u32 s1, s3, s1
	s_load_dwordx2 s[14:15], s[0:1], 0x0
	s_waitcnt vmcnt(1)
	v_mov_b32_e32 v9, v8
	v_max_f32_e32 v8, v6, v6
	v_mov_b32_e32 v10, v7
	s_add_i32 s11, s11, -1
	s_waitcnt lgkmcnt(0)
	v_max_f32_e64 v7, s14, s14
	v_max_f32_e32 v7, v8, v7
	v_sub_f32_e32 v11, s14, v7
	v_sub_f32_e32 v8, v6, v7
	v_mul_f32_e32 v12, 0x3fb8aa3b, v11
	v_mov_b32_e32 v6, v7
	v_mul_f32_e32 v7, 0x3fb8aa3b, v8
	v_fma_f32 v15, v11, s6, -v12
	v_rndne_f32_e32 v16, v12
	v_fma_f32 v13, v8, s6, -v7
	v_rndne_f32_e32 v14, v7
	v_fmac_f32_e32 v15, 0x32a5705f, v11
	v_sub_f32_e32 v12, v12, v16
	v_fmac_f32_e32 v13, 0x32a5705f, v8
	v_sub_f32_e32 v7, v7, v14
	v_add_f32_e32 v12, v12, v15
	v_cvt_i32_f32_e32 v16, v16
	v_add_f32_e32 v7, v7, v13
	v_exp_f32_e32 v12, v12
	v_cvt_i32_f32_e32 v14, v14
	v_exp_f32_e32 v7, v7
	v_cmp_ngt_f32_e32 vcc, s7, v11
	v_ldexp_f32 v12, v12, v16
	v_cmp_ngt_f32_e64 s[0:1], s7, v8
	v_ldexp_f32 v7, v7, v14
	v_cndmask_b32_e32 v12, 0, v12, vcc
	v_cmp_nlt_f32_e32 vcc, s8, v11
	v_cndmask_b32_e64 v7, 0, v7, s[0:1]
	v_cmp_nlt_f32_e64 s[0:1], s8, v8
	v_cndmask_b32_e32 v12, v5, v12, vcc
	v_cmp_le_f32_e32 vcc, s12, v11
	v_cndmask_b32_e64 v7, v5, v7, s[0:1]
	v_cmp_le_f32_e64 s[0:1], s12, v8
	v_cndmask_b32_e32 v8, 0, v12, vcc
	s_add_i32 s4, s4, -2
	v_cndmask_b32_e64 v11, 0, v7, s[0:1]
	v_mul_f32_e32 v7, s15, v8
	v_add_u32_e32 v3, 0xffffff80, v3
	s_cmp_le_i32 s11, s9
	v_fmac_f32_e32 v7, v10, v11
	s_waitcnt vmcnt(0)
	v_mul_f32_e32 v8, v4, v8
	v_fmac_f32_e32 v8, v9, v11
	s_cbranch_scc0 .LBB50_3
	s_branch .LBB50_5
.LBB50_4:
	s_waitcnt lgkmcnt(0)
	v_mov_b32_e32 v7, s5
.LBB50_5:
	s_waitcnt vmcnt(0)
	v_div_scale_f32 v0, s[0:1], v7, v7, v8
	v_div_scale_f32 v3, vcc, v8, v7, v8
	v_rcp_f32_e32 v4, v0
	v_fma_f32 v5, -v0, v4, 1.0
	v_fmac_f32_e32 v4, v5, v4
	v_mul_f32_e32 v5, v3, v4
	v_fma_f32 v6, -v0, v5, v3
	v_fmac_f32_e32 v5, v6, v4
	v_fma_f32 v0, -v0, v5, v3
	v_div_fmas_f32 v0, v0, v4, v5
	v_div_fixup_f32 v0, v0, v7, v8
	global_store_dword v[1:2], v0, off
.LBB50_6:
	s_endpgm
	.section	.rodata,"a",@progbits
	.p2align	6, 0x0
	.amdhsa_kernel _ZL33flash_attn_stream_k_fixup_uniformILi64ELi1ELi2EEvPfPK15HIP_vector_typeIfLj2EEiiiiiiS1_IjLj3EES5_S5_
		.amdhsa_group_segment_fixed_size 0
		.amdhsa_private_segment_fixed_size 0
		.amdhsa_kernarg_size 76
		.amdhsa_user_sgpr_count 6
		.amdhsa_user_sgpr_private_segment_buffer 1
		.amdhsa_user_sgpr_dispatch_ptr 0
		.amdhsa_user_sgpr_queue_ptr 0
		.amdhsa_user_sgpr_kernarg_segment_ptr 1
		.amdhsa_user_sgpr_dispatch_id 0
		.amdhsa_user_sgpr_flat_scratch_init 0
		.amdhsa_user_sgpr_private_segment_size 0
		.amdhsa_uses_dynamic_stack 0
		.amdhsa_system_sgpr_private_segment_wavefront_offset 0
		.amdhsa_system_sgpr_workgroup_id_x 1
		.amdhsa_system_sgpr_workgroup_id_y 1
		.amdhsa_system_sgpr_workgroup_id_z 1
		.amdhsa_system_sgpr_workgroup_info 0
		.amdhsa_system_vgpr_workitem_id 0
		.amdhsa_next_free_vgpr 17
		.amdhsa_next_free_sgpr 20
		.amdhsa_reserve_vcc 1
		.amdhsa_reserve_flat_scratch 0
		.amdhsa_float_round_mode_32 0
		.amdhsa_float_round_mode_16_64 0
		.amdhsa_float_denorm_mode_32 3
		.amdhsa_float_denorm_mode_16_64 3
		.amdhsa_dx10_clamp 1
		.amdhsa_ieee_mode 1
		.amdhsa_fp16_overflow 0
		.amdhsa_exception_fp_ieee_invalid_op 0
		.amdhsa_exception_fp_denorm_src 0
		.amdhsa_exception_fp_ieee_div_zero 0
		.amdhsa_exception_fp_ieee_overflow 0
		.amdhsa_exception_fp_ieee_underflow 0
		.amdhsa_exception_fp_ieee_inexact 0
		.amdhsa_exception_int_div_zero 0
	.end_amdhsa_kernel
	.section	.text._ZL33flash_attn_stream_k_fixup_uniformILi64ELi1ELi2EEvPfPK15HIP_vector_typeIfLj2EEiiiiiiS1_IjLj3EES5_S5_,"axG",@progbits,_ZL33flash_attn_stream_k_fixup_uniformILi64ELi1ELi2EEvPfPK15HIP_vector_typeIfLj2EEiiiiiiS1_IjLj3EES5_S5_,comdat
.Lfunc_end50:
	.size	_ZL33flash_attn_stream_k_fixup_uniformILi64ELi1ELi2EEvPfPK15HIP_vector_typeIfLj2EEiiiiiiS1_IjLj3EES5_S5_, .Lfunc_end50-_ZL33flash_attn_stream_k_fixup_uniformILi64ELi1ELi2EEvPfPK15HIP_vector_typeIfLj2EEiiiiiiS1_IjLj3EES5_S5_
                                        ; -- End function
	.set _ZL33flash_attn_stream_k_fixup_uniformILi64ELi1ELi2EEvPfPK15HIP_vector_typeIfLj2EEiiiiiiS1_IjLj3EES5_S5_.num_vgpr, 17
	.set _ZL33flash_attn_stream_k_fixup_uniformILi64ELi1ELi2EEvPfPK15HIP_vector_typeIfLj2EEiiiiiiS1_IjLj3EES5_S5_.num_agpr, 0
	.set _ZL33flash_attn_stream_k_fixup_uniformILi64ELi1ELi2EEvPfPK15HIP_vector_typeIfLj2EEiiiiiiS1_IjLj3EES5_S5_.numbered_sgpr, 20
	.set _ZL33flash_attn_stream_k_fixup_uniformILi64ELi1ELi2EEvPfPK15HIP_vector_typeIfLj2EEiiiiiiS1_IjLj3EES5_S5_.num_named_barrier, 0
	.set _ZL33flash_attn_stream_k_fixup_uniformILi64ELi1ELi2EEvPfPK15HIP_vector_typeIfLj2EEiiiiiiS1_IjLj3EES5_S5_.private_seg_size, 0
	.set _ZL33flash_attn_stream_k_fixup_uniformILi64ELi1ELi2EEvPfPK15HIP_vector_typeIfLj2EEiiiiiiS1_IjLj3EES5_S5_.uses_vcc, 1
	.set _ZL33flash_attn_stream_k_fixup_uniformILi64ELi1ELi2EEvPfPK15HIP_vector_typeIfLj2EEiiiiiiS1_IjLj3EES5_S5_.uses_flat_scratch, 0
	.set _ZL33flash_attn_stream_k_fixup_uniformILi64ELi1ELi2EEvPfPK15HIP_vector_typeIfLj2EEiiiiiiS1_IjLj3EES5_S5_.has_dyn_sized_stack, 0
	.set _ZL33flash_attn_stream_k_fixup_uniformILi64ELi1ELi2EEvPfPK15HIP_vector_typeIfLj2EEiiiiiiS1_IjLj3EES5_S5_.has_recursion, 0
	.set _ZL33flash_attn_stream_k_fixup_uniformILi64ELi1ELi2EEvPfPK15HIP_vector_typeIfLj2EEiiiiiiS1_IjLj3EES5_S5_.has_indirect_call, 0
	.section	.AMDGPU.csdata,"",@progbits
; Kernel info:
; codeLenInByte = 828
; TotalNumSgprs: 24
; NumVgprs: 17
; ScratchSize: 0
; MemoryBound: 0
; FloatMode: 240
; IeeeMode: 1
; LDSByteSize: 0 bytes/workgroup (compile time only)
; SGPRBlocks: 2
; VGPRBlocks: 4
; NumSGPRsForWavesPerEU: 24
; NumVGPRsForWavesPerEU: 17
; Occupancy: 10
; WaveLimiterHint : 0
; COMPUTE_PGM_RSRC2:SCRATCH_EN: 0
; COMPUTE_PGM_RSRC2:USER_SGPR: 6
; COMPUTE_PGM_RSRC2:TRAP_HANDLER: 0
; COMPUTE_PGM_RSRC2:TGID_X_EN: 1
; COMPUTE_PGM_RSRC2:TGID_Y_EN: 1
; COMPUTE_PGM_RSRC2:TGID_Z_EN: 1
; COMPUTE_PGM_RSRC2:TIDIG_COMP_CNT: 0
	.section	.text._ZL33flash_attn_stream_k_fixup_generalILi64ELi1ELi2EEvPfPK15HIP_vector_typeIfLj2EEiiiiS1_IjLj3EES5_S5_S5_,"axG",@progbits,_ZL33flash_attn_stream_k_fixup_generalILi64ELi1ELi2EEvPfPK15HIP_vector_typeIfLj2EEiiiiS1_IjLj3EES5_S5_S5_,comdat
	.globl	_ZL33flash_attn_stream_k_fixup_generalILi64ELi1ELi2EEvPfPK15HIP_vector_typeIfLj2EEiiiiS1_IjLj3EES5_S5_S5_ ; -- Begin function _ZL33flash_attn_stream_k_fixup_generalILi64ELi1ELi2EEvPfPK15HIP_vector_typeIfLj2EEiiiiS1_IjLj3EES5_S5_S5_
	.p2align	8
	.type	_ZL33flash_attn_stream_k_fixup_generalILi64ELi1ELi2EEvPfPK15HIP_vector_typeIfLj2EEiiiiS1_IjLj3EES5_S5_S5_,@function
_ZL33flash_attn_stream_k_fixup_generalILi64ELi1ELi2EEvPfPK15HIP_vector_typeIfLj2EEiiiiS1_IjLj3EES5_S5_S5_: ; @_ZL33flash_attn_stream_k_fixup_generalILi64ELi1ELi2EEvPfPK15HIP_vector_typeIfLj2EEiiiiS1_IjLj3EES5_S5_S5_
; %bb.0:
	s_load_dwordx4 s[0:3], s[4:5], 0x10
	s_load_dword s9, s[4:5], 0x50
	s_mov_b32 s12, 0
	s_waitcnt lgkmcnt(0)
	s_mul_hi_i32 s13, s3, s6
	s_cmp_lg_u64 s[12:13], 0
	s_mul_i32 s18, s3, s6
	s_cbranch_scc0 .LBB51_20
; %bb.1:
	s_add_u32 s10, s9, 0
	s_addc_u32 s11, 0, 0
	s_xor_b64 s[10:11], s[10:11], 0
	v_cvt_f32_u32_e32 v1, s10
	v_cvt_f32_u32_e32 v2, s11
	s_sub_u32 s12, 0, s10
	s_subb_u32 s19, 0, s11
	v_madmk_f32 v1, v2, 0x4f800000, v1
	v_rcp_f32_e32 v1, v1
	v_mul_f32_e32 v1, 0x5f7ffffc, v1
	v_mul_f32_e32 v2, 0x2f800000, v1
	v_trunc_f32_e32 v2, v2
	v_madmk_f32 v1, v2, 0xcf800000, v1
	v_cvt_u32_f32_e32 v2, v2
	v_cvt_u32_f32_e32 v1, v1
	v_readfirstlane_b32 s20, v2
	v_readfirstlane_b32 s14, v1
	s_mul_i32 s15, s12, s20
	s_mul_hi_u32 s22, s12, s14
	s_mul_i32 s21, s19, s14
	s_add_i32 s15, s22, s15
	s_add_i32 s15, s15, s21
	s_mul_i32 s23, s12, s14
	s_mul_i32 s22, s14, s15
	s_mul_hi_u32 s24, s14, s23
	s_mul_hi_u32 s21, s14, s15
	s_add_u32 s22, s24, s22
	s_addc_u32 s21, 0, s21
	s_mul_hi_u32 s25, s20, s23
	s_mul_i32 s23, s20, s23
	s_add_u32 s22, s22, s23
	s_mul_hi_u32 s24, s20, s15
	s_addc_u32 s21, s21, s25
	s_addc_u32 s22, s24, 0
	s_mul_i32 s15, s20, s15
	s_add_u32 s15, s21, s15
	s_addc_u32 s21, 0, s22
	s_add_u32 s22, s14, s15
	s_cselect_b64 s[14:15], -1, 0
	s_cmp_lg_u64 s[14:15], 0
	s_addc_u32 s20, s20, s21
	s_mul_i32 s14, s12, s20
	s_mul_hi_u32 s15, s12, s22
	s_add_i32 s14, s15, s14
	s_mul_i32 s19, s19, s22
	s_add_i32 s14, s14, s19
	s_mul_i32 s12, s12, s22
	s_mul_hi_u32 s19, s20, s12
	s_mul_i32 s21, s20, s12
	s_mul_i32 s24, s22, s14
	s_mul_hi_u32 s12, s22, s12
	s_mul_hi_u32 s23, s22, s14
	s_add_u32 s12, s12, s24
	s_addc_u32 s23, 0, s23
	s_add_u32 s12, s12, s21
	s_mul_hi_u32 s15, s20, s14
	s_addc_u32 s12, s23, s19
	s_addc_u32 s15, s15, 0
	s_mul_i32 s14, s20, s14
	s_add_u32 s12, s12, s14
	s_addc_u32 s19, 0, s15
	s_add_u32 s21, s22, s12
	s_cselect_b64 s[14:15], -1, 0
	s_cmp_lg_u64 s[14:15], 0
	s_addc_u32 s19, s20, s19
	s_ashr_i32 s14, s13, 31
	s_add_u32 s12, s18, s14
	s_mov_b32 s15, s14
	s_addc_u32 s13, s13, s14
	s_xor_b64 s[12:13], s[12:13], s[14:15]
	s_mul_i32 s22, s12, s19
	s_mul_hi_u32 s23, s12, s21
	s_mul_hi_u32 s20, s12, s19
	s_add_u32 s22, s23, s22
	s_addc_u32 s20, 0, s20
	s_mul_hi_u32 s24, s13, s21
	s_mul_i32 s21, s13, s21
	s_add_u32 s21, s22, s21
	s_mul_hi_u32 s23, s13, s19
	s_addc_u32 s20, s20, s24
	s_addc_u32 s21, s23, 0
	s_mul_i32 s19, s13, s19
	s_add_u32 s19, s20, s19
	s_addc_u32 s24, 0, s21
	s_mul_i32 s20, s10, s24
	s_mul_hi_u32 s21, s10, s19
	s_add_i32 s20, s21, s20
	s_mul_i32 s21, s11, s19
	s_add_i32 s25, s20, s21
	s_sub_i32 s22, s13, s25
	s_mul_i32 s20, s10, s19
	s_sub_u32 s12, s12, s20
	s_cselect_b64 s[20:21], -1, 0
	s_cmp_lg_u64 s[20:21], 0
	s_subb_u32 s26, s22, s11
	s_sub_u32 s27, s12, s10
	s_cselect_b64 s[22:23], -1, 0
	s_cmp_lg_u64 s[22:23], 0
	s_subb_u32 s22, s26, 0
	s_cmp_ge_u32 s22, s11
	s_cselect_b32 s23, -1, 0
	s_cmp_ge_u32 s27, s10
	s_cselect_b32 s26, -1, 0
	s_cmp_eq_u32 s22, s11
	s_cselect_b32 s22, s26, s23
	s_add_u32 s23, s19, 1
	s_addc_u32 s26, s24, 0
	s_add_u32 s27, s19, 2
	s_addc_u32 s28, s24, 0
	s_cmp_lg_u32 s22, 0
	s_cselect_b32 s22, s27, s23
	s_cselect_b32 s23, s28, s26
	s_cmp_lg_u64 s[20:21], 0
	s_subb_u32 s13, s13, s25
	s_cmp_ge_u32 s13, s11
	s_cselect_b32 s20, -1, 0
	s_cmp_ge_u32 s12, s10
	s_cselect_b32 s10, -1, 0
	s_cmp_eq_u32 s13, s11
	s_cselect_b32 s10, s10, s20
	s_cmp_lg_u32 s10, 0
	s_cselect_b32 s11, s23, s24
	s_cselect_b32 s10, s22, s19
	s_xor_b64 s[12:13], s[14:15], 0
	s_xor_b64 s[10:11], s[10:11], s[12:13]
	s_sub_u32 s10, s10, s12
	s_load_dwordx4 s[12:15], s[4:5], 0x44
	s_cbranch_execnz .LBB51_3
.LBB51_2:
	v_cvt_f32_u32_e32 v1, s9
	s_sub_i32 s10, 0, s9
	v_rcp_iflag_f32_e32 v1, v1
	v_mul_f32_e32 v1, 0x4f7ffffe, v1
	v_cvt_u32_f32_e32 v1, v1
	v_readfirstlane_b32 s11, v1
	s_mul_i32 s10, s10, s11
	s_mul_hi_u32 s10, s11, s10
	s_add_i32 s11, s11, s10
	s_mul_hi_u32 s10, s18, s11
	s_waitcnt lgkmcnt(0)
	s_mul_i32 s15, s10, s9
	s_sub_i32 s15, s18, s15
	s_add_i32 s11, s10, 1
	s_sub_i32 s16, s15, s9
	s_cmp_ge_u32 s15, s9
	s_cselect_b32 s10, s11, s10
	s_cselect_b32 s15, s16, s15
	s_add_i32 s11, s10, 1
	s_cmp_ge_u32 s15, s9
	s_cselect_b32 s10, s11, s10
.LBB51_3:
	s_add_i32 s11, s6, 1
	s_mul_hi_i32 s21, s3, s11
	s_mov_b32 s20, 0
	s_cmp_lg_u64 s[20:21], 0
	s_mul_i32 s11, s3, s11
	s_cbranch_scc0 .LBB51_21
; %bb.4:
	s_add_u32 s16, s9, 0
	s_addc_u32 s17, 0, 0
	s_xor_b64 s[18:19], s[16:17], 0
	v_cvt_f32_u32_e32 v1, s18
	v_cvt_f32_u32_e32 v2, s19
	s_waitcnt lgkmcnt(0)
	s_sub_u32 s15, 0, s18
	s_subb_u32 s20, 0, s19
	v_madmk_f32 v1, v2, 0x4f800000, v1
	v_rcp_f32_e32 v1, v1
	v_mul_f32_e32 v1, 0x5f7ffffc, v1
	v_mul_f32_e32 v2, 0x2f800000, v1
	v_trunc_f32_e32 v2, v2
	v_madmk_f32 v1, v2, 0xcf800000, v1
	v_cvt_u32_f32_e32 v2, v2
	v_cvt_u32_f32_e32 v1, v1
	v_readfirstlane_b32 s24, v2
	v_readfirstlane_b32 s22, v1
	s_mul_i32 s23, s15, s24
	s_mul_hi_u32 s26, s15, s22
	s_mul_i32 s25, s20, s22
	s_add_i32 s23, s26, s23
	s_add_i32 s23, s23, s25
	s_mul_i32 s27, s15, s22
	s_mul_i32 s26, s22, s23
	s_mul_hi_u32 s28, s22, s27
	s_mul_hi_u32 s25, s22, s23
	s_add_u32 s26, s28, s26
	s_addc_u32 s25, 0, s25
	s_mul_hi_u32 s29, s24, s27
	s_mul_i32 s27, s24, s27
	s_add_u32 s26, s26, s27
	s_mul_hi_u32 s28, s24, s23
	s_addc_u32 s25, s25, s29
	s_addc_u32 s26, s28, 0
	s_mul_i32 s23, s24, s23
	s_add_u32 s23, s25, s23
	s_addc_u32 s25, 0, s26
	s_add_u32 s26, s22, s23
	s_cselect_b64 s[22:23], -1, 0
	s_cmp_lg_u64 s[22:23], 0
	s_addc_u32 s24, s24, s25
	s_mul_i32 s22, s15, s24
	s_mul_hi_u32 s23, s15, s26
	s_add_i32 s22, s23, s22
	s_mul_i32 s20, s20, s26
	s_add_i32 s22, s22, s20
	s_mul_i32 s15, s15, s26
	s_mul_hi_u32 s23, s24, s15
	s_mul_i32 s25, s24, s15
	s_mul_i32 s28, s26, s22
	s_mul_hi_u32 s15, s26, s15
	s_mul_hi_u32 s27, s26, s22
	s_add_u32 s15, s15, s28
	s_addc_u32 s27, 0, s27
	s_add_u32 s15, s15, s25
	s_mul_hi_u32 s20, s24, s22
	s_addc_u32 s15, s27, s23
	s_addc_u32 s20, s20, 0
	s_mul_i32 s22, s24, s22
	s_add_u32 s15, s15, s22
	s_addc_u32 s20, 0, s20
	s_add_u32 s15, s26, s15
	s_cselect_b64 s[22:23], -1, 0
	s_cmp_lg_u64 s[22:23], 0
	s_addc_u32 s24, s24, s20
	s_ashr_i32 s22, s21, 31
	s_add_u32 s20, s11, s22
	s_mov_b32 s23, s22
	s_addc_u32 s21, s21, s22
	s_xor_b64 s[20:21], s[20:21], s[22:23]
	s_mul_i32 s26, s20, s24
	s_mul_hi_u32 s27, s20, s15
	s_mul_hi_u32 s25, s20, s24
	s_add_u32 s26, s27, s26
	s_addc_u32 s25, 0, s25
	s_mul_hi_u32 s28, s21, s15
	s_mul_i32 s15, s21, s15
	s_add_u32 s15, s26, s15
	s_mul_hi_u32 s27, s21, s24
	s_addc_u32 s15, s25, s28
	s_addc_u32 s25, s27, 0
	s_mul_i32 s24, s21, s24
	s_add_u32 s15, s15, s24
	s_addc_u32 s28, 0, s25
	s_mul_i32 s24, s18, s28
	s_mul_hi_u32 s25, s18, s15
	s_add_i32 s24, s25, s24
	s_mul_i32 s25, s19, s15
	s_add_i32 s29, s24, s25
	s_sub_i32 s26, s21, s29
	s_mul_i32 s24, s18, s15
	s_sub_u32 s20, s20, s24
	s_cselect_b64 s[24:25], -1, 0
	s_cmp_lg_u64 s[24:25], 0
	s_subb_u32 s30, s26, s19
	s_sub_u32 s31, s20, s18
	s_cselect_b64 s[26:27], -1, 0
	s_cmp_lg_u64 s[26:27], 0
	s_subb_u32 s26, s30, 0
	s_cmp_ge_u32 s26, s19
	s_cselect_b32 s27, -1, 0
	s_cmp_ge_u32 s31, s18
	s_cselect_b32 s30, -1, 0
	s_cmp_eq_u32 s26, s19
	s_cselect_b32 s26, s30, s27
	s_add_u32 s27, s15, 1
	s_addc_u32 s30, s28, 0
	s_add_u32 s31, s15, 2
	s_addc_u32 s33, s28, 0
	s_cmp_lg_u32 s26, 0
	s_cselect_b32 s26, s31, s27
	s_cselect_b32 s27, s33, s30
	s_cmp_lg_u64 s[24:25], 0
	s_subb_u32 s21, s21, s29
	s_cmp_ge_u32 s21, s19
	s_cselect_b32 s24, -1, 0
	s_cmp_ge_u32 s20, s18
	s_cselect_b32 s18, -1, 0
	s_cmp_eq_u32 s21, s19
	s_cselect_b32 s18, s18, s24
	s_cmp_lg_u32 s18, 0
	s_cselect_b32 s19, s27, s28
	s_cselect_b32 s18, s26, s15
	s_xor_b64 s[20:21], s[22:23], 0
	s_xor_b64 s[18:19], s[18:19], s[20:21]
	s_sub_u32 s18, s18, s20
	s_cbranch_execnz .LBB51_6
.LBB51_5:
	v_cvt_f32_u32_e32 v1, s9
	s_waitcnt lgkmcnt(0)
	s_sub_i32 s15, 0, s9
	v_rcp_iflag_f32_e32 v1, v1
	v_mul_f32_e32 v1, 0x4f7ffffe, v1
	v_cvt_u32_f32_e32 v1, v1
	v_readfirstlane_b32 s16, v1
	s_mul_i32 s15, s15, s16
	s_mul_hi_u32 s15, s16, s15
	s_add_i32 s16, s16, s15
	s_mul_hi_u32 s15, s11, s16
	s_mul_i32 s17, s15, s9
	s_sub_i32 s11, s11, s17
	s_add_i32 s16, s15, 1
	s_sub_i32 s17, s11, s9
	s_cmp_ge_u32 s11, s9
	s_cselect_b32 s15, s16, s15
	s_cselect_b32 s11, s17, s11
	s_add_i32 s16, s15, 1
	s_cmp_ge_u32 s11, s9
	s_cselect_b32 s18, s16, s15
.LBB51_6:
	s_cmp_eq_u32 s10, s18
	s_waitcnt lgkmcnt(0)
	s_mul_hi_u32 s11, s10, s12
	s_cselect_b64 s[16:17], -1, 0
	s_add_i32 s11, s11, s10
	s_lshr_b32 s11, s11, s13
	s_mul_i32 s15, s11, s14
	s_cmp_eq_u32 s15, s10
	s_mul_hi_u32 s15, s18, s12
	s_cselect_b64 s[20:21], -1, 0
	s_add_i32 s15, s15, s18
	s_lshr_b32 s15, s15, s13
	s_cmp_eq_u32 s11, s15
	s_mul_i32 s15, s15, s14
	s_cselect_b64 s[22:23], -1, 0
	s_cmp_lg_u32 s15, s18
	s_cselect_b64 s[18:19], -1, 0
	s_and_b64 s[18:19], s[22:23], s[18:19]
	s_or_b64 s[16:17], s[16:17], s[20:21]
	s_or_b64 s[16:17], s[16:17], s[18:19]
	s_and_b64 vcc, exec, s[16:17]
	s_cbranch_vccnz .LBB51_23
; %bb.7:
	s_load_dwordx8 s[20:27], s[4:5], 0x20
	s_load_dword s15, s[4:5], 0x40
	s_waitcnt lgkmcnt(0)
	s_mul_hi_u32 s16, s10, s20
	s_add_i32 s16, s16, s10
	s_lshr_b32 s20, s16, s21
	s_mul_i32 s16, s20, s22
	s_sub_i32 s16, s10, s16
	s_mul_hi_u32 s17, s16, s23
	s_add_i32 s17, s16, s17
	s_lshr_b32 s21, s17, s24
	s_mul_i32 s17, s21, s25
	s_sub_i32 s16, s16, s17
	;; [unrolled: 5-line block ×3, first 2 shown]
	s_mul_hi_u32 s16, s15, s12
	s_add_i32 s15, s15, s16
	s_lshr_b32 s23, s15, s13
	s_lshl_b32 s24, s17, 1
	s_add_i32 s23, s23, s7
	s_cmp_lt_i32 s23, s0
	s_cselect_b64 s[16:17], -1, 0
	s_add_i32 s24, s24, s8
	s_cmp_lt_i32 s24, s2
	s_cselect_b64 s[18:19], -1, 0
	s_and_b64 s[16:17], s[16:17], s[18:19]
	s_andn2_b64 vcc, exec, s[16:17]
	s_cbranch_vccnz .LBB51_23
; %bb.8:
	s_load_dwordx4 s[16:19], s[4:5], 0x0
	s_mov_b32 s4, 0
	s_lshl_b32 s26, s9, 3
	s_mov_b32 s27, s4
	s_lshl_b64 s[26:27], s[26:27], 2
	s_waitcnt lgkmcnt(0)
	s_add_u32 s15, s18, s26
	s_mul_i32 s20, s20, s0
	s_addc_u32 s22, s19, s27
	s_mul_i32 s21, s21, s2
	s_add_i32 s0, s23, s20
	s_mul_i32 s0, s0, s1
	s_add_i32 s1, s24, s21
	s_add_i32 s1, s1, s0
	v_lshl_or_b32 v1, s1, 6, v0
	v_ashrrev_i32_e32 v2, 31, v1
	v_lshlrev_b64 v[1:2], 2, v[1:2]
	v_mov_b32_e32 v3, s17
	v_add_co_u32_e32 v1, vcc, s16, v1
	v_addc_co_u32_e32 v2, vcc, v3, v2, vcc
	global_load_dword v3, v[1:2], off
	s_add_i32 s0, s7, s6
	v_cvt_f32_u32_e32 v4, s9
	s_lshl_b32 s0, s0, 1
	s_add_i32 s0, s0, s8
	s_ashr_i32 s1, s0, 31
	s_lshl_b64 s[0:1], s[0:1], 3
	v_rcp_iflag_f32_e32 v4, v4
	s_add_u32 s0, s18, s0
	s_addc_u32 s1, s19, s1
	s_load_dwordx2 s[0:1], s[0:1], 0x0
	v_mul_f32_e32 v4, 0x4f7ffffe, v4
	v_cvt_u32_f32_e32 v4, v4
	s_add_i32 s25, s6, -1
	v_lshl_or_b32 v0, s8, 6, v0
	s_waitcnt lgkmcnt(0)
	v_mov_b32_e32 v6, s1
	v_mov_b32_e32 v7, s0
	s_mov_b32 s2, 0x3fb8aa3b
	s_mov_b32 s6, 0xc2ce8ed0
	;; [unrolled: 1-line block ×4, first 2 shown]
	v_mov_b32_e32 v5, 0x7f800000
	s_mul_hi_i32 s5, s25, s3
	s_cmp_lg_u64 s[4:5], 0
	s_mul_i32 s20, s25, s3
	s_cbranch_scc0 .LBB51_19
.LBB51_9:
	s_add_u32 s0, s9, 0
	s_addc_u32 s1, 0, 0
	s_xor_b64 s[0:1], s[0:1], 0
	v_cvt_f32_u32_e32 v8, s0
	v_cvt_f32_u32_e32 v9, s1
	s_sub_u32 s21, 0, s0
	s_subb_u32 s26, 0, s1
	v_mac_f32_e32 v8, 0x4f800000, v9
	v_rcp_f32_e32 v8, v8
	v_mul_f32_e32 v8, 0x5f7ffffc, v8
	v_mul_f32_e32 v9, 0x2f800000, v8
	v_trunc_f32_e32 v9, v9
	v_mac_f32_e32 v8, 0xcf800000, v9
	v_cvt_u32_f32_e32 v9, v9
	v_cvt_u32_f32_e32 v8, v8
	v_readfirstlane_b32 s27, v9
	v_readfirstlane_b32 s16, v8
	s_mul_i32 s17, s21, s27
	s_mul_hi_u32 s29, s21, s16
	s_mul_i32 s28, s26, s16
	s_add_i32 s17, s29, s17
	s_mul_i32 s30, s21, s16
	s_add_i32 s17, s17, s28
	s_mul_i32 s29, s16, s17
	s_mul_hi_u32 s31, s16, s30
	s_mul_hi_u32 s28, s16, s17
	s_add_u32 s29, s31, s29
	s_addc_u32 s28, 0, s28
	s_mul_hi_u32 s33, s27, s30
	s_mul_i32 s30, s27, s30
	s_add_u32 s29, s29, s30
	s_mul_hi_u32 s31, s27, s17
	s_addc_u32 s28, s28, s33
	s_addc_u32 s29, s31, 0
	s_mul_i32 s17, s27, s17
	s_add_u32 s17, s28, s17
	s_addc_u32 s28, 0, s29
	s_add_u32 s29, s16, s17
	s_cselect_b64 s[16:17], -1, 0
	s_cmp_lg_u64 s[16:17], 0
	s_addc_u32 s27, s27, s28
	s_mul_i32 s16, s21, s27
	s_mul_hi_u32 s17, s21, s29
	s_add_i32 s16, s17, s16
	s_mul_i32 s26, s26, s29
	s_add_i32 s16, s16, s26
	s_mul_i32 s21, s21, s29
	s_mul_hi_u32 s26, s27, s21
	s_mul_i32 s28, s27, s21
	s_mul_i32 s31, s29, s16
	s_mul_hi_u32 s21, s29, s21
	s_mul_hi_u32 s30, s29, s16
	s_add_u32 s21, s21, s31
	s_addc_u32 s30, 0, s30
	s_add_u32 s21, s21, s28
	s_mul_hi_u32 s17, s27, s16
	s_addc_u32 s21, s30, s26
	s_addc_u32 s17, s17, 0
	s_mul_i32 s16, s27, s16
	s_add_u32 s16, s21, s16
	s_addc_u32 s21, 0, s17
	s_add_u32 s28, s29, s16
	s_cselect_b64 s[16:17], -1, 0
	s_cmp_lg_u64 s[16:17], 0
	s_addc_u32 s21, s27, s21
	s_ashr_i32 s16, s5, 31
	s_add_u32 s26, s20, s16
	s_mov_b32 s17, s16
	s_addc_u32 s27, s5, s16
	s_xor_b64 s[26:27], s[26:27], s[16:17]
	s_mul_i32 s29, s26, s21
	s_mul_hi_u32 s30, s26, s28
	s_mul_hi_u32 s5, s26, s21
	s_add_u32 s29, s30, s29
	s_addc_u32 s5, 0, s5
	s_mul_hi_u32 s31, s27, s28
	s_mul_i32 s28, s27, s28
	s_add_u32 s28, s29, s28
	s_mul_hi_u32 s30, s27, s21
	s_addc_u32 s5, s5, s31
	s_addc_u32 s28, s30, 0
	s_mul_i32 s21, s27, s21
	s_add_u32 s5, s5, s21
	s_addc_u32 s21, 0, s28
	s_mul_i32 s28, s0, s21
	s_mul_hi_u32 s29, s0, s5
	s_add_i32 s28, s29, s28
	s_mul_i32 s29, s1, s5
	s_add_i32 s33, s28, s29
	s_sub_i32 s30, s27, s33
	s_mul_i32 s28, s0, s5
	s_sub_u32 s26, s26, s28
	s_cselect_b64 s[28:29], -1, 0
	s_cmp_lg_u64 s[28:29], 0
	s_subb_u32 s34, s30, s1
	s_sub_u32 s35, s26, s0
	s_cselect_b64 s[30:31], -1, 0
	s_cmp_lg_u64 s[30:31], 0
	s_subb_u32 s30, s34, 0
	s_cmp_ge_u32 s30, s1
	s_cselect_b32 s31, -1, 0
	s_cmp_ge_u32 s35, s0
	s_cselect_b32 s34, -1, 0
	s_cmp_eq_u32 s30, s1
	s_cselect_b32 s30, s34, s31
	s_add_u32 s31, s5, 1
	s_addc_u32 s34, s21, 0
	s_add_u32 s35, s5, 2
	s_addc_u32 s36, s21, 0
	s_cmp_lg_u32 s30, 0
	s_cselect_b32 s30, s35, s31
	s_cselect_b32 s31, s36, s34
	s_cmp_lg_u64 s[28:29], 0
	s_subb_u32 s27, s27, s33
	s_cmp_ge_u32 s27, s1
	s_cselect_b32 s28, -1, 0
	s_cmp_ge_u32 s26, s0
	s_cselect_b32 s0, -1, 0
	s_cmp_eq_u32 s27, s1
	s_cselect_b32 s0, s0, s28
	s_cmp_lg_u32 s0, 0
	s_cselect_b32 s1, s31, s21
	s_cselect_b32 s0, s30, s5
	s_xor_b64 s[16:17], s[16:17], 0
	s_xor_b64 s[0:1], s[0:1], s[16:17]
	s_sub_u32 s16, s0, s16
	s_cbranch_execnz .LBB51_11
.LBB51_10:
	s_sub_i32 s0, 0, s9
	v_readfirstlane_b32 s1, v4
	s_mul_i32 s0, s0, s1
	s_mul_hi_u32 s0, s1, s0
	s_add_i32 s1, s1, s0
	s_mul_hi_u32 s0, s20, s1
	s_mul_i32 s5, s0, s9
	s_sub_i32 s5, s20, s5
	s_add_i32 s1, s0, 1
	s_sub_i32 s16, s5, s9
	s_cmp_ge_u32 s5, s9
	s_cselect_b32 s0, s1, s0
	s_cselect_b32 s5, s16, s5
	s_add_i32 s1, s0, 1
	s_cmp_ge_u32 s5, s9
	s_cselect_b32 s16, s1, s0
.LBB51_11:
	s_cmp_lg_u32 s10, s16
	s_mov_b64 s[20:21], -1
                                        ; implicit-def: $sgpr0_sgpr1
                                        ; implicit-def: $vgpr10
                                        ; implicit-def: $vgpr8
                                        ; implicit-def: $vgpr9
                                        ; implicit-def: $sgpr5
                                        ; implicit-def: $sgpr17
	s_cbranch_scc1 .LBB51_14
; %bb.12:
	s_andn2_b64 vcc, exec, s[20:21]
	s_cbranch_vccz .LBB51_17
.LBB51_13:
	s_andn2_b64 vcc, exec, s[0:1]
	s_cbranch_vccnz .LBB51_18
	s_branch .LBB51_22
.LBB51_14:
	s_add_i32 s26, s25, s7
	s_add_i32 s0, s26, s9
	s_lshl_b32 s0, s0, 1
	s_add_i32 s0, s0, s8
	s_mov_b32 s1, s4
	s_lshl_b64 s[0:1], s[0:1], 3
	s_add_u32 s20, s18, s0
	s_mul_hi_u32 s0, s16, s12
	s_addc_u32 s21, s19, s1
	s_add_i32 s0, s0, s16
	s_lshr_b32 s5, s0, s13
	s_mul_i32 s0, s5, s14
	s_cmp_eq_u32 s0, s16
	s_cselect_b64 s[0:1], -1, 0
	s_cmp_lt_u32 s5, s11
	s_cselect_b64 s[28:29], -1, 0
	s_or_b64 s[28:29], s[28:29], s[0:1]
	s_mov_b64 s[0:1], -1
	s_and_b64 vcc, exec, s[28:29]
	s_mov_b32 s5, s25
	s_mov_b32 s17, s10
	s_cbranch_vccnz .LBB51_16
; %bb.15:
	s_add_i32 s5, s25, -1
	s_mov_b64 s[0:1], 0
	s_mov_b32 s17, s16
.LBB51_16:
	v_lshl_add_u32 v8, s26, 7, v0
	v_ashrrev_i32_e32 v9, 31, v8
	v_lshlrev_b64 v[8:9], 2, v[8:9]
	v_mov_b32_e32 v10, s22
	v_add_co_u32_e32 v8, vcc, s15, v8
	v_addc_co_u32_e32 v9, vcc, v10, v9, vcc
	global_load_dword v10, v[8:9], off
	s_load_dwordx2 s[20:21], s[20:21], 0x0
	v_max_f32_e32 v8, v7, v7
	s_waitcnt lgkmcnt(0)
	v_max_f32_e64 v9, s20, s20
	v_max_f32_e32 v8, v8, v9
	v_sub_f32_e32 v9, v7, v8
	v_sub_f32_e32 v11, s20, v8
	v_mul_f32_e32 v12, 0x3fb8aa3b, v9
	v_mul_f32_e32 v13, 0x3fb8aa3b, v11
	v_fma_f32 v14, v9, s2, -v12
	v_rndne_f32_e32 v15, v12
	v_fma_f32 v16, v11, s2, -v13
	v_rndne_f32_e32 v17, v13
	v_fmac_f32_e32 v14, 0x32a5705f, v9
	v_sub_f32_e32 v12, v12, v15
	v_fmac_f32_e32 v16, 0x32a5705f, v11
	v_sub_f32_e32 v13, v13, v17
	v_add_f32_e32 v12, v12, v14
	v_cvt_i32_f32_e32 v15, v15
	v_add_f32_e32 v13, v13, v16
	v_exp_f32_e32 v12, v12
	v_cvt_i32_f32_e32 v17, v17
	v_exp_f32_e32 v13, v13
	v_cmp_ngt_f32_e32 vcc, s6, v9
	v_ldexp_f32 v12, v12, v15
	v_cndmask_b32_e32 v12, 0, v12, vcc
	v_ldexp_f32 v13, v13, v17
	v_cmp_ngt_f32_e32 vcc, s6, v11
	v_cndmask_b32_e32 v13, 0, v13, vcc
	v_cmp_nlt_f32_e32 vcc, s23, v9
	v_cndmask_b32_e32 v12, v5, v12, vcc
	v_cmp_nlt_f32_e32 vcc, s23, v11
	v_cndmask_b32_e32 v13, v5, v13, vcc
	v_cmp_le_f32_e32 vcc, s24, v9
	v_cndmask_b32_e32 v12, 0, v12, vcc
	v_cmp_le_f32_e32 vcc, s24, v11
	v_cndmask_b32_e32 v11, 0, v13, vcc
	v_mul_f32_e32 v9, s21, v11
	v_fmac_f32_e32 v9, v6, v12
	s_waitcnt vmcnt(0)
	v_mul_f32_e32 v10, v10, v11
	v_fmac_f32_e32 v10, v3, v12
	s_cbranch_execnz .LBB51_13
.LBB51_17:
	s_add_i32 s5, s25, -1
	s_mov_b32 s17, s10
	v_mov_b32_e32 v9, v6
	v_mov_b32_e32 v8, v7
	s_waitcnt vmcnt(0)
	v_mov_b32_e32 v10, v3
	s_cbranch_execz .LBB51_22
.LBB51_18:
	s_mov_b32 s10, s17
	s_mov_b32 s25, s5
	v_mov_b32_e32 v6, v9
	v_mov_b32_e32 v7, v8
	s_waitcnt vmcnt(0)
	v_mov_b32_e32 v3, v10
	s_mul_hi_i32 s5, s25, s3
	s_cmp_lg_u64 s[4:5], 0
	s_mul_i32 s20, s25, s3
	s_cbranch_scc1 .LBB51_9
.LBB51_19:
                                        ; implicit-def: $sgpr16_sgpr17
	s_branch .LBB51_10
.LBB51_20:
                                        ; implicit-def: $sgpr10_sgpr11
	s_load_dwordx4 s[12:15], s[4:5], 0x44
	s_branch .LBB51_2
.LBB51_21:
                                        ; implicit-def: $sgpr18_sgpr19
	s_branch .LBB51_5
.LBB51_22:
	v_div_scale_f32 v0, s[0:1], v9, v9, v10
	s_waitcnt vmcnt(0)
	v_div_scale_f32 v3, vcc, v10, v9, v10
	v_rcp_f32_e32 v4, v0
	v_fma_f32 v5, -v0, v4, 1.0
	v_fmac_f32_e32 v4, v5, v4
	v_mul_f32_e32 v5, v3, v4
	v_fma_f32 v6, -v0, v5, v3
	v_fmac_f32_e32 v5, v6, v4
	v_fma_f32 v0, -v0, v5, v3
	v_div_fmas_f32 v0, v0, v4, v5
	v_div_fixup_f32 v0, v0, v9, v10
	global_store_dword v[1:2], v0, off
.LBB51_23:
	s_endpgm
	.section	.rodata,"a",@progbits
	.p2align	6, 0x0
	.amdhsa_kernel _ZL33flash_attn_stream_k_fixup_generalILi64ELi1ELi2EEvPfPK15HIP_vector_typeIfLj2EEiiiiS1_IjLj3EES5_S5_S5_
		.amdhsa_group_segment_fixed_size 0
		.amdhsa_private_segment_fixed_size 0
		.amdhsa_kernarg_size 336
		.amdhsa_user_sgpr_count 6
		.amdhsa_user_sgpr_private_segment_buffer 1
		.amdhsa_user_sgpr_dispatch_ptr 0
		.amdhsa_user_sgpr_queue_ptr 0
		.amdhsa_user_sgpr_kernarg_segment_ptr 1
		.amdhsa_user_sgpr_dispatch_id 0
		.amdhsa_user_sgpr_flat_scratch_init 0
		.amdhsa_user_sgpr_private_segment_size 0
		.amdhsa_uses_dynamic_stack 0
		.amdhsa_system_sgpr_private_segment_wavefront_offset 0
		.amdhsa_system_sgpr_workgroup_id_x 1
		.amdhsa_system_sgpr_workgroup_id_y 1
		.amdhsa_system_sgpr_workgroup_id_z 1
		.amdhsa_system_sgpr_workgroup_info 0
		.amdhsa_system_vgpr_workitem_id 0
		.amdhsa_next_free_vgpr 18
		.amdhsa_next_free_sgpr 37
		.amdhsa_reserve_vcc 1
		.amdhsa_reserve_flat_scratch 0
		.amdhsa_float_round_mode_32 0
		.amdhsa_float_round_mode_16_64 0
		.amdhsa_float_denorm_mode_32 3
		.amdhsa_float_denorm_mode_16_64 3
		.amdhsa_dx10_clamp 1
		.amdhsa_ieee_mode 1
		.amdhsa_fp16_overflow 0
		.amdhsa_exception_fp_ieee_invalid_op 0
		.amdhsa_exception_fp_denorm_src 0
		.amdhsa_exception_fp_ieee_div_zero 0
		.amdhsa_exception_fp_ieee_overflow 0
		.amdhsa_exception_fp_ieee_underflow 0
		.amdhsa_exception_fp_ieee_inexact 0
		.amdhsa_exception_int_div_zero 0
	.end_amdhsa_kernel
	.section	.text._ZL33flash_attn_stream_k_fixup_generalILi64ELi1ELi2EEvPfPK15HIP_vector_typeIfLj2EEiiiiS1_IjLj3EES5_S5_S5_,"axG",@progbits,_ZL33flash_attn_stream_k_fixup_generalILi64ELi1ELi2EEvPfPK15HIP_vector_typeIfLj2EEiiiiS1_IjLj3EES5_S5_S5_,comdat
.Lfunc_end51:
	.size	_ZL33flash_attn_stream_k_fixup_generalILi64ELi1ELi2EEvPfPK15HIP_vector_typeIfLj2EEiiiiS1_IjLj3EES5_S5_S5_, .Lfunc_end51-_ZL33flash_attn_stream_k_fixup_generalILi64ELi1ELi2EEvPfPK15HIP_vector_typeIfLj2EEiiiiS1_IjLj3EES5_S5_S5_
                                        ; -- End function
	.set _ZL33flash_attn_stream_k_fixup_generalILi64ELi1ELi2EEvPfPK15HIP_vector_typeIfLj2EEiiiiS1_IjLj3EES5_S5_S5_.num_vgpr, 18
	.set _ZL33flash_attn_stream_k_fixup_generalILi64ELi1ELi2EEvPfPK15HIP_vector_typeIfLj2EEiiiiS1_IjLj3EES5_S5_S5_.num_agpr, 0
	.set _ZL33flash_attn_stream_k_fixup_generalILi64ELi1ELi2EEvPfPK15HIP_vector_typeIfLj2EEiiiiS1_IjLj3EES5_S5_S5_.numbered_sgpr, 37
	.set _ZL33flash_attn_stream_k_fixup_generalILi64ELi1ELi2EEvPfPK15HIP_vector_typeIfLj2EEiiiiS1_IjLj3EES5_S5_S5_.num_named_barrier, 0
	.set _ZL33flash_attn_stream_k_fixup_generalILi64ELi1ELi2EEvPfPK15HIP_vector_typeIfLj2EEiiiiS1_IjLj3EES5_S5_S5_.private_seg_size, 0
	.set _ZL33flash_attn_stream_k_fixup_generalILi64ELi1ELi2EEvPfPK15HIP_vector_typeIfLj2EEiiiiS1_IjLj3EES5_S5_S5_.uses_vcc, 1
	.set _ZL33flash_attn_stream_k_fixup_generalILi64ELi1ELi2EEvPfPK15HIP_vector_typeIfLj2EEiiiiS1_IjLj3EES5_S5_S5_.uses_flat_scratch, 0
	.set _ZL33flash_attn_stream_k_fixup_generalILi64ELi1ELi2EEvPfPK15HIP_vector_typeIfLj2EEiiiiS1_IjLj3EES5_S5_S5_.has_dyn_sized_stack, 0
	.set _ZL33flash_attn_stream_k_fixup_generalILi64ELi1ELi2EEvPfPK15HIP_vector_typeIfLj2EEiiiiS1_IjLj3EES5_S5_S5_.has_recursion, 0
	.set _ZL33flash_attn_stream_k_fixup_generalILi64ELi1ELi2EEvPfPK15HIP_vector_typeIfLj2EEiiiiS1_IjLj3EES5_S5_S5_.has_indirect_call, 0
	.section	.AMDGPU.csdata,"",@progbits
; Kernel info:
; codeLenInByte = 2920
; TotalNumSgprs: 41
; NumVgprs: 18
; ScratchSize: 0
; MemoryBound: 0
; FloatMode: 240
; IeeeMode: 1
; LDSByteSize: 0 bytes/workgroup (compile time only)
; SGPRBlocks: 5
; VGPRBlocks: 4
; NumSGPRsForWavesPerEU: 41
; NumVGPRsForWavesPerEU: 18
; Occupancy: 10
; WaveLimiterHint : 0
; COMPUTE_PGM_RSRC2:SCRATCH_EN: 0
; COMPUTE_PGM_RSRC2:USER_SGPR: 6
; COMPUTE_PGM_RSRC2:TRAP_HANDLER: 0
; COMPUTE_PGM_RSRC2:TGID_X_EN: 1
; COMPUTE_PGM_RSRC2:TGID_Y_EN: 1
; COMPUTE_PGM_RSRC2:TGID_Z_EN: 1
; COMPUTE_PGM_RSRC2:TIDIG_COMP_CNT: 0
	.section	.text._ZL15flash_attn_tileILi64ELi64ELi64ELi1ELb0EEvPKcS1_S1_S1_S1_PKiPfP15HIP_vector_typeIfLj2EEffffjfiS5_IjLj3EEiiiiiiiiiiiliiliiiiil,"axG",@progbits,_ZL15flash_attn_tileILi64ELi64ELi64ELi1ELb0EEvPKcS1_S1_S1_S1_PKiPfP15HIP_vector_typeIfLj2EEffffjfiS5_IjLj3EEiiiiiiiiiiiliiliiiiil,comdat
	.globl	_ZL15flash_attn_tileILi64ELi64ELi64ELi1ELb0EEvPKcS1_S1_S1_S1_PKiPfP15HIP_vector_typeIfLj2EEffffjfiS5_IjLj3EEiiiiiiiiiiiliiliiiiil ; -- Begin function _ZL15flash_attn_tileILi64ELi64ELi64ELi1ELb0EEvPKcS1_S1_S1_S1_PKiPfP15HIP_vector_typeIfLj2EEffffjfiS5_IjLj3EEiiiiiiiiiiiliiliiiiil
	.p2align	8
	.type	_ZL15flash_attn_tileILi64ELi64ELi64ELi1ELb0EEvPKcS1_S1_S1_S1_PKiPfP15HIP_vector_typeIfLj2EEffffjfiS5_IjLj3EEiiiiiiiiiiiliiliiiiil,@function
_ZL15flash_attn_tileILi64ELi64ELi64ELi1ELb0EEvPKcS1_S1_S1_S1_PKiPfP15HIP_vector_typeIfLj2EEffffjfiS5_IjLj3EEiiiiiiiiiiiliiliiiiil: ; @_ZL15flash_attn_tileILi64ELi64ELi64ELi1ELb0EEvPKcS1_S1_S1_S1_PKiPfP15HIP_vector_typeIfLj2EEffffjfiS5_IjLj3EEiiiiiiiiiiiliiliiiiil
; %bb.0:
	s_load_dwordx4 s[28:31], s[4:5], 0x5c
	s_load_dwordx2 s[46:47], s[4:5], 0x80
	s_add_u32 flat_scratch_lo, s6, s11
	s_addc_u32 flat_scratch_hi, s7, 0
	s_add_u32 s0, s0, s11
	s_waitcnt lgkmcnt(0)
	v_cvt_f32_u32_e32 v2, s31
	s_addc_u32 s1, s1, 0
	s_sub_i32 s6, 0, s31
	s_load_dwordx2 s[48:49], s[4:5], 0xb8
	v_rcp_iflag_f32_e32 v2, v2
	s_mov_b64 s[44:45], 0
	v_mul_f32_e32 v2, 0x4f7ffffe, v2
	v_cvt_u32_f32_e32 v2, v2
	v_readfirstlane_b32 s7, v2
	s_mul_i32 s6, s6, s7
	s_mul_hi_u32 s6, s7, s6
	s_add_i32 s7, s7, s6
	s_mul_hi_u32 s6, s10, s7
	s_mul_i32 s7, s6, s31
	s_sub_i32 s7, s10, s7
	s_add_i32 s11, s6, 1
	s_sub_i32 s12, s7, s31
	s_cmp_ge_u32 s7, s31
	s_cselect_b32 s6, s11, s6
	s_cselect_b32 s7, s12, s7
	s_add_i32 s11, s6, 1
	s_cmp_ge_u32 s7, s31
	s_cselect_b32 s33, s11, s6
	s_abs_i32 s6, s47
	v_cvt_f32_u32_e32 v2, s6
	s_mul_i32 s12, s33, s31
	s_sub_i32 s13, 0, s6
	s_sub_i32 s34, s10, s12
	v_rcp_iflag_f32_e32 v2, v2
	s_abs_i32 s11, s31
	s_xor_b32 s7, s31, s47
	s_ashr_i32 s7, s7, 31
	v_mul_f32_e32 v2, 0x4f7ffffe, v2
	v_cvt_u32_f32_e32 v2, v2
	v_readfirstlane_b32 s10, v2
	s_mul_i32 s13, s13, s10
	s_mul_hi_u32 s12, s10, s13
	s_add_i32 s10, s10, s12
	s_mul_hi_u32 s10, s11, s10
	s_mul_i32 s12, s10, s6
	s_sub_i32 s11, s11, s12
	s_add_i32 s13, s10, 1
	s_sub_i32 s12, s11, s6
	s_cmp_ge_u32 s11, s6
	s_cselect_b32 s10, s13, s10
	s_cselect_b32 s11, s12, s11
	s_add_i32 s12, s10, 1
	s_cmp_ge_u32 s11, s6
	s_cselect_b32 s6, s12, s10
	s_xor_b32 s6, s6, s7
	s_sub_i32 s51, s6, s7
	s_abs_i32 s47, s51
	v_cvt_f32_u32_e32 v2, s47
	s_load_dwordx16 s[12:27], s[4:5], 0x0
	s_sub_i32 s6, 0, s47
	s_abs_i32 s50, s34
	v_rcp_iflag_f32_e32 v2, v2
	v_mul_f32_e32 v2, 0x4f7ffffe, v2
	v_cvt_u32_f32_e32 v2, v2
	v_readfirstlane_b32 s7, v2
	s_mul_i32 s6, s6, s7
	s_mul_hi_u32 s6, s7, s6
	s_add_i32 s6, s7, s6
	s_waitcnt lgkmcnt(0)
	s_cmp_eq_u64 s[18:19], 0
	s_cbranch_scc1 .LBB52_2
; %bb.1:
	s_abs_i32 s7, s48
	v_cvt_f32_u32_e32 v2, s7
	s_sub_i32 s37, 0, s7
	s_abs_i32 s36, s33
	s_ashr_i32 s35, s33, 31
	v_rcp_iflag_f32_e32 v2, v2
	s_load_dwordx2 s[10:11], s[4:5], 0xc8
	v_mul_f32_e32 v2, 0x4f7ffffe, v2
	v_cvt_u32_f32_e32 v2, v2
	v_readfirstlane_b32 s38, v2
	s_mul_i32 s37, s37, s38
	s_mul_hi_u32 s37, s38, s37
	s_add_i32 s38, s38, s37
	s_mul_hi_u32 s37, s36, s38
	s_mul_i32 s37, s37, s7
	s_sub_i32 s36, s36, s37
	s_sub_i32 s37, s36, s7
	s_cmp_ge_u32 s36, s7
	s_cselect_b32 s36, s37, s36
	s_sub_i32 s37, s36, s7
	s_cmp_ge_u32 s36, s7
	s_cselect_b32 s7, s37, s36
	s_xor_b32 s7, s7, s35
	s_sub_i32 s7, s7, s35
	s_ashr_i32 s35, s7, 31
	s_waitcnt lgkmcnt(0)
	s_mul_hi_u32 s36, s10, s7
	s_mul_i32 s35, s10, s35
	s_mul_i32 s11, s11, s7
	s_add_i32 s35, s36, s35
	s_add_i32 s35, s35, s11
	s_mul_i32 s7, s10, s7
	s_add_u32 s44, s18, s7
	s_addc_u32 s45, s19, s35
.LBB52_2:
	s_load_dwordx4 s[36:39], s[4:5], 0x40
	s_mul_hi_u32 s18, s50, s6
	s_load_dword s6, s[4:5], 0x50
	v_mov_b32_e32 v20, 1.0
	s_waitcnt lgkmcnt(0)
	v_cmp_le_f32_e64 s[10:11], s37, 0
	s_and_b64 vcc, exec, s[10:11]
	s_cbranch_vccnz .LBB52_4
; %bb.3:
	v_mov_b32_e32 v2, s6
	v_sub_co_u32_e32 v2, vcc, s34, v2
	v_mov_b32_e32 v3, s39
	v_mov_b32_e32 v4, s38
	s_add_i32 s6, s34, 1
	v_lshlrev_b32_e32 v2, 1, v2
	v_cndmask_b32_e32 v3, v3, v4, vcc
	v_or_b32_e32 v2, 1, v2
	v_mov_b32_e32 v4, s6
	v_cndmask_b32_e32 v2, v2, v4, vcc
	v_cvt_f32_i32_e32 v2, v2
	v_cmp_neq_f32_e32 vcc, 1.0, v3
	s_mov_b32 s6, 0x3f2aaaab
	s_movk_i32 s10, 0x204
	v_cndmask_b32_e32 v4, 1.0, v2, vcc
	v_cmp_neq_f32_e32 vcc, 0, v4
	v_cndmask_b32_e32 v5, 1.0, v3, vcc
	v_frexp_mant_f32_e64 v2, |v5|
	v_cmp_gt_f32_e32 vcc, s6, v2
	v_cndmask_b32_e64 v3, 1.0, 2.0, vcc
	v_mul_f32_e32 v2, v2, v3
	v_add_f32_e32 v3, 1.0, v2
	v_rcp_f32_e32 v6, v3
	v_add_f32_e32 v7, -1.0, v2
	v_add_f32_e32 v8, -1.0, v3
	v_sub_f32_e32 v2, v2, v8
	v_mul_f32_e32 v8, v7, v6
	v_mul_f32_e32 v9, v3, v8
	v_fma_f32 v3, v8, v3, -v9
	v_fmac_f32_e32 v3, v8, v2
	v_add_f32_e32 v2, v9, v3
	v_sub_f32_e32 v10, v7, v2
	v_sub_f32_e32 v9, v2, v9
	;; [unrolled: 1-line block ×5, first 2 shown]
	v_add_f32_e32 v2, v3, v2
	v_add_f32_e32 v2, v10, v2
	v_mul_f32_e32 v2, v6, v2
	v_add_f32_e32 v6, v8, v2
	v_sub_f32_e32 v3, v6, v8
	v_sub_f32_e32 v7, v2, v3
	v_mul_f32_e32 v2, v6, v6
	v_fma_f32 v3, v6, v6, -v2
	v_add_f32_e32 v8, v7, v7
	v_fmac_f32_e32 v3, v6, v8
	v_add_f32_e32 v8, v2, v3
	v_mov_b32_e32 v9, 0x3e91f4c4
	v_sub_f32_e32 v2, v8, v2
	v_fmac_f32_e32 v9, 0x3e76c4e1, v8
	v_mov_b32_e32 v10, 0x3ecccdef
	v_sub_f32_e32 v2, v3, v2
	v_mul_f32_e32 v3, v6, v8
	v_fmac_f32_e32 v10, v8, v9
	v_fma_f32 v9, v8, v6, -v3
	v_fmac_f32_e32 v9, v8, v7
	v_fmac_f32_e32 v9, v2, v6
	v_add_f32_e32 v11, v3, v9
	v_sub_f32_e32 v3, v11, v3
	v_sub_f32_e32 v9, v9, v3
	v_mul_f32_e32 v3, v8, v10
	v_fma_f32 v8, v8, v10, -v3
	v_fmac_f32_e32 v8, v2, v10
	v_add_f32_e32 v10, v3, v8
	v_sub_f32_e32 v2, v10, v3
	v_sub_f32_e32 v8, v8, v2
	v_cvt_f64_f32_e64 v[2:3], |v5|
	v_add_f32_e32 v12, 0x3f2aaaaa, v10
	v_add_f32_e32 v13, 0xbf2aaaaa, v12
	;; [unrolled: 1-line block ×3, first 2 shown]
	v_frexp_exp_i32_f64_e32 v2, v[2:3]
	v_sub_f32_e32 v10, v10, v13
	v_add_f32_e32 v3, v8, v10
	v_add_f32_e32 v8, v12, v3
	v_sub_f32_e32 v10, v12, v8
	v_add_f32_e32 v3, v3, v10
	v_mul_f32_e32 v10, v11, v8
	v_fma_f32 v12, v11, v8, -v10
	v_subbrev_co_u32_e32 v2, vcc, 0, v2, vcc
	v_cvt_f32_i32_e32 v2, v2
	v_fmac_f32_e32 v12, v11, v3
	s_mov_b32 s6, 0x3f317218
	v_fmac_f32_e32 v12, v9, v8
	v_mul_f32_e32 v3, 0x3f317218, v2
	v_fma_f32 v8, v2, s6, -v3
	v_fmac_f32_e32 v8, 0xb102e308, v2
	v_ldexp_f32 v2, v7, 1
	v_add_f32_e32 v7, v3, v8
	v_sub_f32_e32 v3, v7, v3
	v_ldexp_f32 v6, v6, 1
	v_sub_f32_e32 v3, v8, v3
	v_add_f32_e32 v8, v10, v12
	v_sub_f32_e32 v9, v8, v10
	v_add_f32_e32 v10, v6, v8
	v_sub_f32_e32 v9, v12, v9
	v_sub_f32_e32 v6, v10, v6
	;; [unrolled: 1-line block ×3, first 2 shown]
	v_add_f32_e32 v2, v2, v9
	v_add_f32_e32 v2, v2, v6
	;; [unrolled: 1-line block ×3, first 2 shown]
	v_sub_f32_e32 v8, v6, v10
	v_sub_f32_e32 v2, v2, v8
	v_add_f32_e32 v8, v7, v6
	v_sub_f32_e32 v9, v8, v7
	v_sub_f32_e32 v10, v8, v9
	;; [unrolled: 1-line block ×4, first 2 shown]
	v_add_f32_e32 v6, v6, v7
	v_add_f32_e32 v7, v3, v2
	v_sub_f32_e32 v9, v7, v3
	v_sub_f32_e32 v10, v7, v9
	v_sub_f32_e32 v3, v3, v10
	v_sub_f32_e32 v2, v2, v9
	v_add_f32_e32 v2, v2, v3
	v_add_f32_e32 v3, v7, v6
	;; [unrolled: 1-line block ×3, first 2 shown]
	v_sub_f32_e32 v7, v6, v8
	v_sub_f32_e32 v3, v3, v7
	v_add_f32_e32 v2, v2, v3
	v_add_f32_e32 v3, v6, v2
	v_sub_f32_e32 v6, v3, v6
	v_sub_f32_e32 v2, v2, v6
	v_mul_f32_e32 v6, v4, v3
	v_fma_f32 v3, v4, v3, -v6
	v_fmac_f32_e32 v3, v4, v2
	v_add_f32_e32 v2, v6, v3
	v_cmp_class_f32_e64 vcc, v6, s10
	v_sub_f32_e32 v7, v2, v6
	v_cndmask_b32_e32 v2, v2, v6, vcc
	s_mov_b32 s7, 0x42b17218
	v_mov_b32_e32 v6, 0x37000000
	v_cmp_eq_f32_e32 vcc, s7, v2
	v_cndmask_b32_e32 v6, 0, v6, vcc
	v_sub_f32_e32 v3, v3, v7
	v_sub_f32_e32 v7, v2, v6
	s_mov_b32 s11, 0x3fb8aa3b
	v_mul_f32_e32 v8, 0x3fb8aa3b, v7
	v_fma_f32 v9, v7, s11, -v8
	v_rndne_f32_e32 v10, v8
	v_fmac_f32_e32 v9, 0x32a5705f, v7
	v_sub_f32_e32 v8, v8, v10
	v_add_f32_e32 v8, v8, v9
	v_exp_f32_e32 v8, v8
	v_cvt_i32_f32_e32 v9, v10
	s_mov_b32 s6, 0x7f800000
	v_cmp_neq_f32_e64 vcc, |v2|, s6
	s_mov_b32 s6, 0xc2ce8ed0
	v_cndmask_b32_e32 v2, 0, v3, vcc
	v_ldexp_f32 v3, v8, v9
	v_cmp_ngt_f32_e32 vcc, s6, v7
	v_add_f32_e32 v2, v6, v2
	v_cndmask_b32_e32 v3, 0, v3, vcc
	v_mov_b32_e32 v6, 0x7f800000
	v_cmp_nlt_f32_e32 vcc, s7, v7
	v_cndmask_b32_e32 v3, v6, v3, vcc
	v_fma_f32 v2, v3, v2, v3
	v_cmp_class_f32_e64 vcc, v3, s10
	v_cndmask_b32_e32 v2, v2, v3, vcc
	v_trunc_f32_e32 v3, v4
	v_cmp_eq_f32_e32 vcc, v3, v4
	v_mul_f32_e32 v3, 0.5, v4
	v_trunc_f32_e32 v8, v3
	v_cmp_neq_f32_e64 s[6:7], v8, v3
	s_and_b64 s[6:7], vcc, s[6:7]
	v_cndmask_b32_e64 v3, 1.0, v5, s[6:7]
	s_brev_b32 s19, -2
	v_mov_b32_e32 v7, 0x7fc00000
	v_bfi_b32 v2, s19, v2, v3
	v_cndmask_b32_e32 v3, v7, v2, vcc
	v_cmp_gt_f32_e32 vcc, 0, v5
	v_cndmask_b32_e32 v2, v2, v3, vcc
	v_cmp_class_f32_e64 s[38:39], v5, s10
	v_cmp_eq_f32_e32 vcc, 0, v5
	v_cmp_gt_f32_e64 s[10:11], 0, v4
	s_xor_b64 s[10:11], s[10:11], vcc
	v_cndmask_b32_e64 v3, v6, 0, s[10:11]
	v_cndmask_b32_e64 v4, 0, v5, s[6:7]
	v_bfi_b32 v3, s19, v3, v4
	s_or_b64 vcc, vcc, s[38:39]
	v_cndmask_b32_e32 v2, v2, v3, vcc
	v_cmp_o_f32_e32 vcc, v5, v5
	v_cndmask_b32_e32 v20, v7, v2, vcc
.LBB52_4:
	s_lshl_b32 s37, s8, 6
	v_lshlrev_b32_e32 v40, 3, v1
	s_load_dwordx4 s[40:43], s[4:5], 0x70
	v_add_u32_e32 v41, s37, v40
	v_mul_hi_u32 v2, v41, s28
	v_or_b32_e32 v38, 1, v40
	v_add_u32_e32 v39, s37, v38
	s_waitcnt lgkmcnt(0)
	s_mul_i32 s6, s33, s42
	v_add_u32_e32 v2, v41, v2
	s_ashr_i32 s35, s34, 31
	s_ashr_i32 s10, s51, 31
	;; [unrolled: 1-line block ×3, first 2 shown]
	v_lshrrev_b32_e32 v2, s29, v2
	v_mul_hi_u32 v5, v39, s28
	s_add_u32 s6, s12, s6
	s_mul_i32 s11, s34, s41
	v_mul_lo_u32 v2, v2, s30
	s_addc_u32 s7, s13, s7
	s_ashr_i32 s12, s11, 31
	s_add_u32 s11, s6, s11
	s_addc_u32 s19, s7, s12
	s_ashr_i32 s41, s40, 31
	v_add_u32_e32 v5, v39, v5
	s_lshr_b64 s[6:7], s[40:41], 2
	v_sub_u32_e32 v2, v41, v2
	v_lshrrev_b32_e32 v5, s29, v5
	v_mad_u64_u32 v[3:4], s[12:13], s6, v2, 0
	v_mul_lo_u32 v6, v5, s30
	s_lshr_b32 s7, s41, 2
	v_mad_u64_u32 v[4:5], s[12:13], s7, v2, v[4:5]
	v_sub_u32_e32 v9, v39, v6
	v_mad_u64_u32 v[5:6], s[12:13], s6, v9, 0
	v_lshlrev_b32_e32 v7, 3, v0
	v_or_b32_e32 v36, 2, v40
	v_add_co_u32_e32 v17, vcc, s11, v7
	v_mad_u64_u32 v[6:7], s[12:13], s7, v9, v[6:7]
	v_add_u32_e32 v37, s37, v36
	v_mul_hi_u32 v7, v37, s28
	v_or_b32_e32 v34, 3, v40
	v_add_u32_e32 v35, s37, v34
	v_mul_hi_u32 v9, v35, s28
	v_add_u32_e32 v7, v37, v7
	v_lshrrev_b32_e32 v7, s29, v7
	v_mul_lo_u32 v7, v7, s30
	v_add_u32_e32 v9, v35, v9
	v_mov_b32_e32 v8, s19
	v_lshrrev_b32_e32 v9, s29, v9
	v_sub_u32_e32 v10, v37, v7
	v_addc_co_u32_e32 v18, vcc, 0, v8, vcc
	v_mad_u64_u32 v[7:8], s[12:13], s6, v10, 0
	v_mul_lo_u32 v11, v9, s30
	v_or_b32_e32 v114, 5, v40
	v_mad_u64_u32 v[8:9], s[12:13], s7, v10, v[8:9]
	v_sub_u32_e32 v11, v35, v11
	v_mad_u64_u32 v[9:10], s[12:13], s6, v11, 0
	v_or_b32_e32 v115, 4, v40
	v_add_u32_e32 v31, s37, v114
	v_mad_u64_u32 v[10:11], s[12:13], s7, v11, v[10:11]
	v_add_u32_e32 v33, s37, v115
	v_mul_hi_u32 v13, v31, s28
	v_lshlrev_b64 v[3:4], 2, v[3:4]
	v_mul_hi_u32 v11, v33, s28
	v_add_co_u32_e32 v3, vcc, v17, v3
	v_lshlrev_b64 v[5:6], 2, v[5:6]
	v_addc_co_u32_e32 v4, vcc, v18, v4, vcc
	v_add_u32_e32 v13, v31, v13
	v_add_co_u32_e32 v5, vcc, v17, v5
	v_lshlrev_b64 v[7:8], 2, v[7:8]
	v_add_u32_e32 v11, v33, v11
	v_lshrrev_b32_e32 v13, s29, v13
	v_addc_co_u32_e32 v6, vcc, v18, v6, vcc
	v_lshrrev_b32_e32 v11, s29, v11
	v_mul_lo_u32 v15, v13, s30
	v_add_co_u32_e32 v7, vcc, v17, v7
	v_lshlrev_b64 v[9:10], 2, v[9:10]
	v_mul_lo_u32 v11, v11, s30
	v_addc_co_u32_e32 v8, vcc, v18, v8, vcc
	v_or_b32_e32 v113, 6, v40
	v_add_co_u32_e32 v9, vcc, v17, v9
	v_add_u32_e32 v29, s37, v113
	v_addc_co_u32_e32 v10, vcc, v18, v10, vcc
	v_sub_u32_e32 v19, v31, v15
	global_load_dwordx2 v[15:16], v[3:4], off
	global_load_dwordx2 v[21:22], v[5:6], off
	;; [unrolled: 1-line block ×4, first 2 shown]
	v_mul_hi_u32 v7, v29, s28
	v_sub_u32_e32 v14, v33, v11
	v_mad_u64_u32 v[11:12], s[12:13], s6, v14, 0
	v_or_b32_e32 v112, 7, v40
	v_add_u32_e32 v7, v29, v7
	v_add_u32_e32 v127, s37, v112
	v_lshrrev_b32_e32 v7, s29, v7
	v_mul_hi_u32 v9, v127, s28
	v_mad_u64_u32 v[12:13], s[12:13], s7, v14, v[12:13]
	v_mul_lo_u32 v7, v7, s30
	v_mad_u64_u32 v[13:14], s[12:13], s6, v19, 0
	v_add_u32_e32 v9, v127, v9
	v_sub_u32_e32 v10, v29, v7
	v_lshrrev_b32_e32 v9, s29, v9
	v_lshlrev_b64 v[3:4], 2, v[11:12]
	v_mov_b32_e32 v5, v14
	v_mad_u64_u32 v[7:8], s[12:13], s6, v10, 0
	v_mul_lo_u32 v11, v9, s30
	v_mad_u64_u32 v[5:6], s[12:13], s7, v19, v[5:6]
	v_mad_u64_u32 v[8:9], s[12:13], s7, v10, v[8:9]
	v_sub_u32_e32 v19, v127, v11
	v_mov_b32_e32 v14, v5
	v_mad_u64_u32 v[9:10], s[12:13], s6, v19, 0
	v_add_co_u32_e32 v3, vcc, v17, v3
	v_lshlrev_b64 v[5:6], 2, v[13:14]
	v_addc_co_u32_e32 v4, vcc, v18, v4, vcc
	v_add_co_u32_e32 v5, vcc, v17, v5
	v_addc_co_u32_e32 v6, vcc, v18, v6, vcc
	global_load_dwordx2 v[11:12], v[3:4], off
	global_load_dwordx2 v[13:14], v[5:6], off
	v_mov_b32_e32 v5, v10
	v_mad_u64_u32 v[5:6], s[6:7], s7, v19, v[5:6]
	v_lshlrev_b64 v[3:4], 2, v[7:8]
	v_mov_b32_e32 v7, 0x4400
	v_mov_b32_e32 v10, v5
	v_add_co_u32_e32 v3, vcc, v17, v3
	v_lshlrev_b64 v[5:6], 2, v[9:10]
	v_addc_co_u32_e32 v4, vcc, v18, v4, vcc
	global_load_dwordx2 v[3:4], v[3:4], off
	v_add_co_u32_e32 v5, vcc, v17, v5
	v_addc_co_u32_e32 v6, vcc, v18, v6, vcc
	global_load_dwordx2 v[5:6], v[5:6], off
	v_lshl_or_b32 v7, v0, 2, v7
	v_lshlrev_b32_e32 v18, 10, v1
	v_add_u32_e32 v8, v7, v18
	v_mov_b32_e32 v61, 0
	s_cmp_eq_u64 s[22:23], 0
	s_waitcnt vmcnt(7)
	v_fma_mixlo_f16 v10, s36, v16, 0
	v_fma_mixlo_f16 v9, s36, v15, 0
	v_lshlrev_b32_e32 v10, 16, v10
	v_or_b32_sdwa v9, v10, v9 dst_sel:DWORD dst_unused:UNUSED_PAD src0_sel:DWORD src1_sel:WORD_0
	s_waitcnt vmcnt(6)
	v_fma_mixlo_f16 v10, s36, v22, 0
	ds_write_b32 v8, v9
	v_fma_mixlo_f16 v9, s36, v21, 0
	v_lshlrev_b32_e32 v10, 16, v10
	v_lshl_add_u32 v8, v38, 7, v7
	v_or_b32_sdwa v9, v10, v9 dst_sel:DWORD dst_unused:UNUSED_PAD src0_sel:DWORD src1_sel:WORD_0
	s_waitcnt vmcnt(5)
	v_fma_mixlo_f16 v10, s36, v24, 0
	ds_write_b32 v8, v9
	v_fma_mixlo_f16 v9, s36, v23, 0
	v_lshlrev_b32_e32 v10, 16, v10
	v_lshl_add_u32 v8, v36, 7, v7
	;; [unrolled: 7-line block ×3, first 2 shown]
	v_or_b32_sdwa v9, v10, v9 dst_sel:DWORD dst_unused:UNUSED_PAD src0_sel:DWORD src1_sel:WORD_0
	ds_write_b32 v8, v9
	v_lshl_add_u32 v8, v115, 7, v7
	s_waitcnt vmcnt(3)
	v_fma_mixlo_f16 v10, s36, v12, 0
	v_fma_mixlo_f16 v9, s36, v11, 0
	v_lshlrev_b32_e32 v10, 16, v10
	v_or_b32_sdwa v9, v10, v9 dst_sel:DWORD dst_unused:UNUSED_PAD src0_sel:DWORD src1_sel:WORD_0
	s_waitcnt vmcnt(2)
	v_fma_mixlo_f16 v10, s36, v14, 0
	ds_write_b32 v8, v9
	v_fma_mixlo_f16 v9, s36, v13, 0
	v_lshlrev_b32_e32 v10, 16, v10
	v_lshl_add_u32 v8, v114, 7, v7
	v_or_b32_sdwa v9, v10, v9 dst_sel:DWORD dst_unused:UNUSED_PAD src0_sel:DWORD src1_sel:WORD_0
	ds_write_b32 v8, v9
	v_lshl_add_u32 v8, v113, 7, v7
	s_waitcnt vmcnt(1)
	v_fma_mixlo_f16 v4, s36, v4, 0
	v_fma_mixlo_f16 v3, s36, v3, 0
	v_lshlrev_b32_e32 v4, 16, v4
	v_or_b32_sdwa v3, v4, v3 dst_sel:DWORD dst_unused:UNUSED_PAD src0_sel:DWORD src1_sel:WORD_0
	ds_write_b32 v8, v3
	s_waitcnt vmcnt(0)
	v_fma_mixlo_f16 v4, s36, v5, 0
	v_fma_mixlo_f16 v5, s36, v6, 0
	v_lshlrev_b32_e32 v5, 16, v5
	v_lshl_add_u32 v3, v112, 7, v7
	v_or_b32_sdwa v4, v5, v4 dst_sel:DWORD dst_unused:UNUSED_PAD src0_sel:DWORD src1_sel:WORD_0
	ds_write_b32 v3, v4
	s_waitcnt lgkmcnt(0)
	s_barrier
	s_cbranch_scc1 .LBB52_6
; %bb.5:
	s_load_dword s6, s[4:5], 0xd0
	s_mov_b32 s7, 0
	s_waitcnt lgkmcnt(0)
	s_mul_i32 s6, s6, s33
	s_add_i32 s6, s6, s8
	s_lshl_b64 s[6:7], s[6:7], 2
	s_add_u32 s6, s22, s6
	s_addc_u32 s7, s23, s7
	s_load_dword s46, s[6:7], 0x0
.LBB52_6:
	s_nop 0
	s_load_dwordx2 s[6:7], s[4:5], 0x8c
	s_load_dwordx4 s[40:43], s[4:5], 0x98
	s_load_dwordx2 s[22:23], s[4:5], 0xa8
	s_ashr_i32 s38, s49, 1
	v_mul_lo_u32 v53, v2, s38
	s_waitcnt lgkmcnt(0)
	s_ashr_i32 s12, s6, 2
	s_ashr_i32 s6, s33, 31
	s_mul_hi_u32 s11, s40, s33
	s_mul_i32 s13, s40, s6
	s_add_i32 s11, s11, s13
	s_mul_i32 s13, s41, s33
	s_ashr_i32 s8, s42, 2
	s_add_i32 s11, s11, s13
	s_mul_i32 s13, s40, s33
	s_add_u32 s13, s14, s13
	s_mul_i32 s14, s18, s47
	s_addc_u32 s11, s15, s11
	s_sub_i32 s14, s50, s14
	s_xor_b32 s10, s35, s10
	s_add_i32 s15, s18, 1
	s_sub_i32 s19, s14, s47
	s_cmp_ge_u32 s14, s47
	s_cselect_b32 s15, s15, s18
	s_cselect_b32 s14, s19, s14
	s_add_i32 s18, s15, 1
	s_cmp_ge_u32 s14, s47
	s_cselect_b32 s14, s18, s15
	s_xor_b32 s14, s14, s10
	s_sub_i32 s10, s14, s10
	s_mul_i32 s7, s10, s7
	s_ashr_i32 s14, s7, 31
	s_add_u32 s13, s13, s7
	s_mul_hi_u32 s7, s22, s33
	s_mul_i32 s6, s22, s6
	s_addc_u32 s14, s11, s14
	s_add_i32 s6, s7, s6
	s_mul_i32 s7, s23, s33
	s_add_i32 s6, s6, s7
	s_mul_i32 s7, s22, s33
	s_add_u32 s7, s16, s7
	s_mul_i32 s10, s10, s43
	s_addc_u32 s6, s17, s6
	s_ashr_i32 s11, s10, 31
	s_add_u32 s22, s7, s10
	s_addc_u32 s23, s6, s11
	s_lshl_b32 s36, s9, 6
	s_sub_i32 s15, s46, 64
	s_cmp_ge_i32 s36, s15
	v_lshrrev_b32_e32 v63, 3, v0
	v_lshlrev_b32_e32 v19, 2, v0
	v_or_b32_e32 v51, 1, v41
	v_or_b32_e32 v49, 2, v41
	;; [unrolled: 1-line block ×7, first 2 shown]
	v_mbcnt_lo_u32_b32 v52, -1, 0
	s_cbranch_scc1 .LBB52_43
; %bb.7:
	v_mul_hi_u32 v6, s28, v51
	v_mul_hi_u32 v9, s28, v49
	;; [unrolled: 1-line block ×3, first 2 shown]
	v_lshl_add_u32 v7, v1, 2, v63
	v_add_u32_e32 v6, v51, v6
	v_lshrrev_b32_e32 v6, s29, v6
	v_mul_lo_u32 v6, v6, s30
	v_add_u32_e32 v9, v49, v9
	v_lshrrev_b32_e32 v9, s29, v9
	v_mul_lo_u32 v9, v9, s30
	v_sub_u32_e32 v6, v51, v6
	v_mul_lo_u32 v66, v6, s38
	v_mul_hi_u32 v6, s28, v32
	v_sub_u32_e32 v9, v49, v9
	v_mul_lo_u32 v67, v9, s38
	v_mul_hi_u32 v9, s28, v30
	v_add_u32_e32 v6, v32, v6
	v_lshrrev_b32_e32 v6, s29, v6
	v_mul_lo_u32 v6, v6, s30
	v_add_u32_e32 v9, v30, v9
	v_lshrrev_b32_e32 v9, s29, v9
	v_mul_lo_u32 v9, v9, s30
	v_sub_u32_e32 v6, v32, v6
	v_mul_lo_u32 v68, v6, s38
	v_mul_hi_u32 v6, s28, v118
	v_sub_u32_e32 v9, v30, v9
	v_mul_lo_u32 v69, v9, s38
	v_mul_hi_u32 v9, s28, v116
	v_add_u32_e32 v6, v118, v6
	v_lshrrev_b32_e32 v6, s29, v6
	v_add_u32_e32 v10, v117, v10
	v_mul_lo_u32 v6, v6, s30
	v_lshrrev_b32_e32 v10, s29, v10
	v_add_u32_e32 v9, v116, v9
	v_mul_lo_u32 v10, v10, s30
	v_lshrrev_b32_e32 v9, s29, v9
	v_mul_lo_u32 v9, v9, s30
	v_sub_u32_e32 v6, v118, v6
	v_mul_lo_u32 v70, v6, s38
	v_sub_u32_e32 v6, v117, v10
	;; [unrolled: 2-line block ×3, first 2 shown]
	v_mul_lo_u32 v2, s12, v7
	v_mul_lo_u32 v72, v6, s38
	;; [unrolled: 1-line block ×3, first 2 shown]
	v_and_b32_e32 v12, 28, v19
	v_lshlrev_b32_e32 v8, 2, v12
	s_movk_i32 s6, 0x90
	v_mad_u32_u24 v54, v7, s6, v8
	v_lshl_add_u32 v4, s12, 5, v2
	s_cmp_lg_u64 s[44:45], 0
	v_lshl_or_b32 v74, v7, 7, v8
	v_lshl_add_u32 v8, s8, 5, v6
	v_ashrrev_i32_e32 v3, 31, v2
	v_ashrrev_i32_e32 v5, 31, v4
	s_cselect_b64 s[6:7], -1, 0
	v_add_u32_e32 v73, 0x2400, v18
	v_lshlrev_b32_e32 v14, 4, v0
	v_ashrrev_i32_e32 v7, 31, v6
	v_ashrrev_i32_e32 v9, 31, v8
	s_add_u32 s10, s4, 0xd0
	v_lshlrev_b64 v[10:11], 2, v[2:3]
	v_lshlrev_b32_e32 v75, 2, v12
	v_lshlrev_b64 v[12:13], 2, v[4:5]
	v_cndmask_b32_e64 v2, 0, 1, s[6:7]
	v_add_u32_e32 v76, v73, v14
	v_lshlrev_b64 v[14:15], 2, v[6:7]
	v_lshlrev_b64 v[16:17], 2, v[8:9]
	v_mov_b32_e32 v42, 0
	v_add_u32_e32 v64, 0x4400, v18
	v_mul_u32_u24_e32 v65, 0x90, v0
	s_addc_u32 s11, s5, 0
	v_mov_b32_e32 v94, 0xfeffffff
	s_mov_b32 s16, 0x3fb8aa3b
	s_mov_b32 s17, 0xc2ce8ed0
	;; [unrolled: 1-line block ×4, first 2 shown]
	v_cmp_ne_u32_e64 s[6:7], 1, v2
	v_mbcnt_hi_u32_b32 v77, -1, v52
	v_mov_b32_e32 v78, 0x7f800000
	v_mov_b32_e32 v43, 0
	;; [unrolled: 1-line block ×23, first 2 shown]
.LBB52_8:                               ; =>This Inner Loop Header: Depth=1
	s_mul_hi_i32 s41, s36, s12
	s_mul_i32 s40, s36, s12
	s_lshl_b64 s[40:41], s[40:41], 2
	s_add_u32 s39, s13, s40
	s_addc_u32 s40, s14, s41
	v_mov_b32_e32 v2, s40
	v_add_co_u32_e32 v3, vcc, s39, v10
	v_addc_co_u32_e32 v4, vcc, v2, v11, vcc
	v_add_co_u32_e32 v2, vcc, v3, v75
	v_addc_co_u32_e32 v3, vcc, 0, v4, vcc
	v_mov_b32_e32 v4, s40
	v_add_co_u32_e32 v5, vcc, s39, v12
	v_addc_co_u32_e32 v6, vcc, v4, v13, vcc
	v_add_co_u32_e32 v4, vcc, v5, v75
	v_addc_co_u32_e32 v5, vcc, 0, v6, vcc
	global_load_dwordx4 v[6:9], v[2:3], off
	s_nop 0
	global_load_dwordx4 v[2:5], v[4:5], off
	v_mov_b32_e32 v100, 0
	v_mov_b32_e32 v97, 0
	;; [unrolled: 1-line block ×16, first 2 shown]
	s_and_b64 vcc, exec, s[6:7]
	s_waitcnt vmcnt(1)
	ds_write_b128 v54, v[6:9]
	v_add_u32_e32 v6, 0x1200, v54
	s_waitcnt vmcnt(0)
	ds_write_b128 v6, v[2:5]
	s_waitcnt lgkmcnt(0)
	s_barrier
	ds_read_b128 v[2:5], v65
	ds_read_b128 v[6:9], v65 offset:4608
	ds_read_b128 v[103:106], v64
	ds_read_b128 v[107:110], v64 offset:128
	ds_read_b128 v[111:114], v64 offset:256
	;; [unrolled: 1-line block ×7, first 2 shown]
	s_waitcnt lgkmcnt(7)
	;;#ASMSTART
	v_dot2_f32_f16 v100, v2, v103, v100
	;;#ASMEND
	;;#ASMSTART
	v_dot2_f32_f16 v100, v3, v104, v100
	;;#ASMEND
	;;#ASMSTART
	v_dot2_f32_f16 v100, v4, v105, v100
	;;#ASMEND
	;;#ASMSTART
	v_dot2_f32_f16 v100, v5, v106, v100
	;;#ASMEND
	s_waitcnt lgkmcnt(6)
	;;#ASMSTART
	v_dot2_f32_f16 v97, v2, v107, v97
	;;#ASMEND
	;;#ASMSTART
	v_dot2_f32_f16 v97, v3, v108, v97
	;;#ASMEND
	;;#ASMSTART
	v_dot2_f32_f16 v97, v4, v109, v97
	;;#ASMEND
	;;#ASMSTART
	v_dot2_f32_f16 v97, v5, v110, v97
	;;#ASMEND
	;; [unrolled: 13-line block ×8, first 2 shown]
	;;#ASMSTART
	v_dot2_f32_f16 v102, v6, v103, v102
	;;#ASMEND
	;;#ASMSTART
	v_dot2_f32_f16 v102, v7, v104, v102
	;;#ASMEND
	;; [unrolled: 3-line block ×32, first 2 shown]
	ds_read_b128 v[6:9], v65 offset:16
	ds_read_b128 v[2:5], v65 offset:4624
	;; [unrolled: 1-line block ×10, first 2 shown]
	s_waitcnt lgkmcnt(7)
	;;#ASMSTART
	v_dot2_f32_f16 v100, v6, v21, v100
	;;#ASMEND
	;;#ASMSTART
	v_dot2_f32_f16 v100, v7, v22, v100
	;;#ASMEND
	;;#ASMSTART
	v_dot2_f32_f16 v100, v8, v23, v100
	;;#ASMEND
	;;#ASMSTART
	v_dot2_f32_f16 v100, v9, v24, v100
	;;#ASMEND
	s_waitcnt lgkmcnt(6)
	;;#ASMSTART
	v_dot2_f32_f16 v97, v6, v25, v97
	;;#ASMEND
	;;#ASMSTART
	v_dot2_f32_f16 v97, v7, v26, v97
	;;#ASMEND
	;;#ASMSTART
	v_dot2_f32_f16 v97, v8, v27, v97
	;;#ASMEND
	;;#ASMSTART
	v_dot2_f32_f16 v97, v9, v28, v97
	;;#ASMEND
	;; [unrolled: 13-line block ×8, first 2 shown]
	;;#ASMSTART
	v_dot2_f32_f16 v102, v2, v21, v102
	;;#ASMEND
	;;#ASMSTART
	v_dot2_f32_f16 v102, v3, v22, v102
	;;#ASMEND
	;; [unrolled: 3-line block ×32, first 2 shown]
	ds_read_b128 v[6:9], v65 offset:32
	ds_read_b128 v[2:5], v65 offset:4640
	;; [unrolled: 1-line block ×10, first 2 shown]
	s_waitcnt lgkmcnt(7)
	;;#ASMSTART
	v_dot2_f32_f16 v100, v6, v21, v100
	;;#ASMEND
	;;#ASMSTART
	v_dot2_f32_f16 v100, v7, v22, v100
	;;#ASMEND
	;;#ASMSTART
	v_dot2_f32_f16 v100, v8, v23, v100
	;;#ASMEND
	;;#ASMSTART
	v_dot2_f32_f16 v100, v9, v24, v100
	;;#ASMEND
	s_waitcnt lgkmcnt(6)
	;;#ASMSTART
	v_dot2_f32_f16 v97, v6, v25, v97
	;;#ASMEND
	;;#ASMSTART
	v_dot2_f32_f16 v97, v7, v26, v97
	;;#ASMEND
	;;#ASMSTART
	v_dot2_f32_f16 v97, v8, v27, v97
	;;#ASMEND
	;;#ASMSTART
	v_dot2_f32_f16 v97, v9, v28, v97
	;;#ASMEND
	;; [unrolled: 13-line block ×8, first 2 shown]
	;;#ASMSTART
	v_dot2_f32_f16 v102, v2, v21, v102
	;;#ASMEND
	;;#ASMSTART
	v_dot2_f32_f16 v102, v3, v22, v102
	;;#ASMEND
	;; [unrolled: 3-line block ×32, first 2 shown]
	ds_read_b128 v[6:9], v65 offset:48
	ds_read_b128 v[2:5], v65 offset:4656
	;; [unrolled: 1-line block ×10, first 2 shown]
	s_waitcnt lgkmcnt(7)
	;;#ASMSTART
	v_dot2_f32_f16 v100, v6, v21, v100
	;;#ASMEND
	;;#ASMSTART
	v_dot2_f32_f16 v100, v7, v22, v100
	;;#ASMEND
	;;#ASMSTART
	v_dot2_f32_f16 v100, v8, v23, v100
	;;#ASMEND
	;;#ASMSTART
	v_dot2_f32_f16 v100, v9, v24, v100
	;;#ASMEND
	s_waitcnt lgkmcnt(6)
	;;#ASMSTART
	v_dot2_f32_f16 v97, v6, v25, v97
	;;#ASMEND
	;;#ASMSTART
	v_dot2_f32_f16 v97, v7, v26, v97
	;;#ASMEND
	;;#ASMSTART
	v_dot2_f32_f16 v97, v8, v27, v97
	;;#ASMEND
	;;#ASMSTART
	v_dot2_f32_f16 v97, v9, v28, v97
	;;#ASMEND
	;; [unrolled: 13-line block ×8, first 2 shown]
	;;#ASMSTART
	v_dot2_f32_f16 v102, v2, v21, v102
	;;#ASMEND
	;;#ASMSTART
	v_dot2_f32_f16 v102, v3, v22, v102
	;;#ASMEND
	;; [unrolled: 3-line block ×32, first 2 shown]
	ds_read_b128 v[6:9], v65 offset:64
	ds_read_b128 v[2:5], v65 offset:4672
	;; [unrolled: 1-line block ×10, first 2 shown]
	s_waitcnt lgkmcnt(7)
	;;#ASMSTART
	v_dot2_f32_f16 v100, v6, v21, v100
	;;#ASMEND
	;;#ASMSTART
	v_dot2_f32_f16 v100, v7, v22, v100
	;;#ASMEND
	;;#ASMSTART
	v_dot2_f32_f16 v100, v8, v23, v100
	;;#ASMEND
	;;#ASMSTART
	v_dot2_f32_f16 v100, v9, v24, v100
	;;#ASMEND
	s_waitcnt lgkmcnt(6)
	;;#ASMSTART
	v_dot2_f32_f16 v97, v6, v25, v97
	;;#ASMEND
	;;#ASMSTART
	v_dot2_f32_f16 v97, v7, v26, v97
	;;#ASMEND
	;;#ASMSTART
	v_dot2_f32_f16 v97, v8, v27, v97
	;;#ASMEND
	;;#ASMSTART
	v_dot2_f32_f16 v97, v9, v28, v97
	;;#ASMEND
	;; [unrolled: 13-line block ×8, first 2 shown]
	;;#ASMSTART
	v_dot2_f32_f16 v102, v2, v21, v102
	;;#ASMEND
	;;#ASMSTART
	v_dot2_f32_f16 v102, v3, v22, v102
	;;#ASMEND
	;; [unrolled: 3-line block ×32, first 2 shown]
	ds_read_b128 v[6:9], v65 offset:80
	ds_read_b128 v[2:5], v65 offset:4688
	ds_read_b128 v[21:24], v64 offset:80
	ds_read_b128 v[25:28], v64 offset:208
	ds_read_b128 v[103:106], v64 offset:336
	ds_read_b128 v[107:110], v64 offset:464
	ds_read_b128 v[111:114], v64 offset:592
	ds_read_b128 v[115:118], v64 offset:720
	ds_read_b128 v[119:122], v64 offset:848
	ds_read_b128 v[123:126], v64 offset:976
	s_waitcnt lgkmcnt(7)
	;;#ASMSTART
	v_dot2_f32_f16 v100, v6, v21, v100
	;;#ASMEND
	;;#ASMSTART
	v_dot2_f32_f16 v100, v7, v22, v100
	;;#ASMEND
	;;#ASMSTART
	v_dot2_f32_f16 v100, v8, v23, v100
	;;#ASMEND
	;;#ASMSTART
	v_dot2_f32_f16 v100, v9, v24, v100
	;;#ASMEND
	s_waitcnt lgkmcnt(6)
	;;#ASMSTART
	v_dot2_f32_f16 v97, v6, v25, v97
	;;#ASMEND
	;;#ASMSTART
	v_dot2_f32_f16 v97, v7, v26, v97
	;;#ASMEND
	;;#ASMSTART
	v_dot2_f32_f16 v97, v8, v27, v97
	;;#ASMEND
	;;#ASMSTART
	v_dot2_f32_f16 v97, v9, v28, v97
	;;#ASMEND
	;; [unrolled: 13-line block ×8, first 2 shown]
	;;#ASMSTART
	v_dot2_f32_f16 v102, v2, v21, v102
	;;#ASMEND
	;;#ASMSTART
	v_dot2_f32_f16 v102, v3, v22, v102
	;;#ASMEND
	;; [unrolled: 3-line block ×32, first 2 shown]
	ds_read_b128 v[6:9], v65 offset:96
	ds_read_b128 v[2:5], v65 offset:4704
	;; [unrolled: 1-line block ×10, first 2 shown]
	s_waitcnt lgkmcnt(7)
	;;#ASMSTART
	v_dot2_f32_f16 v100, v6, v21, v100
	;;#ASMEND
	;;#ASMSTART
	v_dot2_f32_f16 v100, v7, v22, v100
	;;#ASMEND
	;;#ASMSTART
	v_dot2_f32_f16 v100, v8, v23, v100
	;;#ASMEND
	;;#ASMSTART
	v_dot2_f32_f16 v100, v9, v24, v100
	;;#ASMEND
	s_waitcnt lgkmcnt(6)
	;;#ASMSTART
	v_dot2_f32_f16 v97, v6, v25, v97
	;;#ASMEND
	;;#ASMSTART
	v_dot2_f32_f16 v97, v7, v26, v97
	;;#ASMEND
	;;#ASMSTART
	v_dot2_f32_f16 v97, v8, v27, v97
	;;#ASMEND
	;;#ASMSTART
	v_dot2_f32_f16 v97, v9, v28, v97
	;;#ASMEND
	s_waitcnt lgkmcnt(5)
	;;#ASMSTART
	v_dot2_f32_f16 v95, v6, v103, v95
	;;#ASMEND
	;;#ASMSTART
	v_dot2_f32_f16 v95, v7, v104, v95
	;;#ASMEND
	;;#ASMSTART
	v_dot2_f32_f16 v95, v8, v105, v95
	;;#ASMEND
	;;#ASMSTART
	v_dot2_f32_f16 v95, v9, v106, v95
	;;#ASMEND
	s_waitcnt lgkmcnt(4)
	;;#ASMSTART
	v_dot2_f32_f16 v61, v6, v107, v61
	;;#ASMEND
	;;#ASMSTART
	v_dot2_f32_f16 v61, v7, v108, v61
	;;#ASMEND
	;;#ASMSTART
	v_dot2_f32_f16 v61, v8, v109, v61
	;;#ASMEND
	;;#ASMSTART
	v_dot2_f32_f16 v61, v9, v110, v61
	;;#ASMEND
	s_waitcnt lgkmcnt(3)
	;;#ASMSTART
	v_dot2_f32_f16 v59, v6, v111, v59
	;;#ASMEND
	;;#ASMSTART
	v_dot2_f32_f16 v59, v7, v112, v59
	;;#ASMEND
	;;#ASMSTART
	v_dot2_f32_f16 v59, v8, v113, v59
	;;#ASMEND
	;;#ASMSTART
	v_dot2_f32_f16 v59, v9, v114, v59
	;;#ASMEND
	s_waitcnt lgkmcnt(2)
	;;#ASMSTART
	v_dot2_f32_f16 v58, v6, v115, v58
	;;#ASMEND
	;;#ASMSTART
	v_dot2_f32_f16 v58, v7, v116, v58
	;;#ASMEND
	;;#ASMSTART
	v_dot2_f32_f16 v58, v8, v117, v58
	;;#ASMEND
	;;#ASMSTART
	v_dot2_f32_f16 v58, v9, v118, v58
	;;#ASMEND
	s_waitcnt lgkmcnt(1)
	;;#ASMSTART
	v_dot2_f32_f16 v56, v6, v119, v56
	;;#ASMEND
	;;#ASMSTART
	v_dot2_f32_f16 v56, v7, v120, v56
	;;#ASMEND
	;;#ASMSTART
	v_dot2_f32_f16 v56, v8, v121, v56
	;;#ASMEND
	;;#ASMSTART
	v_dot2_f32_f16 v56, v9, v122, v56
	;;#ASMEND
	s_waitcnt lgkmcnt(0)
	;;#ASMSTART
	v_dot2_f32_f16 v55, v6, v123, v55
	;;#ASMEND
	;;#ASMSTART
	v_dot2_f32_f16 v55, v7, v124, v55
	;;#ASMEND
	;;#ASMSTART
	v_dot2_f32_f16 v55, v8, v125, v55
	;;#ASMEND
	;;#ASMSTART
	v_dot2_f32_f16 v55, v9, v126, v55
	;;#ASMEND
	;;#ASMSTART
	v_dot2_f32_f16 v102, v2, v21, v102
	;;#ASMEND
	;;#ASMSTART
	v_dot2_f32_f16 v102, v3, v22, v102
	;;#ASMEND
	;; [unrolled: 3-line block ×32, first 2 shown]
	ds_read_b128 v[6:9], v65 offset:112
	ds_read_b128 v[2:5], v65 offset:4720
	;; [unrolled: 1-line block ×10, first 2 shown]
	s_waitcnt lgkmcnt(7)
	;;#ASMSTART
	v_dot2_f32_f16 v100, v6, v21, v100
	;;#ASMEND
	;;#ASMSTART
	v_dot2_f32_f16 v100, v7, v22, v100
	;;#ASMEND
	;;#ASMSTART
	v_dot2_f32_f16 v100, v8, v23, v100
	;;#ASMEND
	;;#ASMSTART
	v_dot2_f32_f16 v100, v9, v24, v100
	;;#ASMEND
	s_waitcnt lgkmcnt(6)
	;;#ASMSTART
	v_dot2_f32_f16 v97, v6, v25, v97
	;;#ASMEND
	;;#ASMSTART
	v_dot2_f32_f16 v97, v7, v26, v97
	;;#ASMEND
	;;#ASMSTART
	v_dot2_f32_f16 v97, v8, v27, v97
	;;#ASMEND
	;;#ASMSTART
	v_dot2_f32_f16 v97, v9, v28, v97
	;;#ASMEND
	;; [unrolled: 13-line block ×8, first 2 shown]
	;;#ASMSTART
	v_dot2_f32_f16 v102, v2, v21, v102
	;;#ASMEND
	;;#ASMSTART
	v_dot2_f32_f16 v102, v3, v22, v102
	;;#ASMEND
	;; [unrolled: 3-line block ×29, first 2 shown]
	v_add_u32_e32 v6, s36, v0
	;;#ASMSTART
	v_dot2_f32_f16 v57, v3, v124, v57
	;;#ASMEND
	v_add_u32_e32 v2, v6, v53
	;;#ASMSTART
	v_dot2_f32_f16 v57, v4, v125, v57
	;;#ASMEND
	v_ashrrev_i32_e32 v3, 31, v2
	v_mov_b32_e32 v4, 0
	;;#ASMSTART
	v_dot2_f32_f16 v57, v5, v126, v57
	;;#ASMEND
	s_cbranch_vccnz .LBB52_10
; %bb.9:                                ;   in Loop: Header=BB52_8 Depth=1
	v_lshlrev_b64 v[4:5], 1, v[2:3]
	v_mov_b32_e32 v7, s45
	v_add_co_u32_e32 v4, vcc, s44, v4
	v_addc_co_u32_e32 v5, vcc, v7, v5, vcc
	global_load_ushort v4, v[4:5], off
	s_waitcnt vmcnt(0)
	v_cvt_f32_f16_e32 v4, v4
	v_mul_f32_e32 v4, v20, v4
.LBB52_10:                              ;   in Loop: Header=BB52_8 Depth=1
	v_mov_b32_e32 v7, 0
	s_and_b64 vcc, exec, s[6:7]
	v_mov_b32_e32 v5, 0
	s_cbranch_vccnz .LBB52_12
; %bb.11:                               ;   in Loop: Header=BB52_8 Depth=1
	v_lshlrev_b64 v[2:3], 1, v[2:3]
	v_mov_b32_e32 v5, s45
	v_add_co_u32_e32 v2, vcc, s44, v2
	v_addc_co_u32_e32 v3, vcc, v5, v3, vcc
	global_load_ushort v2, v[2:3], off offset:64
	s_waitcnt vmcnt(0)
	v_cvt_f32_f16_e32 v2, v2
	v_mul_f32_e32 v5, v20, v2
.LBB52_12:                              ;   in Loop: Header=BB52_8 Depth=1
	v_and_b32_e32 v3, 0x60, v77
	v_add_f32_e32 v100, v100, v4
	v_add_u32_e32 v3, 32, v3
	v_xor_b32_e32 v4, 16, v77
	v_cmp_lt_i32_e32 vcc, v4, v3
	v_add_f32_e32 v102, v102, v5
	v_add_f32_e32 v2, 0x40051340, v100
	v_cndmask_b32_e32 v4, v77, v4, vcc
	v_add_f32_e32 v5, 0x40051340, v102
	v_lshlrev_b32_e32 v4, 2, v4
	v_max3_f32 v2, v94, v2, v5
	ds_bpermute_b32 v8, v4, v2
	v_xor_b32_e32 v5, 8, v77
	v_cmp_lt_i32_e32 vcc, v5, v3
	v_cndmask_b32_e32 v5, v77, v5, vcc
	v_lshlrev_b32_e32 v5, 2, v5
	s_waitcnt lgkmcnt(0)
	v_max_f32_e32 v8, v8, v8
	v_max_f32_e32 v2, v2, v8
	ds_bpermute_b32 v8, v5, v2
	v_xor_b32_e32 v9, 4, v77
	v_cmp_lt_i32_e32 vcc, v9, v3
	v_cndmask_b32_e32 v9, v77, v9, vcc
	v_lshlrev_b32_e32 v109, 2, v9
	s_waitcnt lgkmcnt(0)
	v_max_f32_e32 v8, v8, v8
	v_max_f32_e32 v2, v2, v8
	ds_bpermute_b32 v8, v109, v2
	v_xor_b32_e32 v9, 2, v77
	v_cmp_lt_i32_e32 vcc, v9, v3
	v_cndmask_b32_e32 v9, v77, v9, vcc
	v_lshlrev_b32_e32 v110, 2, v9
	s_waitcnt lgkmcnt(0)
	v_max_f32_e32 v8, v8, v8
	v_max_f32_e32 v2, v2, v8
	ds_bpermute_b32 v8, v110, v2
	v_xor_b32_e32 v9, 1, v77
	v_cmp_lt_i32_e32 vcc, v9, v3
	v_cndmask_b32_e32 v3, v77, v9, vcc
	v_lshlrev_b32_e32 v111, 2, v3
	s_waitcnt lgkmcnt(0)
	v_max_f32_e32 v3, v8, v8
	v_max_f32_e32 v9, v2, v3
	ds_bpermute_b32 v112, v111, v9
	v_add_u32_e32 v2, v6, v66
	s_and_b64 vcc, exec, s[6:7]
	v_ashrrev_i32_e32 v3, 31, v2
	s_cbranch_vccnz .LBB52_14
; %bb.13:                               ;   in Loop: Header=BB52_8 Depth=1
	v_lshlrev_b64 v[7:8], 1, v[2:3]
	v_mov_b32_e32 v21, s45
	v_add_co_u32_e32 v7, vcc, s44, v7
	v_addc_co_u32_e32 v8, vcc, v21, v8, vcc
	global_load_ushort v7, v[7:8], off
	s_waitcnt vmcnt(0)
	v_cvt_f32_f16_e32 v7, v7
	v_mul_f32_e32 v7, v20, v7
.LBB52_14:                              ;   in Loop: Header=BB52_8 Depth=1
	v_mov_b32_e32 v8, 0
	s_and_b64 vcc, exec, s[6:7]
	v_mov_b32_e32 v103, 0
	s_cbranch_vccnz .LBB52_16
; %bb.15:                               ;   in Loop: Header=BB52_8 Depth=1
	v_lshlrev_b64 v[2:3], 1, v[2:3]
	v_mov_b32_e32 v21, s45
	v_add_co_u32_e32 v2, vcc, s44, v2
	v_addc_co_u32_e32 v3, vcc, v21, v3, vcc
	global_load_ushort v2, v[2:3], off offset:64
	s_waitcnt vmcnt(0)
	v_cvt_f32_f16_e32 v2, v2
	v_mul_f32_e32 v103, v20, v2
.LBB52_16:                              ;   in Loop: Header=BB52_8 Depth=1
	v_add_f32_e32 v108, v97, v7
	v_add_f32_e32 v101, v101, v103
	v_add_f32_e32 v2, 0x40051340, v108
	v_add_f32_e32 v3, 0x40051340, v101
	v_max3_f32 v2, v92, v2, v3
	ds_bpermute_b32 v3, v4, v2
	s_and_b64 vcc, exec, s[6:7]
	s_waitcnt lgkmcnt(0)
	v_max_f32_e32 v3, v3, v3
	v_max_f32_e32 v2, v2, v3
	ds_bpermute_b32 v3, v5, v2
	s_waitcnt lgkmcnt(0)
	v_max_f32_e32 v3, v3, v3
	v_max_f32_e32 v2, v2, v3
	ds_bpermute_b32 v3, v109, v2
	s_waitcnt lgkmcnt(0)
	v_max_f32_e32 v3, v3, v3
	v_max_f32_e32 v2, v2, v3
	ds_bpermute_b32 v3, v110, v2
	s_waitcnt lgkmcnt(0)
	v_max_f32_e32 v3, v3, v3
	v_max_f32_e32 v113, v2, v3
	ds_bpermute_b32 v114, v111, v113
	v_add_u32_e32 v2, v6, v67
	v_ashrrev_i32_e32 v3, 31, v2
	s_cbranch_vccnz .LBB52_18
; %bb.17:                               ;   in Loop: Header=BB52_8 Depth=1
	v_lshlrev_b64 v[7:8], 1, v[2:3]
	v_mov_b32_e32 v21, s45
	v_add_co_u32_e32 v7, vcc, s44, v7
	v_addc_co_u32_e32 v8, vcc, v21, v8, vcc
	global_load_ushort v7, v[7:8], off
	s_waitcnt vmcnt(0)
	v_cvt_f32_f16_e32 v7, v7
	v_mul_f32_e32 v8, v20, v7
.LBB52_18:                              ;   in Loop: Header=BB52_8 Depth=1
	v_mov_b32_e32 v7, 0
	s_and_b64 vcc, exec, s[6:7]
	v_mov_b32_e32 v97, 0
	s_cbranch_vccnz .LBB52_20
; %bb.19:                               ;   in Loop: Header=BB52_8 Depth=1
	v_lshlrev_b64 v[2:3], 1, v[2:3]
	v_mov_b32_e32 v21, s45
	v_add_co_u32_e32 v2, vcc, s44, v2
	v_addc_co_u32_e32 v3, vcc, v21, v3, vcc
	global_load_ushort v2, v[2:3], off offset:64
	s_waitcnt vmcnt(0)
	v_cvt_f32_f16_e32 v2, v2
	v_mul_f32_e32 v97, v20, v2
.LBB52_20:                              ;   in Loop: Header=BB52_8 Depth=1
	v_add_f32_e32 v107, v95, v8
	v_add_f32_e32 v99, v99, v97
	v_add_f32_e32 v2, 0x40051340, v107
	v_add_f32_e32 v3, 0x40051340, v99
	v_max3_f32 v2, v90, v2, v3
	ds_bpermute_b32 v3, v4, v2
	s_and_b64 vcc, exec, s[6:7]
	s_waitcnt lgkmcnt(0)
	v_max_f32_e32 v3, v3, v3
	v_max_f32_e32 v2, v2, v3
	ds_bpermute_b32 v3, v5, v2
	s_waitcnt lgkmcnt(0)
	v_max_f32_e32 v3, v3, v3
	v_max_f32_e32 v2, v2, v3
	ds_bpermute_b32 v3, v109, v2
	s_waitcnt lgkmcnt(0)
	v_max_f32_e32 v3, v3, v3
	v_max_f32_e32 v2, v2, v3
	ds_bpermute_b32 v3, v110, v2
	s_waitcnt lgkmcnt(0)
	v_max_f32_e32 v3, v3, v3
	v_max_f32_e32 v115, v2, v3
	ds_bpermute_b32 v116, v111, v115
	v_add_u32_e32 v2, v6, v68
	;; [unrolled: 50-line block ×6, first 2 shown]
	v_ashrrev_i32_e32 v3, 31, v2
	s_cbranch_vccnz .LBB52_38
; %bb.37:                               ;   in Loop: Header=BB52_8 Depth=1
	v_lshlrev_b64 v[21:22], 1, v[2:3]
	v_mov_b32_e32 v6, s45
	v_add_co_u32_e32 v21, vcc, s44, v21
	v_addc_co_u32_e32 v22, vcc, v6, v22, vcc
	global_load_ushort v6, v[21:22], off
	s_waitcnt vmcnt(0)
	v_cvt_f32_f16_e32 v6, v6
	v_mul_f32_e32 v61, v20, v6
.LBB52_38:                              ;   in Loop: Header=BB52_8 Depth=1
	s_and_b64 vcc, exec, s[6:7]
	s_cbranch_vccnz .LBB52_40
; %bb.39:                               ;   in Loop: Header=BB52_8 Depth=1
	v_lshlrev_b64 v[2:3], 1, v[2:3]
	v_mov_b32_e32 v6, s45
	v_add_co_u32_e32 v2, vcc, s44, v2
	v_addc_co_u32_e32 v3, vcc, v6, v3, vcc
	global_load_ushort v2, v[2:3], off offset:64
	s_waitcnt vmcnt(0)
	v_cvt_f32_f16_e32 v2, v2
	v_mul_f32_e32 v2, v20, v2
	s_branch .LBB52_41
.LBB52_40:                              ;   in Loop: Header=BB52_8 Depth=1
	v_mov_b32_e32 v2, 0
.LBB52_41:                              ;   in Loop: Header=BB52_8 Depth=1
	v_add_f32_e32 v61, v55, v61
	v_add_f32_e32 v95, v57, v2
	;; [unrolled: 1-line block ×4, first 2 shown]
	v_max3_f32 v2, v80, v3, v2
	ds_bpermute_b32 v3, v4, v2
	s_waitcnt lgkmcnt(1)
	v_max_f32_e32 v6, v56, v56
	v_max_f32_e32 v4, v8, v8
	v_max_f32_e32 v8, v4, v6
	v_max_f32_e32 v4, v58, v58
	s_waitcnt lgkmcnt(0)
	v_max_f32_e32 v3, v3, v3
	v_max_f32_e32 v2, v2, v3
	ds_bpermute_b32 v3, v5, v2
	v_max_f32_e32 v6, v7, v7
	v_max_f32_e32 v7, v6, v4
	v_max_f32_e32 v4, v119, v119
	v_max_f32_e32 v5, v96, v96
	s_waitcnt lgkmcnt(0)
	v_max_f32_e32 v3, v3, v3
	v_max_f32_e32 v2, v2, v3
	ds_bpermute_b32 v3, v109, v2
	v_max_f32_e32 v6, v5, v4
	v_max_f32_e32 v4, v118, v118
	v_max_f32_e32 v5, v117, v117
	v_max_f32_e32 v5, v5, v4
	s_waitcnt lgkmcnt(0)
	v_max_f32_e32 v3, v3, v3
	v_max_f32_e32 v2, v2, v3
	ds_bpermute_b32 v3, v110, v2
	v_max_f32_e32 v4, v116, v116
	v_max_f32_e32 v21, v115, v115
	v_max_f32_e32 v9, v9, v9
	v_max_f32_e32 v4, v21, v4
	s_waitcnt lgkmcnt(0)
	v_max_f32_e32 v3, v3, v3
	v_max_f32_e32 v23, v2, v3
	ds_bpermute_b32 v24, v111, v23
	v_max_f32_e32 v2, v112, v112
	v_max_f32_e32 v21, v114, v114
	v_max_f32_e32 v22, v113, v113
	v_max_f32_e32 v2, v9, v2
	v_max_f32_e32 v3, v22, v21
	v_sub_f32_e32 v21, v100, v2
	s_waitcnt lgkmcnt(0)
	v_max_f32_e32 v9, v24, v24
	v_mul_f32_e32 v22, 0x3fb8aa3b, v21
	v_max_f32_e32 v9, v23, v9
	v_fma_f32 v23, v21, s16, -v22
	v_rndne_f32_e32 v24, v22
	v_fmac_f32_e32 v23, 0x32a5705f, v21
	v_sub_f32_e32 v22, v22, v24
	v_add_f32_e32 v22, v22, v23
	v_exp_f32_e32 v22, v22
	v_cvt_i32_f32_e32 v23, v24
	v_cmp_ngt_f32_e32 vcc, s17, v21
	v_sub_f32_e32 v24, v94, v2
	v_sub_f32_e32 v62, v62, v8
	v_ldexp_f32 v22, v22, v23
	v_sub_f32_e32 v23, v102, v2
	v_mul_f32_e32 v25, 0x3fb8aa3b, v23
	v_fma_f32 v26, v23, s16, -v25
	v_rndne_f32_e32 v27, v25
	v_fmac_f32_e32 v26, 0x32a5705f, v23
	v_sub_f32_e32 v25, v25, v27
	v_add_f32_e32 v25, v25, v26
	v_exp_f32_e32 v25, v25
	v_cvt_i32_f32_e32 v26, v27
	v_cndmask_b32_e32 v22, 0, v22, vcc
	v_cmp_nlt_f32_e32 vcc, s18, v21
	v_cndmask_b32_e32 v21, v78, v22, vcc
	v_ldexp_f32 v22, v25, v26
	v_mul_f32_e32 v25, 0x3fb8aa3b, v24
	v_fma_f32 v26, v24, s16, -v25
	v_rndne_f32_e32 v27, v25
	v_fmac_f32_e32 v26, 0x32a5705f, v24
	v_sub_f32_e32 v25, v25, v27
	v_add_f32_e32 v25, v25, v26
	v_cmp_ngt_f32_e32 vcc, s17, v23
	v_exp_f32_e32 v25, v25
	v_cvt_i32_f32_e32 v26, v27
	v_cndmask_b32_e32 v22, 0, v22, vcc
	v_cmp_nlt_f32_e32 vcc, s18, v23
	v_cndmask_b32_e32 v22, v78, v22, vcc
	v_add_f32_e32 v55, v21, v22
	v_cvt_f16_f32_e32 v96, v22
	v_sub_f32_e32 v22, v108, v3
	v_cvt_f16_f32_e32 v94, v21
	v_ldexp_f32 v21, v25, v26
	v_cmp_ngt_f32_e32 vcc, s17, v24
	v_mul_f32_e32 v23, 0x3fb8aa3b, v22
	v_cndmask_b32_e32 v21, 0, v21, vcc
	v_cmp_nlt_f32_e32 vcc, s18, v24
	v_fma_f32 v24, v22, s16, -v23
	v_rndne_f32_e32 v25, v23
	v_fmac_f32_e32 v24, 0x32a5705f, v22
	v_sub_f32_e32 v23, v23, v25
	v_add_f32_e32 v23, v23, v24
	v_exp_f32_e32 v23, v23
	v_cvt_i32_f32_e32 v24, v25
	v_cndmask_b32_e32 v21, v78, v21, vcc
	v_fmac_f32_e32 v55, v93, v21
	v_cvt_f16_f32_e32 v21, v21
	v_ldexp_f32 v23, v23, v24
	v_sub_f32_e32 v24, v101, v3
	v_mul_f32_e32 v25, 0x3fb8aa3b, v24
	v_fma_f32 v26, v24, s16, -v25
	v_rndne_f32_e32 v27, v25
	v_fmac_f32_e32 v26, 0x32a5705f, v24
	v_sub_f32_e32 v25, v25, v27
	v_add_f32_e32 v25, v25, v26
	v_exp_f32_e32 v25, v25
	v_cvt_i32_f32_e32 v26, v27
	v_mul_u32_u24_e32 v21, 0x10001, v21
	v_cmp_ngt_f32_e32 vcc, s17, v22
	v_pk_mul_f16 v50, v50, v21
	v_sub_f32_e32 v21, v92, v3
	v_cndmask_b32_e32 v23, 0, v23, vcc
	v_cmp_nlt_f32_e32 vcc, s18, v22
	v_cndmask_b32_e32 v22, v78, v23, vcc
	v_ldexp_f32 v23, v25, v26
	v_mul_f32_e32 v25, 0x3fb8aa3b, v21
	v_fma_f32 v26, v21, s16, -v25
	v_rndne_f32_e32 v27, v25
	v_fmac_f32_e32 v26, 0x32a5705f, v21
	v_sub_f32_e32 v25, v25, v27
	v_add_f32_e32 v25, v25, v26
	v_exp_f32_e32 v25, v25
	v_cvt_i32_f32_e32 v26, v27
	v_cmp_ngt_f32_e32 vcc, s17, v24
	v_cndmask_b32_e32 v23, 0, v23, vcc
	v_cmp_nlt_f32_e32 vcc, s18, v24
	v_cndmask_b32_e32 v23, v78, v23, vcc
	v_cvt_f16_f32_e32 v92, v22
	v_add_f32_e32 v56, v22, v23
	v_ldexp_f32 v22, v25, v26
	v_cmp_ngt_f32_e32 vcc, s17, v21
	v_cndmask_b32_e32 v22, 0, v22, vcc
	v_cmp_nlt_f32_e32 vcc, s18, v21
	v_cndmask_b32_e32 v21, v78, v22, vcc
	v_sub_f32_e32 v22, v107, v4
	v_cvt_f16_f32_e32 v93, v23
	v_mul_f32_e32 v23, 0x3fb8aa3b, v22
	v_fma_f32 v24, v22, s16, -v23
	v_rndne_f32_e32 v25, v23
	v_fmac_f32_e32 v24, 0x32a5705f, v22
	v_sub_f32_e32 v23, v23, v25
	v_add_f32_e32 v23, v23, v24
	v_exp_f32_e32 v23, v23
	v_cvt_i32_f32_e32 v24, v25
	v_fmac_f32_e32 v56, v91, v21
	v_cvt_f16_f32_e32 v21, v21
	v_cmp_ngt_f32_e32 vcc, s17, v22
	v_ldexp_f32 v23, v23, v24
	v_sub_f32_e32 v24, v99, v4
	v_mul_f32_e32 v25, 0x3fb8aa3b, v24
	v_fma_f32 v26, v24, s16, -v25
	v_rndne_f32_e32 v27, v25
	v_fmac_f32_e32 v26, 0x32a5705f, v24
	v_sub_f32_e32 v25, v25, v27
	v_add_f32_e32 v25, v25, v26
	v_exp_f32_e32 v25, v25
	v_cvt_i32_f32_e32 v26, v27
	v_mul_u32_u24_e32 v21, 0x10001, v21
	v_pk_mul_f16 v48, v48, v21
	v_sub_f32_e32 v21, v90, v4
	v_cndmask_b32_e32 v23, 0, v23, vcc
	v_cmp_nlt_f32_e32 vcc, s18, v22
	v_cndmask_b32_e32 v22, v78, v23, vcc
	v_ldexp_f32 v23, v25, v26
	v_mul_f32_e32 v25, 0x3fb8aa3b, v21
	v_fma_f32 v26, v21, s16, -v25
	v_rndne_f32_e32 v27, v25
	v_fmac_f32_e32 v26, 0x32a5705f, v21
	v_sub_f32_e32 v25, v25, v27
	v_add_f32_e32 v25, v25, v26
	v_exp_f32_e32 v25, v25
	v_cvt_i32_f32_e32 v26, v27
	v_cmp_ngt_f32_e32 vcc, s17, v24
	v_cndmask_b32_e32 v23, 0, v23, vcc
	v_cmp_nlt_f32_e32 vcc, s18, v24
	v_cndmask_b32_e32 v23, v78, v23, vcc
	v_cvt_f16_f32_e32 v90, v22
	v_add_f32_e32 v57, v22, v23
	v_ldexp_f32 v22, v25, v26
	v_cmp_ngt_f32_e32 vcc, s17, v21
	v_cndmask_b32_e32 v22, 0, v22, vcc
	v_cmp_nlt_f32_e32 vcc, s18, v21
	v_cndmask_b32_e32 v21, v78, v22, vcc
	v_sub_f32_e32 v22, v106, v5
	v_cvt_f16_f32_e32 v91, v23
	v_mul_f32_e32 v23, 0x3fb8aa3b, v22
	v_fma_f32 v24, v22, s16, -v23
	v_rndne_f32_e32 v25, v23
	v_fmac_f32_e32 v24, 0x32a5705f, v22
	v_sub_f32_e32 v23, v23, v25
	v_add_f32_e32 v23, v23, v24
	v_exp_f32_e32 v23, v23
	v_cvt_i32_f32_e32 v24, v25
	v_fmac_f32_e32 v57, v89, v21
	v_cvt_f16_f32_e32 v21, v21
	v_cmp_ngt_f32_e32 vcc, s17, v22
	v_ldexp_f32 v23, v23, v24
	v_sub_f32_e32 v24, v98, v5
	v_mul_f32_e32 v25, 0x3fb8aa3b, v24
	v_fma_f32 v26, v24, s16, -v25
	v_rndne_f32_e32 v27, v25
	v_fmac_f32_e32 v26, 0x32a5705f, v24
	v_sub_f32_e32 v25, v25, v27
	v_add_f32_e32 v25, v25, v26
	v_exp_f32_e32 v25, v25
	v_cvt_i32_f32_e32 v26, v27
	v_mul_u32_u24_e32 v21, 0x10001, v21
	;; [unrolled: 49-line block ×4, first 2 shown]
	v_pk_mul_f16 v45, v45, v21
	v_sub_f32_e32 v21, v84, v7
	v_cndmask_b32_e32 v23, 0, v23, vcc
	v_cmp_nlt_f32_e32 vcc, s18, v22
	v_cndmask_b32_e32 v22, v78, v23, vcc
	v_ldexp_f32 v23, v25, v26
	v_mul_f32_e32 v25, 0x3fb8aa3b, v21
	v_fma_f32 v26, v21, s16, -v25
	v_rndne_f32_e32 v27, v25
	v_fmac_f32_e32 v26, 0x32a5705f, v21
	v_sub_f32_e32 v25, v25, v27
	v_add_f32_e32 v25, v25, v26
	v_exp_f32_e32 v25, v25
	v_cvt_i32_f32_e32 v26, v27
	v_cmp_ngt_f32_e32 vcc, s17, v24
	v_cndmask_b32_e32 v23, 0, v23, vcc
	v_cmp_nlt_f32_e32 vcc, s18, v24
	v_cndmask_b32_e32 v23, v78, v23, vcc
	v_cvt_f16_f32_e32 v84, v22
	v_add_f32_e32 v59, v22, v23
	v_ldexp_f32 v22, v25, v26
	v_cmp_ngt_f32_e32 vcc, s17, v21
	v_cndmask_b32_e32 v22, 0, v22, vcc
	v_cmp_nlt_f32_e32 vcc, s18, v21
	v_cndmask_b32_e32 v21, v78, v22, vcc
	v_sub_f32_e32 v22, v103, v8
	v_cvt_f16_f32_e32 v85, v23
	v_mul_f32_e32 v23, 0x3fb8aa3b, v22
	v_fma_f32 v24, v22, s16, -v23
	v_rndne_f32_e32 v25, v23
	v_fmac_f32_e32 v24, 0x32a5705f, v22
	v_sub_f32_e32 v23, v23, v25
	v_fmac_f32_e32 v59, v83, v21
	v_cvt_f16_f32_e32 v21, v21
	v_add_f32_e32 v23, v23, v24
	v_exp_f32_e32 v23, v23
	v_cvt_i32_f32_e32 v24, v25
	v_mul_u32_u24_e32 v21, 0x10001, v21
	v_pk_mul_f16 v44, v44, v21
	s_mul_hi_i32 s41, s36, s8
	v_ldexp_f32 v21, v23, v24
	v_mul_f32_e32 v23, 0x3fb8aa3b, v62
	v_fma_f32 v24, v62, s16, -v23
	v_rndne_f32_e32 v25, v23
	v_fmac_f32_e32 v24, 0x32a5705f, v62
	v_sub_f32_e32 v23, v23, v25
	v_add_f32_e32 v23, v23, v24
	v_exp_f32_e32 v23, v23
	v_cvt_i32_f32_e32 v24, v25
	s_mul_i32 s40, s36, s8
	v_cmp_ngt_f32_e32 vcc, s17, v22
	s_lshl_b64 s[40:41], s[40:41], 2
	v_cndmask_b32_e32 v21, 0, v21, vcc
	v_cmp_nlt_f32_e32 vcc, s18, v22
	s_add_u32 s39, s22, s40
	v_cndmask_b32_e32 v83, v78, v21, vcc
	v_ldexp_f32 v21, v23, v24
	v_cmp_ngt_f32_e32 vcc, s17, v62
	s_addc_u32 s40, s23, s41
	v_cndmask_b32_e32 v98, 0, v21, vcc
	v_mov_b32_e32 v21, s40
	v_add_co_u32_e32 v22, vcc, s39, v14
	v_addc_co_u32_e32 v23, vcc, v21, v15, vcc
	v_add_co_u32_e32 v21, vcc, v22, v75
	v_addc_co_u32_e32 v22, vcc, 0, v23, vcc
	v_mov_b32_e32 v23, s40
	v_add_co_u32_e32 v24, vcc, s39, v16
	v_addc_co_u32_e32 v23, vcc, v23, v17, vcc
	v_add_co_u32_e32 v25, vcc, v24, v75
	v_addc_co_u32_e32 v26, vcc, 0, v23, vcc
	s_barrier
	global_load_dwordx4 v[21:24], v[21:22], off
	s_nop 0
	global_load_dwordx4 v[25:28], v[25:26], off
	v_sub_f32_e32 v82, v82, v8
	v_mul_f32_e32 v99, 0x3fb8aa3b, v82
	v_fma_f32 v100, v82, s16, -v99
	v_rndne_f32_e32 v101, v99
	v_fmac_f32_e32 v100, 0x32a5705f, v82
	v_sub_f32_e32 v99, v99, v101
	v_add_f32_e32 v99, v99, v100
	v_exp_f32_e32 v99, v99
	v_cvt_i32_f32_e32 v100, v101
	v_cmp_nlt_f32_e32 vcc, s18, v62
	v_cndmask_b32_e32 v98, v78, v98, vcc
	v_cvt_f16_f32_e32 v97, v83
	v_add_f32_e32 v62, v83, v98
	v_cvt_f16_f32_e32 v83, v98
	v_ldexp_f32 v98, v99, v100
	v_cmp_ngt_f32_e32 vcc, s17, v82
	v_cndmask_b32_e32 v98, 0, v98, vcc
	v_cmp_nlt_f32_e32 vcc, s18, v82
	v_cndmask_b32_e32 v82, v78, v98, vcc
	v_sub_f32_e32 v61, v61, v9
	v_fmac_f32_e32 v62, v81, v82
	v_cvt_f16_f32_e32 v81, v82
	v_mul_f32_e32 v82, 0x3fb8aa3b, v61
	v_fma_f32 v98, v61, s16, -v82
	v_rndne_f32_e32 v99, v82
	v_fmac_f32_e32 v98, 0x32a5705f, v61
	v_sub_f32_e32 v82, v82, v99
	v_add_f32_e32 v82, v82, v98
	v_exp_f32_e32 v82, v82
	v_cvt_i32_f32_e32 v98, v99
	v_mul_u32_u24_e32 v81, 0x10001, v81
	v_pk_mul_f16 v99, v43, v81
	v_sub_f32_e32 v81, v95, v9
	v_sub_f32_e32 v43, v80, v9
	v_ldexp_f32 v80, v82, v98
	v_mul_f32_e32 v82, 0x3fb8aa3b, v81
	v_fma_f32 v95, v81, s16, -v82
	v_rndne_f32_e32 v98, v82
	v_fmac_f32_e32 v95, 0x32a5705f, v81
	v_sub_f32_e32 v82, v82, v98
	v_add_f32_e32 v82, v82, v95
	v_exp_f32_e32 v82, v82
	v_cvt_i32_f32_e32 v95, v98
	v_cmp_ngt_f32_e32 vcc, s17, v61
	v_cndmask_b32_e32 v80, 0, v80, vcc
	v_cmp_nlt_f32_e32 vcc, s18, v61
	v_ldexp_f32 v82, v82, v95
	v_mul_f32_e32 v95, 0x3fb8aa3b, v43
	v_fma_f32 v98, v43, s16, -v95
	v_rndne_f32_e32 v100, v95
	v_fmac_f32_e32 v98, 0x32a5705f, v43
	v_sub_f32_e32 v95, v95, v100
	v_add_f32_e32 v95, v95, v98
	v_exp_f32_e32 v95, v95
	v_cvt_i32_f32_e32 v98, v100
	v_cndmask_b32_e32 v61, v78, v80, vcc
	v_cmp_ngt_f32_e32 vcc, s17, v81
	v_cndmask_b32_e32 v82, 0, v82, vcc
	v_cmp_nlt_f32_e32 vcc, s18, v81
	v_cndmask_b32_e32 v81, v78, v82, vcc
	v_ldexp_f32 v82, v95, v98
	v_cmp_ngt_f32_e32 vcc, s17, v43
	v_cndmask_b32_e32 v82, 0, v82, vcc
	v_cmp_nlt_f32_e32 vcc, s18, v43
	v_cndmask_b32_e32 v43, v78, v82, vcc
	v_cvt_f16_f32_e32 v80, v61
	v_cvt_f16_f32_e32 v82, v43
	;; [unrolled: 1-line block ×3, first 2 shown]
	v_add_f32_e32 v61, v61, v81
	v_fmac_f32_e32 v61, v79, v43
	v_mul_u32_u24_e32 v43, 0x10001, v82
	v_pack_b32_f16 v82, v97, v80
	v_pack_b32_f16 v81, v86, v84
	;; [unrolled: 1-line block ×4, first 2 shown]
	ds_write_b128 v76, v[79:82]
	v_pack_b32_f16 v82, v83, v95
	v_pack_b32_f16 v81, v87, v85
	;; [unrolled: 1-line block ×4, first 2 shown]
	ds_write_b128 v76, v[79:82] offset:512
	s_waitcnt vmcnt(1)
	ds_write_b128 v74, v[21:24]
	v_add_u32_e32 v21, 0x1000, v74
	v_pk_mul_f16 v98, v42, v43
	s_waitcnt vmcnt(0)
	ds_write_b128 v21, v[25:28]
	s_waitcnt lgkmcnt(0)
	s_barrier
	ds_read_b128 v[21:24], v73
	ds_read2_b32 v[42:43], v19 offset1:32
	ds_read_b128 v[25:28], v73 offset:16
	ds_read_b128 v[79:82], v73 offset:32
	;; [unrolled: 1-line block ×3, first 2 shown]
	s_waitcnt lgkmcnt(4)
	v_mul_u32_u24_sdwa v87, v21, s19 dst_sel:DWORD dst_unused:UNUSED_PAD src0_sel:WORD_0 src1_sel:DWORD
	v_mul_u32_u24_sdwa v21, v21, s19 dst_sel:DWORD dst_unused:UNUSED_PAD src0_sel:WORD_1 src1_sel:DWORD
	v_mul_u32_u24_sdwa v88, v22, s19 dst_sel:DWORD dst_unused:UNUSED_PAD src0_sel:WORD_0 src1_sel:DWORD
	v_mul_u32_u24_sdwa v22, v22, s19 dst_sel:DWORD dst_unused:UNUSED_PAD src0_sel:WORD_1 src1_sel:DWORD
	;; [unrolled: 2-line block ×4, first 2 shown]
	s_waitcnt lgkmcnt(3)
	v_pk_fma_f16 v50, v42, v87, v50
	v_pk_fma_f16 v21, v42, v21, v48
	;; [unrolled: 1-line block ×8, first 2 shown]
	s_waitcnt lgkmcnt(2)
	v_mul_u32_u24_sdwa v42, v25, s19 dst_sel:DWORD dst_unused:UNUSED_PAD src0_sel:WORD_0 src1_sel:DWORD
	v_mul_u32_u24_sdwa v25, v25, s19 dst_sel:DWORD dst_unused:UNUSED_PAD src0_sel:WORD_1 src1_sel:DWORD
	v_mul_u32_u24_sdwa v87, v28, s19 dst_sel:DWORD dst_unused:UNUSED_PAD src0_sel:WORD_0 src1_sel:DWORD
	v_mul_u32_u24_sdwa v28, v28, s19 dst_sel:DWORD dst_unused:UNUSED_PAD src0_sel:WORD_1 src1_sel:DWORD
	v_pk_fma_f16 v21, v43, v25, v21
	v_pk_fma_f16 v28, v43, v28, v24
	ds_read2_b32 v[24:25], v19 offset0:64 offset1:96
	v_mul_u32_u24_sdwa v46, v26, s19 dst_sel:DWORD dst_unused:UNUSED_PAD src0_sel:WORD_0 src1_sel:DWORD
	v_mul_u32_u24_sdwa v26, v26, s19 dst_sel:DWORD dst_unused:UNUSED_PAD src0_sel:WORD_1 src1_sel:DWORD
	v_mul_u32_u24_sdwa v48, v27, s19 dst_sel:DWORD dst_unused:UNUSED_PAD src0_sel:WORD_0 src1_sel:DWORD
	v_mul_u32_u24_sdwa v27, v27, s19 dst_sel:DWORD dst_unused:UNUSED_PAD src0_sel:WORD_1 src1_sel:DWORD
	v_pk_fma_f16 v42, v43, v42, v50
	v_pk_fma_f16 v46, v43, v46, v47
	;; [unrolled: 1-line block ×6, first 2 shown]
	s_waitcnt lgkmcnt(2)
	v_mul_u32_u24_sdwa v43, v79, s19 dst_sel:DWORD dst_unused:UNUSED_PAD src0_sel:WORD_0 src1_sel:DWORD
	v_mul_u32_u24_sdwa v44, v79, s19 dst_sel:DWORD dst_unused:UNUSED_PAD src0_sel:WORD_1 src1_sel:DWORD
	v_mul_u32_u24_sdwa v45, v80, s19 dst_sel:DWORD dst_unused:UNUSED_PAD src0_sel:WORD_0 src1_sel:DWORD
	v_mul_u32_u24_sdwa v47, v80, s19 dst_sel:DWORD dst_unused:UNUSED_PAD src0_sel:WORD_1 src1_sel:DWORD
	v_mul_u32_u24_sdwa v48, v81, s19 dst_sel:DWORD dst_unused:UNUSED_PAD src0_sel:WORD_0 src1_sel:DWORD
	v_mul_u32_u24_sdwa v50, v81, s19 dst_sel:DWORD dst_unused:UNUSED_PAD src0_sel:WORD_1 src1_sel:DWORD
	v_mul_u32_u24_sdwa v79, v82, s19 dst_sel:DWORD dst_unused:UNUSED_PAD src0_sel:WORD_0 src1_sel:DWORD
	v_mul_u32_u24_sdwa v80, v82, s19 dst_sel:DWORD dst_unused:UNUSED_PAD src0_sel:WORD_1 src1_sel:DWORD
	s_waitcnt lgkmcnt(0)
	v_pk_fma_f16 v42, v24, v43, v42
	v_pk_fma_f16 v21, v24, v44, v21
	;; [unrolled: 1-line block ×8, first 2 shown]
	v_mul_u32_u24_sdwa v24, v83, s19 dst_sel:DWORD dst_unused:UNUSED_PAD src0_sel:WORD_0 src1_sel:DWORD
	v_mul_u32_u24_sdwa v44, v83, s19 dst_sel:DWORD dst_unused:UNUSED_PAD src0_sel:WORD_1 src1_sel:DWORD
	v_mul_u32_u24_sdwa v46, v84, s19 dst_sel:DWORD dst_unused:UNUSED_PAD src0_sel:WORD_1 src1_sel:DWORD
	;; [unrolled: 1-line block ×3, first 2 shown]
	v_mul_u32_u24_sdwa v45, v84, s19 dst_sel:DWORD dst_unused:UNUSED_PAD src0_sel:WORD_0 src1_sel:DWORD
	v_mul_u32_u24_sdwa v47, v85, s19 dst_sel:DWORD dst_unused:UNUSED_PAD src0_sel:WORD_0 src1_sel:DWORD
	v_mul_u32_u24_sdwa v50, v86, s19 dst_sel:DWORD dst_unused:UNUSED_PAD src0_sel:WORD_0 src1_sel:DWORD
	v_mul_u32_u24_sdwa v79, v86, s19 dst_sel:DWORD dst_unused:UNUSED_PAD src0_sel:WORD_1 src1_sel:DWORD
	v_pk_fma_f16 v80, v25, v24, v42
	v_pk_fma_f16 v44, v25, v44, v21
	;; [unrolled: 1-line block ×4, first 2 shown]
	ds_read_b128 v[21:24], v73 offset:64
	v_pk_fma_f16 v45, v25, v45, v43
	v_pk_fma_f16 v47, v25, v47, v26
	;; [unrolled: 1-line block ×4, first 2 shown]
	ds_read2_b32 v[42:43], v19 offset0:128 offset1:160
	ds_read_b128 v[25:28], v73 offset:80
	s_waitcnt lgkmcnt(2)
	v_mul_u32_u24_sdwa v81, v21, s19 dst_sel:DWORD dst_unused:UNUSED_PAD src0_sel:WORD_0 src1_sel:DWORD
	v_mul_u32_u24_sdwa v21, v21, s19 dst_sel:DWORD dst_unused:UNUSED_PAD src0_sel:WORD_1 src1_sel:DWORD
	v_mul_u32_u24_sdwa v82, v22, s19 dst_sel:DWORD dst_unused:UNUSED_PAD src0_sel:WORD_0 src1_sel:DWORD
	v_mul_u32_u24_sdwa v22, v22, s19 dst_sel:DWORD dst_unused:UNUSED_PAD src0_sel:WORD_1 src1_sel:DWORD
	;; [unrolled: 2-line block ×4, first 2 shown]
	s_waitcnt lgkmcnt(1)
	v_pk_fma_f16 v80, v42, v81, v80
	v_pk_fma_f16 v21, v42, v21, v44
	v_pk_fma_f16 v44, v42, v82, v45
	v_pk_fma_f16 v22, v42, v22, v46
	v_pk_fma_f16 v45, v42, v83, v47
	v_pk_fma_f16 v23, v42, v23, v48
	v_pk_fma_f16 v46, v42, v84, v50
	v_pk_fma_f16 v42, v42, v24, v79
	s_waitcnt lgkmcnt(0)
	v_mul_u32_u24_sdwa v24, v25, s19 dst_sel:DWORD dst_unused:UNUSED_PAD src0_sel:WORD_0 src1_sel:DWORD
	v_mul_u32_u24_sdwa v25, v25, s19 dst_sel:DWORD dst_unused:UNUSED_PAD src0_sel:WORD_1 src1_sel:DWORD
	v_mul_u32_u24_sdwa v47, v26, s19 dst_sel:DWORD dst_unused:UNUSED_PAD src0_sel:WORD_0 src1_sel:DWORD
	v_mul_u32_u24_sdwa v26, v26, s19 dst_sel:DWORD dst_unused:UNUSED_PAD src0_sel:WORD_1 src1_sel:DWORD
	;; [unrolled: 2-line block ×4, first 2 shown]
	v_pk_fma_f16 v79, v43, v24, v80
	v_pk_fma_f16 v80, v43, v25, v21
	;; [unrolled: 1-line block ×6, first 2 shown]
	ds_read_b128 v[21:24], v73 offset:96
	v_pk_fma_f16 v46, v43, v50, v46
	v_pk_fma_f16 v50, v43, v28, v42
	ds_read2_b32 v[42:43], v19 offset0:192 offset1:224
	ds_read_b128 v[25:28], v73 offset:112
	s_waitcnt lgkmcnt(2)
	v_mul_u32_u24_sdwa v81, v21, s19 dst_sel:DWORD dst_unused:UNUSED_PAD src0_sel:WORD_0 src1_sel:DWORD
	v_mul_u32_u24_sdwa v21, v21, s19 dst_sel:DWORD dst_unused:UNUSED_PAD src0_sel:WORD_1 src1_sel:DWORD
	v_mul_u32_u24_sdwa v82, v22, s19 dst_sel:DWORD dst_unused:UNUSED_PAD src0_sel:WORD_0 src1_sel:DWORD
	v_mul_u32_u24_sdwa v22, v22, s19 dst_sel:DWORD dst_unused:UNUSED_PAD src0_sel:WORD_1 src1_sel:DWORD
	;; [unrolled: 2-line block ×4, first 2 shown]
	s_waitcnt lgkmcnt(1)
	v_pk_fma_f16 v79, v42, v81, v79
	v_pk_fma_f16 v21, v42, v21, v80
	v_pk_fma_f16 v44, v42, v82, v44
	v_pk_fma_f16 v22, v42, v22, v47
	v_pk_fma_f16 v45, v42, v83, v45
	v_pk_fma_f16 v23, v42, v23, v48
	v_pk_fma_f16 v46, v42, v84, v46
	v_pk_fma_f16 v42, v42, v24, v50
	s_waitcnt lgkmcnt(0)
	v_mul_u32_u24_sdwa v24, v25, s19 dst_sel:DWORD dst_unused:UNUSED_PAD src0_sel:WORD_0 src1_sel:DWORD
	v_mul_u32_u24_sdwa v25, v25, s19 dst_sel:DWORD dst_unused:UNUSED_PAD src0_sel:WORD_1 src1_sel:DWORD
	v_mul_u32_u24_sdwa v47, v26, s19 dst_sel:DWORD dst_unused:UNUSED_PAD src0_sel:WORD_0 src1_sel:DWORD
	v_mul_u32_u24_sdwa v26, v26, s19 dst_sel:DWORD dst_unused:UNUSED_PAD src0_sel:WORD_1 src1_sel:DWORD
	;; [unrolled: 2-line block ×4, first 2 shown]
	v_pk_fma_f16 v79, v43, v24, v79
	v_pk_fma_f16 v80, v43, v25, v21
	;; [unrolled: 1-line block ×6, first 2 shown]
	ds_read_b128 v[21:24], v73 offset:128
	v_add_u32_e32 v81, 0x400, v19
	v_pk_fma_f16 v46, v43, v50, v46
	v_pk_fma_f16 v50, v43, v28, v42
	ds_read2_b32 v[42:43], v81 offset1:32
	ds_read_b128 v[25:28], v73 offset:144
	s_waitcnt lgkmcnt(2)
	v_mul_u32_u24_sdwa v82, v21, s19 dst_sel:DWORD dst_unused:UNUSED_PAD src0_sel:WORD_0 src1_sel:DWORD
	v_mul_u32_u24_sdwa v21, v21, s19 dst_sel:DWORD dst_unused:UNUSED_PAD src0_sel:WORD_1 src1_sel:DWORD
	v_mul_u32_u24_sdwa v83, v22, s19 dst_sel:DWORD dst_unused:UNUSED_PAD src0_sel:WORD_0 src1_sel:DWORD
	v_mul_u32_u24_sdwa v22, v22, s19 dst_sel:DWORD dst_unused:UNUSED_PAD src0_sel:WORD_1 src1_sel:DWORD
	v_mul_u32_u24_sdwa v84, v23, s19 dst_sel:DWORD dst_unused:UNUSED_PAD src0_sel:WORD_0 src1_sel:DWORD
	v_mul_u32_u24_sdwa v23, v23, s19 dst_sel:DWORD dst_unused:UNUSED_PAD src0_sel:WORD_1 src1_sel:DWORD
	v_mul_u32_u24_sdwa v85, v24, s19 dst_sel:DWORD dst_unused:UNUSED_PAD src0_sel:WORD_0 src1_sel:DWORD
	v_mul_u32_u24_sdwa v24, v24, s19 dst_sel:DWORD dst_unused:UNUSED_PAD src0_sel:WORD_1 src1_sel:DWORD
	s_waitcnt lgkmcnt(1)
	v_pk_fma_f16 v79, v42, v82, v79
	v_pk_fma_f16 v21, v42, v21, v80
	v_pk_fma_f16 v44, v42, v83, v44
	v_pk_fma_f16 v22, v42, v22, v47
	v_pk_fma_f16 v45, v42, v84, v45
	v_pk_fma_f16 v23, v42, v23, v48
	v_pk_fma_f16 v46, v42, v85, v46
	v_pk_fma_f16 v42, v42, v24, v50
	s_waitcnt lgkmcnt(0)
	v_mul_u32_u24_sdwa v24, v25, s19 dst_sel:DWORD dst_unused:UNUSED_PAD src0_sel:WORD_0 src1_sel:DWORD
	v_mul_u32_u24_sdwa v25, v25, s19 dst_sel:DWORD dst_unused:UNUSED_PAD src0_sel:WORD_1 src1_sel:DWORD
	v_mul_u32_u24_sdwa v47, v26, s19 dst_sel:DWORD dst_unused:UNUSED_PAD src0_sel:WORD_0 src1_sel:DWORD
	v_mul_u32_u24_sdwa v26, v26, s19 dst_sel:DWORD dst_unused:UNUSED_PAD src0_sel:WORD_1 src1_sel:DWORD
	v_mul_u32_u24_sdwa v48, v27, s19 dst_sel:DWORD dst_unused:UNUSED_PAD src0_sel:WORD_0 src1_sel:DWORD
	v_mul_u32_u24_sdwa v27, v27, s19 dst_sel:DWORD dst_unused:UNUSED_PAD src0_sel:WORD_1 src1_sel:DWORD
	v_mul_u32_u24_sdwa v50, v28, s19 dst_sel:DWORD dst_unused:UNUSED_PAD src0_sel:WORD_0 src1_sel:DWORD
	v_mul_u32_u24_sdwa v28, v28, s19 dst_sel:DWORD dst_unused:UNUSED_PAD src0_sel:WORD_1 src1_sel:DWORD
	v_pk_fma_f16 v79, v43, v24, v79
	v_pk_fma_f16 v80, v43, v25, v21
	v_pk_fma_f16 v44, v43, v47, v44
	v_pk_fma_f16 v47, v43, v26, v22
	v_pk_fma_f16 v45, v43, v48, v45
	v_pk_fma_f16 v48, v43, v27, v23
	ds_read_b128 v[21:24], v73 offset:160
	v_pk_fma_f16 v46, v43, v50, v46
	v_pk_fma_f16 v50, v43, v28, v42
	ds_read2_b32 v[42:43], v81 offset0:64 offset1:96
	ds_read_b128 v[25:28], v73 offset:176
	s_waitcnt lgkmcnt(2)
	v_mul_u32_u24_sdwa v82, v21, s19 dst_sel:DWORD dst_unused:UNUSED_PAD src0_sel:WORD_0 src1_sel:DWORD
	v_mul_u32_u24_sdwa v21, v21, s19 dst_sel:DWORD dst_unused:UNUSED_PAD src0_sel:WORD_1 src1_sel:DWORD
	v_mul_u32_u24_sdwa v83, v22, s19 dst_sel:DWORD dst_unused:UNUSED_PAD src0_sel:WORD_0 src1_sel:DWORD
	v_mul_u32_u24_sdwa v22, v22, s19 dst_sel:DWORD dst_unused:UNUSED_PAD src0_sel:WORD_1 src1_sel:DWORD
	v_mul_u32_u24_sdwa v84, v23, s19 dst_sel:DWORD dst_unused:UNUSED_PAD src0_sel:WORD_0 src1_sel:DWORD
	v_mul_u32_u24_sdwa v23, v23, s19 dst_sel:DWORD dst_unused:UNUSED_PAD src0_sel:WORD_1 src1_sel:DWORD
	v_mul_u32_u24_sdwa v85, v24, s19 dst_sel:DWORD dst_unused:UNUSED_PAD src0_sel:WORD_0 src1_sel:DWORD
	v_mul_u32_u24_sdwa v24, v24, s19 dst_sel:DWORD dst_unused:UNUSED_PAD src0_sel:WORD_1 src1_sel:DWORD
	s_waitcnt lgkmcnt(1)
	v_pk_fma_f16 v79, v42, v82, v79
	v_pk_fma_f16 v21, v42, v21, v80
	v_pk_fma_f16 v44, v42, v83, v44
	v_pk_fma_f16 v22, v42, v22, v47
	v_pk_fma_f16 v45, v42, v84, v45
	v_pk_fma_f16 v23, v42, v23, v48
	v_pk_fma_f16 v46, v42, v85, v46
	v_pk_fma_f16 v42, v42, v24, v50
	s_waitcnt lgkmcnt(0)
	v_mul_u32_u24_sdwa v24, v25, s19 dst_sel:DWORD dst_unused:UNUSED_PAD src0_sel:WORD_0 src1_sel:DWORD
	v_mul_u32_u24_sdwa v25, v25, s19 dst_sel:DWORD dst_unused:UNUSED_PAD src0_sel:WORD_1 src1_sel:DWORD
	v_mul_u32_u24_sdwa v47, v26, s19 dst_sel:DWORD dst_unused:UNUSED_PAD src0_sel:WORD_0 src1_sel:DWORD
	v_mul_u32_u24_sdwa v26, v26, s19 dst_sel:DWORD dst_unused:UNUSED_PAD src0_sel:WORD_1 src1_sel:DWORD
	v_mul_u32_u24_sdwa v48, v27, s19 dst_sel:DWORD dst_unused:UNUSED_PAD src0_sel:WORD_0 src1_sel:DWORD
	v_mul_u32_u24_sdwa v27, v27, s19 dst_sel:DWORD dst_unused:UNUSED_PAD src0_sel:WORD_1 src1_sel:DWORD
	v_mul_u32_u24_sdwa v50, v28, s19 dst_sel:DWORD dst_unused:UNUSED_PAD src0_sel:WORD_0 src1_sel:DWORD
	v_mul_u32_u24_sdwa v28, v28, s19 dst_sel:DWORD dst_unused:UNUSED_PAD src0_sel:WORD_1 src1_sel:DWORD
	v_pk_fma_f16 v79, v43, v24, v79
	v_pk_fma_f16 v80, v43, v25, v21
	v_pk_fma_f16 v44, v43, v47, v44
	v_pk_fma_f16 v47, v43, v26, v22
	v_pk_fma_f16 v45, v43, v48, v45
	v_pk_fma_f16 v48, v43, v27, v23
	ds_read_b128 v[21:24], v73 offset:192
	v_pk_fma_f16 v46, v43, v50, v46
	v_pk_fma_f16 v50, v43, v28, v42
	ds_read2_b32 v[42:43], v81 offset0:128 offset1:160
	;; [unrolled: 38-line block ×3, first 2 shown]
	ds_read_b128 v[25:28], v73 offset:240
	s_waitcnt lgkmcnt(2)
	v_mul_u32_u24_sdwa v81, v21, s19 dst_sel:DWORD dst_unused:UNUSED_PAD src0_sel:WORD_0 src1_sel:DWORD
	v_mul_u32_u24_sdwa v21, v21, s19 dst_sel:DWORD dst_unused:UNUSED_PAD src0_sel:WORD_1 src1_sel:DWORD
	v_mul_u32_u24_sdwa v82, v22, s19 dst_sel:DWORD dst_unused:UNUSED_PAD src0_sel:WORD_0 src1_sel:DWORD
	v_mul_u32_u24_sdwa v22, v22, s19 dst_sel:DWORD dst_unused:UNUSED_PAD src0_sel:WORD_1 src1_sel:DWORD
	;; [unrolled: 2-line block ×4, first 2 shown]
	s_waitcnt lgkmcnt(1)
	v_pk_fma_f16 v79, v42, v81, v79
	v_pk_fma_f16 v21, v42, v21, v80
	;; [unrolled: 1-line block ×8, first 2 shown]
	s_waitcnt lgkmcnt(0)
	v_mul_u32_u24_sdwa v24, v25, s19 dst_sel:DWORD dst_unused:UNUSED_PAD src0_sel:WORD_0 src1_sel:DWORD
	v_mul_u32_u24_sdwa v25, v25, s19 dst_sel:DWORD dst_unused:UNUSED_PAD src0_sel:WORD_1 src1_sel:DWORD
	v_mul_u32_u24_sdwa v47, v26, s19 dst_sel:DWORD dst_unused:UNUSED_PAD src0_sel:WORD_0 src1_sel:DWORD
	v_mul_u32_u24_sdwa v26, v26, s19 dst_sel:DWORD dst_unused:UNUSED_PAD src0_sel:WORD_1 src1_sel:DWORD
	;; [unrolled: 2-line block ×4, first 2 shown]
	v_pk_fma_f16 v79, v43, v24, v79
	v_pk_fma_f16 v80, v43, v25, v21
	;; [unrolled: 1-line block ×6, first 2 shown]
	ds_read_b128 v[21:24], v73 offset:256
	v_add_u32_e32 v81, 0x800, v19
	v_pk_fma_f16 v46, v43, v50, v46
	v_pk_fma_f16 v50, v43, v28, v42
	ds_read2_b32 v[42:43], v81 offset1:32
	ds_read_b128 v[25:28], v73 offset:272
	s_waitcnt lgkmcnt(2)
	v_mul_u32_u24_sdwa v82, v21, s19 dst_sel:DWORD dst_unused:UNUSED_PAD src0_sel:WORD_0 src1_sel:DWORD
	v_mul_u32_u24_sdwa v21, v21, s19 dst_sel:DWORD dst_unused:UNUSED_PAD src0_sel:WORD_1 src1_sel:DWORD
	v_mul_u32_u24_sdwa v83, v22, s19 dst_sel:DWORD dst_unused:UNUSED_PAD src0_sel:WORD_0 src1_sel:DWORD
	v_mul_u32_u24_sdwa v22, v22, s19 dst_sel:DWORD dst_unused:UNUSED_PAD src0_sel:WORD_1 src1_sel:DWORD
	v_mul_u32_u24_sdwa v84, v23, s19 dst_sel:DWORD dst_unused:UNUSED_PAD src0_sel:WORD_0 src1_sel:DWORD
	v_mul_u32_u24_sdwa v23, v23, s19 dst_sel:DWORD dst_unused:UNUSED_PAD src0_sel:WORD_1 src1_sel:DWORD
	v_mul_u32_u24_sdwa v85, v24, s19 dst_sel:DWORD dst_unused:UNUSED_PAD src0_sel:WORD_0 src1_sel:DWORD
	v_mul_u32_u24_sdwa v24, v24, s19 dst_sel:DWORD dst_unused:UNUSED_PAD src0_sel:WORD_1 src1_sel:DWORD
	s_waitcnt lgkmcnt(1)
	v_pk_fma_f16 v79, v42, v82, v79
	v_pk_fma_f16 v21, v42, v21, v80
	v_pk_fma_f16 v44, v42, v83, v44
	v_pk_fma_f16 v22, v42, v22, v47
	v_pk_fma_f16 v45, v42, v84, v45
	v_pk_fma_f16 v23, v42, v23, v48
	v_pk_fma_f16 v46, v42, v85, v46
	v_pk_fma_f16 v42, v42, v24, v50
	s_waitcnt lgkmcnt(0)
	v_mul_u32_u24_sdwa v24, v25, s19 dst_sel:DWORD dst_unused:UNUSED_PAD src0_sel:WORD_0 src1_sel:DWORD
	v_mul_u32_u24_sdwa v25, v25, s19 dst_sel:DWORD dst_unused:UNUSED_PAD src0_sel:WORD_1 src1_sel:DWORD
	v_mul_u32_u24_sdwa v47, v26, s19 dst_sel:DWORD dst_unused:UNUSED_PAD src0_sel:WORD_0 src1_sel:DWORD
	v_mul_u32_u24_sdwa v26, v26, s19 dst_sel:DWORD dst_unused:UNUSED_PAD src0_sel:WORD_1 src1_sel:DWORD
	v_mul_u32_u24_sdwa v48, v27, s19 dst_sel:DWORD dst_unused:UNUSED_PAD src0_sel:WORD_0 src1_sel:DWORD
	v_mul_u32_u24_sdwa v27, v27, s19 dst_sel:DWORD dst_unused:UNUSED_PAD src0_sel:WORD_1 src1_sel:DWORD
	v_mul_u32_u24_sdwa v50, v28, s19 dst_sel:DWORD dst_unused:UNUSED_PAD src0_sel:WORD_0 src1_sel:DWORD
	v_mul_u32_u24_sdwa v28, v28, s19 dst_sel:DWORD dst_unused:UNUSED_PAD src0_sel:WORD_1 src1_sel:DWORD
	v_pk_fma_f16 v79, v43, v24, v79
	v_pk_fma_f16 v80, v43, v25, v21
	v_pk_fma_f16 v44, v43, v47, v44
	v_pk_fma_f16 v47, v43, v26, v22
	v_pk_fma_f16 v45, v43, v48, v45
	v_pk_fma_f16 v48, v43, v27, v23
	ds_read_b128 v[21:24], v73 offset:288
	v_pk_fma_f16 v46, v43, v50, v46
	v_pk_fma_f16 v50, v43, v28, v42
	ds_read2_b32 v[42:43], v81 offset0:64 offset1:96
	ds_read_b128 v[25:28], v73 offset:304
	s_waitcnt lgkmcnt(2)
	v_mul_u32_u24_sdwa v82, v21, s19 dst_sel:DWORD dst_unused:UNUSED_PAD src0_sel:WORD_0 src1_sel:DWORD
	v_mul_u32_u24_sdwa v21, v21, s19 dst_sel:DWORD dst_unused:UNUSED_PAD src0_sel:WORD_1 src1_sel:DWORD
	v_mul_u32_u24_sdwa v83, v22, s19 dst_sel:DWORD dst_unused:UNUSED_PAD src0_sel:WORD_0 src1_sel:DWORD
	v_mul_u32_u24_sdwa v22, v22, s19 dst_sel:DWORD dst_unused:UNUSED_PAD src0_sel:WORD_1 src1_sel:DWORD
	v_mul_u32_u24_sdwa v84, v23, s19 dst_sel:DWORD dst_unused:UNUSED_PAD src0_sel:WORD_0 src1_sel:DWORD
	v_mul_u32_u24_sdwa v23, v23, s19 dst_sel:DWORD dst_unused:UNUSED_PAD src0_sel:WORD_1 src1_sel:DWORD
	v_mul_u32_u24_sdwa v85, v24, s19 dst_sel:DWORD dst_unused:UNUSED_PAD src0_sel:WORD_0 src1_sel:DWORD
	v_mul_u32_u24_sdwa v24, v24, s19 dst_sel:DWORD dst_unused:UNUSED_PAD src0_sel:WORD_1 src1_sel:DWORD
	s_waitcnt lgkmcnt(1)
	v_pk_fma_f16 v79, v42, v82, v79
	v_pk_fma_f16 v21, v42, v21, v80
	v_pk_fma_f16 v44, v42, v83, v44
	v_pk_fma_f16 v22, v42, v22, v47
	v_pk_fma_f16 v45, v42, v84, v45
	v_pk_fma_f16 v23, v42, v23, v48
	v_pk_fma_f16 v46, v42, v85, v46
	v_pk_fma_f16 v42, v42, v24, v50
	s_waitcnt lgkmcnt(0)
	v_mul_u32_u24_sdwa v24, v25, s19 dst_sel:DWORD dst_unused:UNUSED_PAD src0_sel:WORD_0 src1_sel:DWORD
	v_mul_u32_u24_sdwa v25, v25, s19 dst_sel:DWORD dst_unused:UNUSED_PAD src0_sel:WORD_1 src1_sel:DWORD
	v_mul_u32_u24_sdwa v47, v26, s19 dst_sel:DWORD dst_unused:UNUSED_PAD src0_sel:WORD_0 src1_sel:DWORD
	v_mul_u32_u24_sdwa v26, v26, s19 dst_sel:DWORD dst_unused:UNUSED_PAD src0_sel:WORD_1 src1_sel:DWORD
	v_mul_u32_u24_sdwa v48, v27, s19 dst_sel:DWORD dst_unused:UNUSED_PAD src0_sel:WORD_0 src1_sel:DWORD
	v_mul_u32_u24_sdwa v27, v27, s19 dst_sel:DWORD dst_unused:UNUSED_PAD src0_sel:WORD_1 src1_sel:DWORD
	v_mul_u32_u24_sdwa v50, v28, s19 dst_sel:DWORD dst_unused:UNUSED_PAD src0_sel:WORD_0 src1_sel:DWORD
	v_mul_u32_u24_sdwa v28, v28, s19 dst_sel:DWORD dst_unused:UNUSED_PAD src0_sel:WORD_1 src1_sel:DWORD
	v_pk_fma_f16 v79, v43, v24, v79
	v_pk_fma_f16 v80, v43, v25, v21
	v_pk_fma_f16 v44, v43, v47, v44
	v_pk_fma_f16 v47, v43, v26, v22
	v_pk_fma_f16 v45, v43, v48, v45
	v_pk_fma_f16 v48, v43, v27, v23
	ds_read_b128 v[21:24], v73 offset:320
	v_pk_fma_f16 v46, v43, v50, v46
	v_pk_fma_f16 v50, v43, v28, v42
	ds_read2_b32 v[42:43], v81 offset0:128 offset1:160
	;; [unrolled: 38-line block ×3, first 2 shown]
	ds_read_b128 v[25:28], v73 offset:368
	s_waitcnt lgkmcnt(2)
	v_mul_u32_u24_sdwa v81, v21, s19 dst_sel:DWORD dst_unused:UNUSED_PAD src0_sel:WORD_0 src1_sel:DWORD
	v_mul_u32_u24_sdwa v21, v21, s19 dst_sel:DWORD dst_unused:UNUSED_PAD src0_sel:WORD_1 src1_sel:DWORD
	v_mul_u32_u24_sdwa v82, v22, s19 dst_sel:DWORD dst_unused:UNUSED_PAD src0_sel:WORD_0 src1_sel:DWORD
	v_mul_u32_u24_sdwa v22, v22, s19 dst_sel:DWORD dst_unused:UNUSED_PAD src0_sel:WORD_1 src1_sel:DWORD
	;; [unrolled: 2-line block ×4, first 2 shown]
	s_waitcnt lgkmcnt(1)
	v_pk_fma_f16 v79, v42, v81, v79
	v_pk_fma_f16 v21, v42, v21, v80
	;; [unrolled: 1-line block ×8, first 2 shown]
	s_waitcnt lgkmcnt(0)
	v_mul_u32_u24_sdwa v24, v25, s19 dst_sel:DWORD dst_unused:UNUSED_PAD src0_sel:WORD_0 src1_sel:DWORD
	v_mul_u32_u24_sdwa v25, v25, s19 dst_sel:DWORD dst_unused:UNUSED_PAD src0_sel:WORD_1 src1_sel:DWORD
	v_mul_u32_u24_sdwa v47, v26, s19 dst_sel:DWORD dst_unused:UNUSED_PAD src0_sel:WORD_0 src1_sel:DWORD
	v_mul_u32_u24_sdwa v26, v26, s19 dst_sel:DWORD dst_unused:UNUSED_PAD src0_sel:WORD_1 src1_sel:DWORD
	;; [unrolled: 2-line block ×4, first 2 shown]
	v_pk_fma_f16 v79, v43, v24, v79
	v_pk_fma_f16 v80, v43, v25, v21
	;; [unrolled: 1-line block ×6, first 2 shown]
	ds_read_b128 v[21:24], v73 offset:384
	v_add_u32_e32 v81, 0xc00, v19
	v_pk_fma_f16 v46, v43, v50, v46
	v_pk_fma_f16 v50, v43, v28, v42
	ds_read2_b32 v[42:43], v81 offset1:32
	ds_read_b128 v[25:28], v73 offset:400
	s_waitcnt lgkmcnt(2)
	v_mul_u32_u24_sdwa v82, v21, s19 dst_sel:DWORD dst_unused:UNUSED_PAD src0_sel:WORD_0 src1_sel:DWORD
	v_mul_u32_u24_sdwa v21, v21, s19 dst_sel:DWORD dst_unused:UNUSED_PAD src0_sel:WORD_1 src1_sel:DWORD
	v_mul_u32_u24_sdwa v83, v22, s19 dst_sel:DWORD dst_unused:UNUSED_PAD src0_sel:WORD_0 src1_sel:DWORD
	v_mul_u32_u24_sdwa v22, v22, s19 dst_sel:DWORD dst_unused:UNUSED_PAD src0_sel:WORD_1 src1_sel:DWORD
	v_mul_u32_u24_sdwa v84, v23, s19 dst_sel:DWORD dst_unused:UNUSED_PAD src0_sel:WORD_0 src1_sel:DWORD
	v_mul_u32_u24_sdwa v23, v23, s19 dst_sel:DWORD dst_unused:UNUSED_PAD src0_sel:WORD_1 src1_sel:DWORD
	v_mul_u32_u24_sdwa v85, v24, s19 dst_sel:DWORD dst_unused:UNUSED_PAD src0_sel:WORD_0 src1_sel:DWORD
	v_mul_u32_u24_sdwa v24, v24, s19 dst_sel:DWORD dst_unused:UNUSED_PAD src0_sel:WORD_1 src1_sel:DWORD
	s_waitcnt lgkmcnt(1)
	v_pk_fma_f16 v79, v42, v82, v79
	v_pk_fma_f16 v21, v42, v21, v80
	v_pk_fma_f16 v44, v42, v83, v44
	v_pk_fma_f16 v22, v42, v22, v47
	v_pk_fma_f16 v45, v42, v84, v45
	v_pk_fma_f16 v23, v42, v23, v48
	v_pk_fma_f16 v46, v42, v85, v46
	v_pk_fma_f16 v42, v42, v24, v50
	s_waitcnt lgkmcnt(0)
	v_mul_u32_u24_sdwa v24, v25, s19 dst_sel:DWORD dst_unused:UNUSED_PAD src0_sel:WORD_0 src1_sel:DWORD
	v_mul_u32_u24_sdwa v25, v25, s19 dst_sel:DWORD dst_unused:UNUSED_PAD src0_sel:WORD_1 src1_sel:DWORD
	v_mul_u32_u24_sdwa v47, v26, s19 dst_sel:DWORD dst_unused:UNUSED_PAD src0_sel:WORD_0 src1_sel:DWORD
	v_mul_u32_u24_sdwa v26, v26, s19 dst_sel:DWORD dst_unused:UNUSED_PAD src0_sel:WORD_1 src1_sel:DWORD
	v_mul_u32_u24_sdwa v48, v27, s19 dst_sel:DWORD dst_unused:UNUSED_PAD src0_sel:WORD_0 src1_sel:DWORD
	v_mul_u32_u24_sdwa v27, v27, s19 dst_sel:DWORD dst_unused:UNUSED_PAD src0_sel:WORD_1 src1_sel:DWORD
	v_mul_u32_u24_sdwa v50, v28, s19 dst_sel:DWORD dst_unused:UNUSED_PAD src0_sel:WORD_0 src1_sel:DWORD
	v_mul_u32_u24_sdwa v28, v28, s19 dst_sel:DWORD dst_unused:UNUSED_PAD src0_sel:WORD_1 src1_sel:DWORD
	v_pk_fma_f16 v79, v43, v24, v79
	v_pk_fma_f16 v80, v43, v25, v21
	v_pk_fma_f16 v44, v43, v47, v44
	v_pk_fma_f16 v47, v43, v26, v22
	v_pk_fma_f16 v45, v43, v48, v45
	v_pk_fma_f16 v48, v43, v27, v23
	ds_read_b128 v[21:24], v73 offset:416
	v_pk_fma_f16 v46, v43, v50, v46
	v_pk_fma_f16 v50, v43, v28, v42
	ds_read2_b32 v[42:43], v81 offset0:64 offset1:96
	ds_read_b128 v[25:28], v73 offset:432
	s_waitcnt lgkmcnt(2)
	v_mul_u32_u24_sdwa v82, v21, s19 dst_sel:DWORD dst_unused:UNUSED_PAD src0_sel:WORD_0 src1_sel:DWORD
	v_mul_u32_u24_sdwa v21, v21, s19 dst_sel:DWORD dst_unused:UNUSED_PAD src0_sel:WORD_1 src1_sel:DWORD
	v_mul_u32_u24_sdwa v83, v22, s19 dst_sel:DWORD dst_unused:UNUSED_PAD src0_sel:WORD_0 src1_sel:DWORD
	v_mul_u32_u24_sdwa v22, v22, s19 dst_sel:DWORD dst_unused:UNUSED_PAD src0_sel:WORD_1 src1_sel:DWORD
	v_mul_u32_u24_sdwa v84, v23, s19 dst_sel:DWORD dst_unused:UNUSED_PAD src0_sel:WORD_0 src1_sel:DWORD
	v_mul_u32_u24_sdwa v23, v23, s19 dst_sel:DWORD dst_unused:UNUSED_PAD src0_sel:WORD_1 src1_sel:DWORD
	v_mul_u32_u24_sdwa v85, v24, s19 dst_sel:DWORD dst_unused:UNUSED_PAD src0_sel:WORD_0 src1_sel:DWORD
	v_mul_u32_u24_sdwa v24, v24, s19 dst_sel:DWORD dst_unused:UNUSED_PAD src0_sel:WORD_1 src1_sel:DWORD
	s_waitcnt lgkmcnt(1)
	v_pk_fma_f16 v79, v42, v82, v79
	v_pk_fma_f16 v21, v42, v21, v80
	v_pk_fma_f16 v44, v42, v83, v44
	v_pk_fma_f16 v22, v42, v22, v47
	v_pk_fma_f16 v45, v42, v84, v45
	v_pk_fma_f16 v23, v42, v23, v48
	v_pk_fma_f16 v46, v42, v85, v46
	v_pk_fma_f16 v42, v42, v24, v50
	s_waitcnt lgkmcnt(0)
	v_mul_u32_u24_sdwa v24, v25, s19 dst_sel:DWORD dst_unused:UNUSED_PAD src0_sel:WORD_0 src1_sel:DWORD
	v_mul_u32_u24_sdwa v25, v25, s19 dst_sel:DWORD dst_unused:UNUSED_PAD src0_sel:WORD_1 src1_sel:DWORD
	v_mul_u32_u24_sdwa v47, v26, s19 dst_sel:DWORD dst_unused:UNUSED_PAD src0_sel:WORD_0 src1_sel:DWORD
	v_mul_u32_u24_sdwa v26, v26, s19 dst_sel:DWORD dst_unused:UNUSED_PAD src0_sel:WORD_1 src1_sel:DWORD
	v_mul_u32_u24_sdwa v48, v27, s19 dst_sel:DWORD dst_unused:UNUSED_PAD src0_sel:WORD_0 src1_sel:DWORD
	v_mul_u32_u24_sdwa v27, v27, s19 dst_sel:DWORD dst_unused:UNUSED_PAD src0_sel:WORD_1 src1_sel:DWORD
	v_mul_u32_u24_sdwa v50, v28, s19 dst_sel:DWORD dst_unused:UNUSED_PAD src0_sel:WORD_0 src1_sel:DWORD
	v_mul_u32_u24_sdwa v28, v28, s19 dst_sel:DWORD dst_unused:UNUSED_PAD src0_sel:WORD_1 src1_sel:DWORD
	v_pk_fma_f16 v79, v43, v24, v79
	v_pk_fma_f16 v80, v43, v25, v21
	v_pk_fma_f16 v44, v43, v47, v44
	v_pk_fma_f16 v47, v43, v26, v22
	v_pk_fma_f16 v45, v43, v48, v45
	v_pk_fma_f16 v48, v43, v27, v23
	ds_read_b128 v[21:24], v73 offset:448
	v_pk_fma_f16 v46, v43, v50, v46
	v_pk_fma_f16 v50, v43, v28, v42
	ds_read2_b32 v[42:43], v81 offset0:128 offset1:160
	;; [unrolled: 38-line block ×3, first 2 shown]
	ds_read_b128 v[25:28], v73 offset:496
	s_waitcnt lgkmcnt(2)
	v_mul_u32_u24_sdwa v81, v21, s19 dst_sel:DWORD dst_unused:UNUSED_PAD src0_sel:WORD_0 src1_sel:DWORD
	v_mul_u32_u24_sdwa v21, v21, s19 dst_sel:DWORD dst_unused:UNUSED_PAD src0_sel:WORD_1 src1_sel:DWORD
	v_mul_u32_u24_sdwa v82, v22, s19 dst_sel:DWORD dst_unused:UNUSED_PAD src0_sel:WORD_0 src1_sel:DWORD
	v_mul_u32_u24_sdwa v22, v22, s19 dst_sel:DWORD dst_unused:UNUSED_PAD src0_sel:WORD_1 src1_sel:DWORD
	;; [unrolled: 2-line block ×4, first 2 shown]
	s_waitcnt lgkmcnt(1)
	v_pk_fma_f16 v79, v42, v81, v79
	v_pk_fma_f16 v21, v42, v21, v80
	;; [unrolled: 1-line block ×8, first 2 shown]
	s_waitcnt lgkmcnt(0)
	v_mul_u32_u24_sdwa v24, v25, s19 dst_sel:DWORD dst_unused:UNUSED_PAD src0_sel:WORD_0 src1_sel:DWORD
	v_mul_u32_u24_sdwa v25, v25, s19 dst_sel:DWORD dst_unused:UNUSED_PAD src0_sel:WORD_1 src1_sel:DWORD
	v_mul_u32_u24_sdwa v47, v26, s19 dst_sel:DWORD dst_unused:UNUSED_PAD src0_sel:WORD_0 src1_sel:DWORD
	v_mul_u32_u24_sdwa v26, v26, s19 dst_sel:DWORD dst_unused:UNUSED_PAD src0_sel:WORD_1 src1_sel:DWORD
	;; [unrolled: 2-line block ×4, first 2 shown]
	v_pk_fma_f16 v79, v43, v24, v79
	v_pk_fma_f16 v80, v43, v25, v21
	;; [unrolled: 1-line block ×6, first 2 shown]
	ds_read_b128 v[21:24], v73 offset:512
	v_add_u32_e32 v81, 0x1000, v19
	v_pk_fma_f16 v46, v43, v50, v46
	v_pk_fma_f16 v50, v43, v28, v42
	ds_read2_b32 v[42:43], v81 offset1:32
	ds_read_b128 v[25:28], v73 offset:528
	s_waitcnt lgkmcnt(2)
	v_mul_u32_u24_sdwa v82, v21, s19 dst_sel:DWORD dst_unused:UNUSED_PAD src0_sel:WORD_0 src1_sel:DWORD
	v_mul_u32_u24_sdwa v21, v21, s19 dst_sel:DWORD dst_unused:UNUSED_PAD src0_sel:WORD_1 src1_sel:DWORD
	v_mul_u32_u24_sdwa v83, v22, s19 dst_sel:DWORD dst_unused:UNUSED_PAD src0_sel:WORD_0 src1_sel:DWORD
	v_mul_u32_u24_sdwa v22, v22, s19 dst_sel:DWORD dst_unused:UNUSED_PAD src0_sel:WORD_1 src1_sel:DWORD
	v_mul_u32_u24_sdwa v84, v23, s19 dst_sel:DWORD dst_unused:UNUSED_PAD src0_sel:WORD_0 src1_sel:DWORD
	v_mul_u32_u24_sdwa v23, v23, s19 dst_sel:DWORD dst_unused:UNUSED_PAD src0_sel:WORD_1 src1_sel:DWORD
	v_mul_u32_u24_sdwa v85, v24, s19 dst_sel:DWORD dst_unused:UNUSED_PAD src0_sel:WORD_0 src1_sel:DWORD
	v_mul_u32_u24_sdwa v24, v24, s19 dst_sel:DWORD dst_unused:UNUSED_PAD src0_sel:WORD_1 src1_sel:DWORD
	s_waitcnt lgkmcnt(1)
	v_pk_fma_f16 v79, v42, v82, v79
	v_pk_fma_f16 v21, v42, v21, v80
	v_pk_fma_f16 v44, v42, v83, v44
	v_pk_fma_f16 v22, v42, v22, v47
	v_pk_fma_f16 v45, v42, v84, v45
	v_pk_fma_f16 v23, v42, v23, v48
	v_pk_fma_f16 v46, v42, v85, v46
	v_pk_fma_f16 v42, v42, v24, v50
	s_waitcnt lgkmcnt(0)
	v_mul_u32_u24_sdwa v24, v25, s19 dst_sel:DWORD dst_unused:UNUSED_PAD src0_sel:WORD_0 src1_sel:DWORD
	v_mul_u32_u24_sdwa v25, v25, s19 dst_sel:DWORD dst_unused:UNUSED_PAD src0_sel:WORD_1 src1_sel:DWORD
	v_mul_u32_u24_sdwa v47, v26, s19 dst_sel:DWORD dst_unused:UNUSED_PAD src0_sel:WORD_0 src1_sel:DWORD
	v_mul_u32_u24_sdwa v26, v26, s19 dst_sel:DWORD dst_unused:UNUSED_PAD src0_sel:WORD_1 src1_sel:DWORD
	v_mul_u32_u24_sdwa v48, v27, s19 dst_sel:DWORD dst_unused:UNUSED_PAD src0_sel:WORD_0 src1_sel:DWORD
	v_mul_u32_u24_sdwa v27, v27, s19 dst_sel:DWORD dst_unused:UNUSED_PAD src0_sel:WORD_1 src1_sel:DWORD
	v_mul_u32_u24_sdwa v50, v28, s19 dst_sel:DWORD dst_unused:UNUSED_PAD src0_sel:WORD_0 src1_sel:DWORD
	v_mul_u32_u24_sdwa v28, v28, s19 dst_sel:DWORD dst_unused:UNUSED_PAD src0_sel:WORD_1 src1_sel:DWORD
	v_pk_fma_f16 v79, v43, v24, v79
	v_pk_fma_f16 v80, v43, v25, v21
	v_pk_fma_f16 v44, v43, v47, v44
	v_pk_fma_f16 v47, v43, v26, v22
	v_pk_fma_f16 v45, v43, v48, v45
	v_pk_fma_f16 v48, v43, v27, v23
	ds_read_b128 v[21:24], v73 offset:544
	v_pk_fma_f16 v46, v43, v50, v46
	v_pk_fma_f16 v50, v43, v28, v42
	ds_read2_b32 v[42:43], v81 offset0:64 offset1:96
	ds_read_b128 v[25:28], v73 offset:560
	s_waitcnt lgkmcnt(2)
	v_mul_u32_u24_sdwa v82, v21, s19 dst_sel:DWORD dst_unused:UNUSED_PAD src0_sel:WORD_0 src1_sel:DWORD
	v_mul_u32_u24_sdwa v21, v21, s19 dst_sel:DWORD dst_unused:UNUSED_PAD src0_sel:WORD_1 src1_sel:DWORD
	v_mul_u32_u24_sdwa v83, v22, s19 dst_sel:DWORD dst_unused:UNUSED_PAD src0_sel:WORD_0 src1_sel:DWORD
	v_mul_u32_u24_sdwa v22, v22, s19 dst_sel:DWORD dst_unused:UNUSED_PAD src0_sel:WORD_1 src1_sel:DWORD
	v_mul_u32_u24_sdwa v84, v23, s19 dst_sel:DWORD dst_unused:UNUSED_PAD src0_sel:WORD_0 src1_sel:DWORD
	v_mul_u32_u24_sdwa v23, v23, s19 dst_sel:DWORD dst_unused:UNUSED_PAD src0_sel:WORD_1 src1_sel:DWORD
	v_mul_u32_u24_sdwa v85, v24, s19 dst_sel:DWORD dst_unused:UNUSED_PAD src0_sel:WORD_0 src1_sel:DWORD
	v_mul_u32_u24_sdwa v24, v24, s19 dst_sel:DWORD dst_unused:UNUSED_PAD src0_sel:WORD_1 src1_sel:DWORD
	s_waitcnt lgkmcnt(1)
	v_pk_fma_f16 v79, v42, v82, v79
	v_pk_fma_f16 v21, v42, v21, v80
	v_pk_fma_f16 v44, v42, v83, v44
	v_pk_fma_f16 v22, v42, v22, v47
	v_pk_fma_f16 v45, v42, v84, v45
	v_pk_fma_f16 v23, v42, v23, v48
	v_pk_fma_f16 v46, v42, v85, v46
	v_pk_fma_f16 v42, v42, v24, v50
	s_waitcnt lgkmcnt(0)
	v_mul_u32_u24_sdwa v24, v25, s19 dst_sel:DWORD dst_unused:UNUSED_PAD src0_sel:WORD_0 src1_sel:DWORD
	v_mul_u32_u24_sdwa v25, v25, s19 dst_sel:DWORD dst_unused:UNUSED_PAD src0_sel:WORD_1 src1_sel:DWORD
	v_mul_u32_u24_sdwa v47, v26, s19 dst_sel:DWORD dst_unused:UNUSED_PAD src0_sel:WORD_0 src1_sel:DWORD
	v_mul_u32_u24_sdwa v26, v26, s19 dst_sel:DWORD dst_unused:UNUSED_PAD src0_sel:WORD_1 src1_sel:DWORD
	v_mul_u32_u24_sdwa v48, v27, s19 dst_sel:DWORD dst_unused:UNUSED_PAD src0_sel:WORD_0 src1_sel:DWORD
	v_mul_u32_u24_sdwa v27, v27, s19 dst_sel:DWORD dst_unused:UNUSED_PAD src0_sel:WORD_1 src1_sel:DWORD
	v_mul_u32_u24_sdwa v50, v28, s19 dst_sel:DWORD dst_unused:UNUSED_PAD src0_sel:WORD_0 src1_sel:DWORD
	v_mul_u32_u24_sdwa v28, v28, s19 dst_sel:DWORD dst_unused:UNUSED_PAD src0_sel:WORD_1 src1_sel:DWORD
	v_pk_fma_f16 v79, v43, v24, v79
	v_pk_fma_f16 v80, v43, v25, v21
	v_pk_fma_f16 v44, v43, v47, v44
	v_pk_fma_f16 v47, v43, v26, v22
	v_pk_fma_f16 v45, v43, v48, v45
	v_pk_fma_f16 v48, v43, v27, v23
	ds_read_b128 v[21:24], v73 offset:576
	v_pk_fma_f16 v46, v43, v50, v46
	v_pk_fma_f16 v50, v43, v28, v42
	ds_read2_b32 v[42:43], v81 offset0:128 offset1:160
	;; [unrolled: 38-line block ×3, first 2 shown]
	ds_read_b128 v[25:28], v73 offset:624
	s_waitcnt lgkmcnt(2)
	v_mul_u32_u24_sdwa v81, v21, s19 dst_sel:DWORD dst_unused:UNUSED_PAD src0_sel:WORD_0 src1_sel:DWORD
	v_mul_u32_u24_sdwa v21, v21, s19 dst_sel:DWORD dst_unused:UNUSED_PAD src0_sel:WORD_1 src1_sel:DWORD
	v_mul_u32_u24_sdwa v82, v22, s19 dst_sel:DWORD dst_unused:UNUSED_PAD src0_sel:WORD_0 src1_sel:DWORD
	v_mul_u32_u24_sdwa v22, v22, s19 dst_sel:DWORD dst_unused:UNUSED_PAD src0_sel:WORD_1 src1_sel:DWORD
	;; [unrolled: 2-line block ×4, first 2 shown]
	s_waitcnt lgkmcnt(1)
	v_pk_fma_f16 v79, v42, v81, v79
	v_pk_fma_f16 v21, v42, v21, v80
	;; [unrolled: 1-line block ×8, first 2 shown]
	s_waitcnt lgkmcnt(0)
	v_mul_u32_u24_sdwa v24, v25, s19 dst_sel:DWORD dst_unused:UNUSED_PAD src0_sel:WORD_0 src1_sel:DWORD
	v_mul_u32_u24_sdwa v25, v25, s19 dst_sel:DWORD dst_unused:UNUSED_PAD src0_sel:WORD_1 src1_sel:DWORD
	v_mul_u32_u24_sdwa v47, v26, s19 dst_sel:DWORD dst_unused:UNUSED_PAD src0_sel:WORD_0 src1_sel:DWORD
	v_mul_u32_u24_sdwa v26, v26, s19 dst_sel:DWORD dst_unused:UNUSED_PAD src0_sel:WORD_1 src1_sel:DWORD
	;; [unrolled: 2-line block ×4, first 2 shown]
	v_pk_fma_f16 v79, v43, v24, v79
	v_pk_fma_f16 v80, v43, v25, v21
	;; [unrolled: 1-line block ×6, first 2 shown]
	ds_read_b128 v[21:24], v73 offset:640
	v_add_u32_e32 v81, 0x1400, v19
	v_pk_fma_f16 v46, v43, v50, v46
	v_pk_fma_f16 v50, v43, v28, v42
	ds_read2_b32 v[42:43], v81 offset1:32
	ds_read_b128 v[25:28], v73 offset:656
	s_waitcnt lgkmcnt(2)
	v_mul_u32_u24_sdwa v82, v21, s19 dst_sel:DWORD dst_unused:UNUSED_PAD src0_sel:WORD_0 src1_sel:DWORD
	v_mul_u32_u24_sdwa v21, v21, s19 dst_sel:DWORD dst_unused:UNUSED_PAD src0_sel:WORD_1 src1_sel:DWORD
	v_mul_u32_u24_sdwa v83, v22, s19 dst_sel:DWORD dst_unused:UNUSED_PAD src0_sel:WORD_0 src1_sel:DWORD
	v_mul_u32_u24_sdwa v22, v22, s19 dst_sel:DWORD dst_unused:UNUSED_PAD src0_sel:WORD_1 src1_sel:DWORD
	v_mul_u32_u24_sdwa v84, v23, s19 dst_sel:DWORD dst_unused:UNUSED_PAD src0_sel:WORD_0 src1_sel:DWORD
	v_mul_u32_u24_sdwa v23, v23, s19 dst_sel:DWORD dst_unused:UNUSED_PAD src0_sel:WORD_1 src1_sel:DWORD
	v_mul_u32_u24_sdwa v85, v24, s19 dst_sel:DWORD dst_unused:UNUSED_PAD src0_sel:WORD_0 src1_sel:DWORD
	v_mul_u32_u24_sdwa v24, v24, s19 dst_sel:DWORD dst_unused:UNUSED_PAD src0_sel:WORD_1 src1_sel:DWORD
	s_waitcnt lgkmcnt(1)
	v_pk_fma_f16 v79, v42, v82, v79
	v_pk_fma_f16 v21, v42, v21, v80
	v_pk_fma_f16 v44, v42, v83, v44
	v_pk_fma_f16 v22, v42, v22, v47
	v_pk_fma_f16 v45, v42, v84, v45
	v_pk_fma_f16 v23, v42, v23, v48
	v_pk_fma_f16 v46, v42, v85, v46
	v_pk_fma_f16 v42, v42, v24, v50
	s_waitcnt lgkmcnt(0)
	v_mul_u32_u24_sdwa v24, v25, s19 dst_sel:DWORD dst_unused:UNUSED_PAD src0_sel:WORD_0 src1_sel:DWORD
	v_mul_u32_u24_sdwa v25, v25, s19 dst_sel:DWORD dst_unused:UNUSED_PAD src0_sel:WORD_1 src1_sel:DWORD
	v_mul_u32_u24_sdwa v47, v26, s19 dst_sel:DWORD dst_unused:UNUSED_PAD src0_sel:WORD_0 src1_sel:DWORD
	v_mul_u32_u24_sdwa v26, v26, s19 dst_sel:DWORD dst_unused:UNUSED_PAD src0_sel:WORD_1 src1_sel:DWORD
	v_mul_u32_u24_sdwa v48, v27, s19 dst_sel:DWORD dst_unused:UNUSED_PAD src0_sel:WORD_0 src1_sel:DWORD
	v_mul_u32_u24_sdwa v27, v27, s19 dst_sel:DWORD dst_unused:UNUSED_PAD src0_sel:WORD_1 src1_sel:DWORD
	v_mul_u32_u24_sdwa v50, v28, s19 dst_sel:DWORD dst_unused:UNUSED_PAD src0_sel:WORD_0 src1_sel:DWORD
	v_mul_u32_u24_sdwa v28, v28, s19 dst_sel:DWORD dst_unused:UNUSED_PAD src0_sel:WORD_1 src1_sel:DWORD
	v_pk_fma_f16 v79, v43, v24, v79
	v_pk_fma_f16 v80, v43, v25, v21
	v_pk_fma_f16 v44, v43, v47, v44
	v_pk_fma_f16 v47, v43, v26, v22
	v_pk_fma_f16 v45, v43, v48, v45
	v_pk_fma_f16 v48, v43, v27, v23
	ds_read_b128 v[21:24], v73 offset:672
	v_pk_fma_f16 v46, v43, v50, v46
	v_pk_fma_f16 v50, v43, v28, v42
	ds_read2_b32 v[42:43], v81 offset0:64 offset1:96
	ds_read_b128 v[25:28], v73 offset:688
	s_waitcnt lgkmcnt(2)
	v_mul_u32_u24_sdwa v82, v21, s19 dst_sel:DWORD dst_unused:UNUSED_PAD src0_sel:WORD_0 src1_sel:DWORD
	v_mul_u32_u24_sdwa v21, v21, s19 dst_sel:DWORD dst_unused:UNUSED_PAD src0_sel:WORD_1 src1_sel:DWORD
	v_mul_u32_u24_sdwa v83, v22, s19 dst_sel:DWORD dst_unused:UNUSED_PAD src0_sel:WORD_0 src1_sel:DWORD
	v_mul_u32_u24_sdwa v22, v22, s19 dst_sel:DWORD dst_unused:UNUSED_PAD src0_sel:WORD_1 src1_sel:DWORD
	v_mul_u32_u24_sdwa v84, v23, s19 dst_sel:DWORD dst_unused:UNUSED_PAD src0_sel:WORD_0 src1_sel:DWORD
	v_mul_u32_u24_sdwa v23, v23, s19 dst_sel:DWORD dst_unused:UNUSED_PAD src0_sel:WORD_1 src1_sel:DWORD
	v_mul_u32_u24_sdwa v85, v24, s19 dst_sel:DWORD dst_unused:UNUSED_PAD src0_sel:WORD_0 src1_sel:DWORD
	v_mul_u32_u24_sdwa v24, v24, s19 dst_sel:DWORD dst_unused:UNUSED_PAD src0_sel:WORD_1 src1_sel:DWORD
	s_waitcnt lgkmcnt(1)
	v_pk_fma_f16 v79, v42, v82, v79
	v_pk_fma_f16 v21, v42, v21, v80
	v_pk_fma_f16 v44, v42, v83, v44
	v_pk_fma_f16 v22, v42, v22, v47
	v_pk_fma_f16 v45, v42, v84, v45
	v_pk_fma_f16 v23, v42, v23, v48
	v_pk_fma_f16 v46, v42, v85, v46
	v_pk_fma_f16 v42, v42, v24, v50
	s_waitcnt lgkmcnt(0)
	v_mul_u32_u24_sdwa v24, v25, s19 dst_sel:DWORD dst_unused:UNUSED_PAD src0_sel:WORD_0 src1_sel:DWORD
	v_mul_u32_u24_sdwa v25, v25, s19 dst_sel:DWORD dst_unused:UNUSED_PAD src0_sel:WORD_1 src1_sel:DWORD
	v_mul_u32_u24_sdwa v47, v26, s19 dst_sel:DWORD dst_unused:UNUSED_PAD src0_sel:WORD_0 src1_sel:DWORD
	v_mul_u32_u24_sdwa v26, v26, s19 dst_sel:DWORD dst_unused:UNUSED_PAD src0_sel:WORD_1 src1_sel:DWORD
	v_mul_u32_u24_sdwa v48, v27, s19 dst_sel:DWORD dst_unused:UNUSED_PAD src0_sel:WORD_0 src1_sel:DWORD
	v_mul_u32_u24_sdwa v27, v27, s19 dst_sel:DWORD dst_unused:UNUSED_PAD src0_sel:WORD_1 src1_sel:DWORD
	v_mul_u32_u24_sdwa v50, v28, s19 dst_sel:DWORD dst_unused:UNUSED_PAD src0_sel:WORD_0 src1_sel:DWORD
	v_mul_u32_u24_sdwa v28, v28, s19 dst_sel:DWORD dst_unused:UNUSED_PAD src0_sel:WORD_1 src1_sel:DWORD
	v_pk_fma_f16 v79, v43, v24, v79
	v_pk_fma_f16 v80, v43, v25, v21
	v_pk_fma_f16 v44, v43, v47, v44
	v_pk_fma_f16 v47, v43, v26, v22
	v_pk_fma_f16 v45, v43, v48, v45
	v_pk_fma_f16 v48, v43, v27, v23
	ds_read_b128 v[21:24], v73 offset:704
	v_pk_fma_f16 v46, v43, v50, v46
	v_pk_fma_f16 v50, v43, v28, v42
	ds_read2_b32 v[42:43], v81 offset0:128 offset1:160
	;; [unrolled: 38-line block ×3, first 2 shown]
	ds_read_b128 v[25:28], v73 offset:752
	s_waitcnt lgkmcnt(2)
	v_mul_u32_u24_sdwa v81, v21, s19 dst_sel:DWORD dst_unused:UNUSED_PAD src0_sel:WORD_0 src1_sel:DWORD
	v_mul_u32_u24_sdwa v21, v21, s19 dst_sel:DWORD dst_unused:UNUSED_PAD src0_sel:WORD_1 src1_sel:DWORD
	v_mul_u32_u24_sdwa v82, v22, s19 dst_sel:DWORD dst_unused:UNUSED_PAD src0_sel:WORD_0 src1_sel:DWORD
	v_mul_u32_u24_sdwa v22, v22, s19 dst_sel:DWORD dst_unused:UNUSED_PAD src0_sel:WORD_1 src1_sel:DWORD
	;; [unrolled: 2-line block ×4, first 2 shown]
	s_waitcnt lgkmcnt(1)
	v_pk_fma_f16 v79, v42, v81, v79
	v_pk_fma_f16 v21, v42, v21, v80
	v_pk_fma_f16 v44, v42, v82, v44
	v_pk_fma_f16 v22, v42, v22, v47
	v_pk_fma_f16 v45, v42, v83, v45
	v_pk_fma_f16 v23, v42, v23, v48
	v_pk_fma_f16 v46, v42, v84, v46
	v_pk_fma_f16 v42, v42, v24, v50
	s_waitcnt lgkmcnt(0)
	v_mul_u32_u24_sdwa v24, v25, s19 dst_sel:DWORD dst_unused:UNUSED_PAD src0_sel:WORD_0 src1_sel:DWORD
	v_mul_u32_u24_sdwa v25, v25, s19 dst_sel:DWORD dst_unused:UNUSED_PAD src0_sel:WORD_1 src1_sel:DWORD
	v_mul_u32_u24_sdwa v47, v26, s19 dst_sel:DWORD dst_unused:UNUSED_PAD src0_sel:WORD_0 src1_sel:DWORD
	v_mul_u32_u24_sdwa v26, v26, s19 dst_sel:DWORD dst_unused:UNUSED_PAD src0_sel:WORD_1 src1_sel:DWORD
	;; [unrolled: 2-line block ×4, first 2 shown]
	v_pk_fma_f16 v79, v43, v24, v79
	v_pk_fma_f16 v80, v43, v25, v21
	;; [unrolled: 1-line block ×6, first 2 shown]
	ds_read_b128 v[21:24], v73 offset:768
	v_add_u32_e32 v81, 0x1800, v19
	v_pk_fma_f16 v46, v43, v50, v46
	v_pk_fma_f16 v50, v43, v28, v42
	ds_read2_b32 v[42:43], v81 offset1:32
	ds_read_b128 v[25:28], v73 offset:784
	s_waitcnt lgkmcnt(2)
	v_mul_u32_u24_sdwa v82, v21, s19 dst_sel:DWORD dst_unused:UNUSED_PAD src0_sel:WORD_0 src1_sel:DWORD
	v_mul_u32_u24_sdwa v21, v21, s19 dst_sel:DWORD dst_unused:UNUSED_PAD src0_sel:WORD_1 src1_sel:DWORD
	v_mul_u32_u24_sdwa v83, v22, s19 dst_sel:DWORD dst_unused:UNUSED_PAD src0_sel:WORD_0 src1_sel:DWORD
	v_mul_u32_u24_sdwa v22, v22, s19 dst_sel:DWORD dst_unused:UNUSED_PAD src0_sel:WORD_1 src1_sel:DWORD
	v_mul_u32_u24_sdwa v84, v23, s19 dst_sel:DWORD dst_unused:UNUSED_PAD src0_sel:WORD_0 src1_sel:DWORD
	v_mul_u32_u24_sdwa v23, v23, s19 dst_sel:DWORD dst_unused:UNUSED_PAD src0_sel:WORD_1 src1_sel:DWORD
	v_mul_u32_u24_sdwa v85, v24, s19 dst_sel:DWORD dst_unused:UNUSED_PAD src0_sel:WORD_0 src1_sel:DWORD
	v_mul_u32_u24_sdwa v24, v24, s19 dst_sel:DWORD dst_unused:UNUSED_PAD src0_sel:WORD_1 src1_sel:DWORD
	s_waitcnt lgkmcnt(1)
	v_pk_fma_f16 v79, v42, v82, v79
	v_pk_fma_f16 v21, v42, v21, v80
	v_pk_fma_f16 v44, v42, v83, v44
	v_pk_fma_f16 v22, v42, v22, v47
	v_pk_fma_f16 v45, v42, v84, v45
	v_pk_fma_f16 v23, v42, v23, v48
	v_pk_fma_f16 v46, v42, v85, v46
	v_pk_fma_f16 v42, v42, v24, v50
	s_waitcnt lgkmcnt(0)
	v_mul_u32_u24_sdwa v24, v25, s19 dst_sel:DWORD dst_unused:UNUSED_PAD src0_sel:WORD_0 src1_sel:DWORD
	v_mul_u32_u24_sdwa v25, v25, s19 dst_sel:DWORD dst_unused:UNUSED_PAD src0_sel:WORD_1 src1_sel:DWORD
	v_mul_u32_u24_sdwa v47, v26, s19 dst_sel:DWORD dst_unused:UNUSED_PAD src0_sel:WORD_0 src1_sel:DWORD
	v_mul_u32_u24_sdwa v26, v26, s19 dst_sel:DWORD dst_unused:UNUSED_PAD src0_sel:WORD_1 src1_sel:DWORD
	v_mul_u32_u24_sdwa v48, v27, s19 dst_sel:DWORD dst_unused:UNUSED_PAD src0_sel:WORD_0 src1_sel:DWORD
	v_mul_u32_u24_sdwa v27, v27, s19 dst_sel:DWORD dst_unused:UNUSED_PAD src0_sel:WORD_1 src1_sel:DWORD
	v_mul_u32_u24_sdwa v50, v28, s19 dst_sel:DWORD dst_unused:UNUSED_PAD src0_sel:WORD_0 src1_sel:DWORD
	v_mul_u32_u24_sdwa v28, v28, s19 dst_sel:DWORD dst_unused:UNUSED_PAD src0_sel:WORD_1 src1_sel:DWORD
	v_pk_fma_f16 v79, v43, v24, v79
	v_pk_fma_f16 v80, v43, v25, v21
	v_pk_fma_f16 v44, v43, v47, v44
	v_pk_fma_f16 v47, v43, v26, v22
	v_pk_fma_f16 v45, v43, v48, v45
	v_pk_fma_f16 v48, v43, v27, v23
	ds_read_b128 v[21:24], v73 offset:800
	v_pk_fma_f16 v46, v43, v50, v46
	v_pk_fma_f16 v50, v43, v28, v42
	ds_read2_b32 v[42:43], v81 offset0:64 offset1:96
	ds_read_b128 v[25:28], v73 offset:816
	s_waitcnt lgkmcnt(2)
	v_mul_u32_u24_sdwa v82, v21, s19 dst_sel:DWORD dst_unused:UNUSED_PAD src0_sel:WORD_0 src1_sel:DWORD
	v_mul_u32_u24_sdwa v21, v21, s19 dst_sel:DWORD dst_unused:UNUSED_PAD src0_sel:WORD_1 src1_sel:DWORD
	v_mul_u32_u24_sdwa v83, v22, s19 dst_sel:DWORD dst_unused:UNUSED_PAD src0_sel:WORD_0 src1_sel:DWORD
	v_mul_u32_u24_sdwa v22, v22, s19 dst_sel:DWORD dst_unused:UNUSED_PAD src0_sel:WORD_1 src1_sel:DWORD
	v_mul_u32_u24_sdwa v84, v23, s19 dst_sel:DWORD dst_unused:UNUSED_PAD src0_sel:WORD_0 src1_sel:DWORD
	v_mul_u32_u24_sdwa v23, v23, s19 dst_sel:DWORD dst_unused:UNUSED_PAD src0_sel:WORD_1 src1_sel:DWORD
	v_mul_u32_u24_sdwa v85, v24, s19 dst_sel:DWORD dst_unused:UNUSED_PAD src0_sel:WORD_0 src1_sel:DWORD
	v_mul_u32_u24_sdwa v24, v24, s19 dst_sel:DWORD dst_unused:UNUSED_PAD src0_sel:WORD_1 src1_sel:DWORD
	s_waitcnt lgkmcnt(1)
	v_pk_fma_f16 v79, v42, v82, v79
	v_pk_fma_f16 v21, v42, v21, v80
	v_pk_fma_f16 v44, v42, v83, v44
	v_pk_fma_f16 v22, v42, v22, v47
	v_pk_fma_f16 v45, v42, v84, v45
	v_pk_fma_f16 v23, v42, v23, v48
	v_pk_fma_f16 v46, v42, v85, v46
	v_pk_fma_f16 v42, v42, v24, v50
	s_waitcnt lgkmcnt(0)
	v_mul_u32_u24_sdwa v24, v25, s19 dst_sel:DWORD dst_unused:UNUSED_PAD src0_sel:WORD_0 src1_sel:DWORD
	v_mul_u32_u24_sdwa v25, v25, s19 dst_sel:DWORD dst_unused:UNUSED_PAD src0_sel:WORD_1 src1_sel:DWORD
	v_mul_u32_u24_sdwa v47, v26, s19 dst_sel:DWORD dst_unused:UNUSED_PAD src0_sel:WORD_0 src1_sel:DWORD
	v_mul_u32_u24_sdwa v26, v26, s19 dst_sel:DWORD dst_unused:UNUSED_PAD src0_sel:WORD_1 src1_sel:DWORD
	v_mul_u32_u24_sdwa v48, v27, s19 dst_sel:DWORD dst_unused:UNUSED_PAD src0_sel:WORD_0 src1_sel:DWORD
	v_mul_u32_u24_sdwa v27, v27, s19 dst_sel:DWORD dst_unused:UNUSED_PAD src0_sel:WORD_1 src1_sel:DWORD
	v_mul_u32_u24_sdwa v50, v28, s19 dst_sel:DWORD dst_unused:UNUSED_PAD src0_sel:WORD_0 src1_sel:DWORD
	v_mul_u32_u24_sdwa v28, v28, s19 dst_sel:DWORD dst_unused:UNUSED_PAD src0_sel:WORD_1 src1_sel:DWORD
	v_pk_fma_f16 v79, v43, v24, v79
	v_pk_fma_f16 v80, v43, v25, v21
	v_pk_fma_f16 v44, v43, v47, v44
	v_pk_fma_f16 v47, v43, v26, v22
	v_pk_fma_f16 v45, v43, v48, v45
	v_pk_fma_f16 v48, v43, v27, v23
	ds_read_b128 v[21:24], v73 offset:832
	v_pk_fma_f16 v46, v43, v50, v46
	v_pk_fma_f16 v50, v43, v28, v42
	ds_read2_b32 v[42:43], v81 offset0:128 offset1:160
	;; [unrolled: 38-line block ×3, first 2 shown]
	ds_read_b128 v[25:28], v73 offset:880
	s_waitcnt lgkmcnt(2)
	v_mul_u32_u24_sdwa v81, v21, s19 dst_sel:DWORD dst_unused:UNUSED_PAD src0_sel:WORD_0 src1_sel:DWORD
	v_mul_u32_u24_sdwa v21, v21, s19 dst_sel:DWORD dst_unused:UNUSED_PAD src0_sel:WORD_1 src1_sel:DWORD
	v_mul_u32_u24_sdwa v82, v22, s19 dst_sel:DWORD dst_unused:UNUSED_PAD src0_sel:WORD_0 src1_sel:DWORD
	v_mul_u32_u24_sdwa v22, v22, s19 dst_sel:DWORD dst_unused:UNUSED_PAD src0_sel:WORD_1 src1_sel:DWORD
	;; [unrolled: 2-line block ×4, first 2 shown]
	s_waitcnt lgkmcnt(1)
	v_pk_fma_f16 v79, v42, v81, v79
	v_pk_fma_f16 v21, v42, v21, v80
	;; [unrolled: 1-line block ×8, first 2 shown]
	s_waitcnt lgkmcnt(0)
	v_mul_u32_u24_sdwa v24, v25, s19 dst_sel:DWORD dst_unused:UNUSED_PAD src0_sel:WORD_0 src1_sel:DWORD
	v_mul_u32_u24_sdwa v25, v25, s19 dst_sel:DWORD dst_unused:UNUSED_PAD src0_sel:WORD_1 src1_sel:DWORD
	v_mul_u32_u24_sdwa v47, v26, s19 dst_sel:DWORD dst_unused:UNUSED_PAD src0_sel:WORD_0 src1_sel:DWORD
	v_mul_u32_u24_sdwa v26, v26, s19 dst_sel:DWORD dst_unused:UNUSED_PAD src0_sel:WORD_1 src1_sel:DWORD
	;; [unrolled: 2-line block ×4, first 2 shown]
	v_pk_fma_f16 v79, v43, v24, v79
	v_pk_fma_f16 v80, v43, v25, v21
	;; [unrolled: 1-line block ×6, first 2 shown]
	ds_read_b128 v[21:24], v73 offset:896
	v_add_u32_e32 v81, 0x1c00, v19
	v_pk_fma_f16 v46, v43, v50, v46
	v_pk_fma_f16 v50, v43, v28, v42
	ds_read2_b32 v[42:43], v81 offset1:32
	ds_read_b128 v[25:28], v73 offset:912
	s_waitcnt lgkmcnt(2)
	v_mul_u32_u24_sdwa v82, v21, s19 dst_sel:DWORD dst_unused:UNUSED_PAD src0_sel:WORD_0 src1_sel:DWORD
	v_mul_u32_u24_sdwa v21, v21, s19 dst_sel:DWORD dst_unused:UNUSED_PAD src0_sel:WORD_1 src1_sel:DWORD
	v_mul_u32_u24_sdwa v83, v22, s19 dst_sel:DWORD dst_unused:UNUSED_PAD src0_sel:WORD_0 src1_sel:DWORD
	v_mul_u32_u24_sdwa v22, v22, s19 dst_sel:DWORD dst_unused:UNUSED_PAD src0_sel:WORD_1 src1_sel:DWORD
	;; [unrolled: 2-line block ×4, first 2 shown]
	s_waitcnt lgkmcnt(1)
	v_pk_fma_f16 v79, v42, v82, v79
	v_pk_fma_f16 v21, v42, v21, v80
	;; [unrolled: 1-line block ×8, first 2 shown]
	s_waitcnt lgkmcnt(0)
	v_mul_u32_u24_sdwa v24, v25, s19 dst_sel:DWORD dst_unused:UNUSED_PAD src0_sel:WORD_0 src1_sel:DWORD
	v_mul_u32_u24_sdwa v25, v25, s19 dst_sel:DWORD dst_unused:UNUSED_PAD src0_sel:WORD_1 src1_sel:DWORD
	v_mul_u32_u24_sdwa v47, v26, s19 dst_sel:DWORD dst_unused:UNUSED_PAD src0_sel:WORD_0 src1_sel:DWORD
	v_mul_u32_u24_sdwa v26, v26, s19 dst_sel:DWORD dst_unused:UNUSED_PAD src0_sel:WORD_1 src1_sel:DWORD
	;; [unrolled: 2-line block ×4, first 2 shown]
	v_pk_fma_f16 v79, v43, v24, v79
	v_pk_fma_f16 v80, v43, v25, v21
	;; [unrolled: 1-line block ×6, first 2 shown]
	ds_read_b128 v[21:24], v73 offset:928
	v_pk_fma_f16 v46, v43, v50, v46
	v_pk_fma_f16 v50, v43, v28, v42
	ds_read2_b32 v[42:43], v81 offset0:64 offset1:96
	ds_read_b128 v[25:28], v73 offset:944
	s_waitcnt lgkmcnt(2)
	v_mul_u32_u24_sdwa v82, v21, s19 dst_sel:DWORD dst_unused:UNUSED_PAD src0_sel:WORD_0 src1_sel:DWORD
	v_mul_u32_u24_sdwa v21, v21, s19 dst_sel:DWORD dst_unused:UNUSED_PAD src0_sel:WORD_1 src1_sel:DWORD
	v_mul_u32_u24_sdwa v83, v22, s19 dst_sel:DWORD dst_unused:UNUSED_PAD src0_sel:WORD_0 src1_sel:DWORD
	v_mul_u32_u24_sdwa v22, v22, s19 dst_sel:DWORD dst_unused:UNUSED_PAD src0_sel:WORD_1 src1_sel:DWORD
	;; [unrolled: 2-line block ×4, first 2 shown]
	s_waitcnt lgkmcnt(1)
	v_pk_fma_f16 v79, v42, v82, v79
	v_pk_fma_f16 v21, v42, v21, v80
	;; [unrolled: 1-line block ×8, first 2 shown]
	s_waitcnt lgkmcnt(0)
	v_mul_u32_u24_sdwa v24, v25, s19 dst_sel:DWORD dst_unused:UNUSED_PAD src0_sel:WORD_0 src1_sel:DWORD
	v_mul_u32_u24_sdwa v25, v25, s19 dst_sel:DWORD dst_unused:UNUSED_PAD src0_sel:WORD_1 src1_sel:DWORD
	v_mul_u32_u24_sdwa v47, v26, s19 dst_sel:DWORD dst_unused:UNUSED_PAD src0_sel:WORD_0 src1_sel:DWORD
	v_mul_u32_u24_sdwa v26, v26, s19 dst_sel:DWORD dst_unused:UNUSED_PAD src0_sel:WORD_1 src1_sel:DWORD
	;; [unrolled: 2-line block ×4, first 2 shown]
	v_pk_fma_f16 v79, v43, v24, v79
	v_pk_fma_f16 v80, v43, v25, v21
	;; [unrolled: 1-line block ×6, first 2 shown]
	ds_read_b128 v[21:24], v73 offset:960
	v_pk_fma_f16 v46, v43, v50, v46
	v_pk_fma_f16 v50, v43, v28, v42
	ds_read2_b32 v[42:43], v81 offset0:128 offset1:160
	ds_read_b128 v[25:28], v73 offset:976
	s_waitcnt lgkmcnt(2)
	v_mul_u32_u24_sdwa v82, v21, s19 dst_sel:DWORD dst_unused:UNUSED_PAD src0_sel:WORD_0 src1_sel:DWORD
	v_mul_u32_u24_sdwa v21, v21, s19 dst_sel:DWORD dst_unused:UNUSED_PAD src0_sel:WORD_1 src1_sel:DWORD
	v_mul_u32_u24_sdwa v83, v22, s19 dst_sel:DWORD dst_unused:UNUSED_PAD src0_sel:WORD_0 src1_sel:DWORD
	v_mul_u32_u24_sdwa v22, v22, s19 dst_sel:DWORD dst_unused:UNUSED_PAD src0_sel:WORD_1 src1_sel:DWORD
	;; [unrolled: 2-line block ×4, first 2 shown]
	s_waitcnt lgkmcnt(1)
	v_pk_fma_f16 v79, v42, v82, v79
	v_pk_fma_f16 v21, v42, v21, v80
	;; [unrolled: 1-line block ×8, first 2 shown]
	s_waitcnt lgkmcnt(0)
	v_mul_u32_u24_sdwa v24, v25, s19 dst_sel:DWORD dst_unused:UNUSED_PAD src0_sel:WORD_0 src1_sel:DWORD
	v_mul_u32_u24_sdwa v25, v25, s19 dst_sel:DWORD dst_unused:UNUSED_PAD src0_sel:WORD_1 src1_sel:DWORD
	v_mul_u32_u24_sdwa v47, v26, s19 dst_sel:DWORD dst_unused:UNUSED_PAD src0_sel:WORD_0 src1_sel:DWORD
	v_mul_u32_u24_sdwa v26, v26, s19 dst_sel:DWORD dst_unused:UNUSED_PAD src0_sel:WORD_1 src1_sel:DWORD
	;; [unrolled: 2-line block ×4, first 2 shown]
	v_pk_fma_f16 v82, v43, v24, v79
	v_pk_fma_f16 v83, v43, v25, v21
	;; [unrolled: 1-line block ×6, first 2 shown]
	ds_read_b128 v[21:24], v73 offset:992
	v_pk_fma_f16 v42, v43, v28, v42
	ds_read2_b32 v[79:80], v81 offset0:192 offset1:224
	ds_read_b128 v[25:28], v73 offset:1008
	s_waitcnt lgkmcnt(0)
	s_barrier
	s_load_dword s39, s[10:11], 0x4
	v_pk_fma_f16 v46, v43, v50, v46
	v_mul_u32_u24_sdwa v43, v21, s19 dst_sel:DWORD dst_unused:UNUSED_PAD src0_sel:WORD_0 src1_sel:DWORD
	v_mul_u32_u24_sdwa v21, v21, s19 dst_sel:DWORD dst_unused:UNUSED_PAD src0_sel:WORD_1 src1_sel:DWORD
	v_mul_u32_u24_sdwa v50, v22, s19 dst_sel:DWORD dst_unused:UNUSED_PAD src0_sel:WORD_0 src1_sel:DWORD
	v_mul_u32_u24_sdwa v22, v22, s19 dst_sel:DWORD dst_unused:UNUSED_PAD src0_sel:WORD_1 src1_sel:DWORD
	;; [unrolled: 2-line block ×4, first 2 shown]
	s_waitcnt lgkmcnt(0)
	s_lshl_b32 s39, s39, 6
	v_pk_fma_f16 v43, v79, v43, v82
	v_pk_fma_f16 v21, v79, v21, v83
	;; [unrolled: 1-line block ×8, first 2 shown]
	v_mul_u32_u24_sdwa v42, v25, s19 dst_sel:DWORD dst_unused:UNUSED_PAD src0_sel:WORD_0 src1_sel:DWORD
	v_mul_u32_u24_sdwa v25, v25, s19 dst_sel:DWORD dst_unused:UNUSED_PAD src0_sel:WORD_1 src1_sel:DWORD
	v_mul_u32_u24_sdwa v46, v26, s19 dst_sel:DWORD dst_unused:UNUSED_PAD src0_sel:WORD_0 src1_sel:DWORD
	v_mul_u32_u24_sdwa v26, v26, s19 dst_sel:DWORD dst_unused:UNUSED_PAD src0_sel:WORD_1 src1_sel:DWORD
	;; [unrolled: 2-line block ×4, first 2 shown]
	s_add_i32 s36, s39, s36
	v_pk_fma_f16 v50, v80, v42, v43
	v_pk_fma_f16 v48, v80, v25, v21
	;; [unrolled: 1-line block ×7, first 2 shown]
	s_cmp_lt_i32 s36, s15
	v_pk_fma_f16 v42, v80, v28, v24
	s_cbranch_scc0 .LBB52_45
; %bb.42:                               ;   in Loop: Header=BB52_8 Depth=1
	v_mov_b32_e32 v94, v2
	v_mov_b32_e32 v92, v3
	;; [unrolled: 1-line block ×16, first 2 shown]
	s_branch .LBB52_8
.LBB52_43:
	v_mov_b32_e32 v50, 0
	v_mov_b32_e32 v9, 0xfeffffff
	;; [unrolled: 1-line block ×23, first 2 shown]
	v_lshlrev_b32_e32 v54, 1, v0
	s_cmp_gt_i32 s46, s36
	s_cbranch_scc0 .LBB52_46
.LBB52_44:
                                        ; implicit-def: $vgpr65
                                        ; implicit-def: $vgpr66
                                        ; implicit-def: $vgpr68
                                        ; implicit-def: $vgpr69
                                        ; implicit-def: $vgpr70
                                        ; implicit-def: $vgpr72
                                        ; implicit-def: $vgpr71
                                        ; implicit-def: $vgpr10_vgpr11_vgpr12_vgpr13_vgpr14_vgpr15_vgpr16_vgpr17
	s_branch .LBB52_47
.LBB52_45:
	v_or_b32_e32 v112, 7, v40
	v_or_b32_e32 v113, 6, v40
	;; [unrolled: 1-line block ×7, first 2 shown]
	v_lshlrev_b32_e32 v54, 1, v0
	s_cmp_gt_i32 s46, s36
	s_cbranch_scc1 .LBB52_44
.LBB52_46:
	v_mbcnt_hi_u32_b32 v65, -1, v52
	v_and_b32_e32 v10, 0x60, v65
	v_add_u32_e32 v66, 32, v10
	v_mov_b32_e32 v17, v9
	v_xor_b32_e32 v68, 16, v65
	v_xor_b32_e32 v69, 8, v65
	;; [unrolled: 1-line block ×5, first 2 shown]
	v_mov_b32_e32 v16, v8
	v_mov_b32_e32 v15, v7
	v_mov_b32_e32 v14, v6
	v_mov_b32_e32 v13, v5
	v_mov_b32_e32 v12, v4
	v_mov_b32_e32 v11, v3
	v_mov_b32_e32 v10, v2
	s_cbranch_execnz .LBB52_127
.LBB52_47:
	v_lshl_add_u32 v64, v1, 2, v63
	v_mul_lo_u32 v15, s12, v64
	s_mul_hi_i32 s11, s36, s12
	s_mul_i32 s10, s36, s12
	s_mov_b64 s[6:7], src_private_base
	s_sub_i32 s39, s46, s36
	s_lshl_b64 s[10:11], s[10:11], 2
	v_ashrrev_i32_e32 v16, 31, v15
	s_add_u32 s6, s13, s10
	v_lshlrev_b64 v[10:11], 2, v[15:16]
	s_addc_u32 s10, s14, s11
	v_and_b32_e32 v1, 28, v19
	v_mov_b32_e32 v12, s10
	v_add_co_u32_e32 v10, vcc, s6, v10
	v_lshlrev_b32_e32 v1, 2, v1
	v_addc_co_u32_e32 v11, vcc, v12, v11, vcc
	v_add_co_u32_e32 v10, vcc, v10, v1
	v_mov_b32_e32 v14, 0
	v_addc_co_u32_e32 v11, vcc, 0, v11, vcc
	v_mov_b32_e32 v17, s7
	v_cmp_gt_i32_e64 s[16:17], s39, v64
	v_mov_b32_e32 v23, 0
	buffer_store_dword v14, off, s[0:3], 0
	buffer_store_dword v14, off, s[0:3], 0 offset:4
	buffer_store_dword v14, off, s[0:3], 0 offset:8
	;; [unrolled: 1-line block ×3, first 2 shown]
	v_cndmask_b32_e64 v11, v17, v11, s[16:17]
	v_cndmask_b32_e64 v10, v23, v10, s[16:17]
	flat_load_dwordx4 v[10:13], v[10:11]
	v_lshl_add_u32 v21, s12, 5, v15
	v_ashrrev_i32_e32 v22, 31, v21
	v_lshlrev_b64 v[21:22], 2, v[21:22]
	v_mov_b32_e32 v24, s10
	v_add_co_u32_e32 v15, vcc, s6, v21
	v_addc_co_u32_e32 v21, vcc, v24, v22, vcc
	s_movk_i32 s7, 0x90
	v_add_u32_e32 v63, 32, v64
	v_add_co_u32_e32 v15, vcc, v15, v1
	v_mad_u32_u24 v16, v64, s7, v1
	v_addc_co_u32_e32 v21, vcc, 0, v21, vcc
	v_cmp_gt_i32_e64 s[6:7], s39, v63
	buffer_store_dword v14, off, s[0:3], 0
	buffer_store_dword v14, off, s[0:3], 0 offset:4
	buffer_store_dword v14, off, s[0:3], 0 offset:8
	;; [unrolled: 1-line block ×3, first 2 shown]
	v_cndmask_b32_e64 v22, v17, v21, s[6:7]
	v_cndmask_b32_e64 v21, v23, v15, s[6:7]
	v_mul_u32_u24_e32 v15, 0x90, v0
	v_mov_b32_e32 v85, 0
	v_mov_b32_e32 v83, 0
	;; [unrolled: 1-line block ×16, first 2 shown]
	s_cmp_lg_u64 s[44:45], 0
	s_cselect_b64 s[10:11], -1, 0
	v_cmp_gt_i32_e64 s[12:13], s39, v0
	s_waitcnt vmcnt(0) lgkmcnt(0)
	ds_write_b128 v16, v[10:13]
	flat_load_dwordx4 v[10:13], v[21:22]
	s_waitcnt vmcnt(0) lgkmcnt(0)
	ds_write_b128 v16, v[10:13] offset:4608
	s_waitcnt lgkmcnt(0)
	s_barrier
	ds_read_b128 v[10:13], v15
	ds_read_b128 v[21:24], v15 offset:4608
	ds_read_b128 v[25:28], v18 offset:17408
	;; [unrolled: 1-line block ×9, first 2 shown]
	s_waitcnt lgkmcnt(7)
	;;#ASMSTART
	v_dot2_f32_f16 v85, v10, v25, v85
	;;#ASMEND
	;;#ASMSTART
	v_dot2_f32_f16 v85, v11, v26, v85
	;;#ASMEND
	;;#ASMSTART
	v_dot2_f32_f16 v85, v12, v27, v85
	;;#ASMEND
	;;#ASMSTART
	v_dot2_f32_f16 v85, v13, v28, v85
	;;#ASMEND
	s_waitcnt lgkmcnt(6)
	;;#ASMSTART
	v_dot2_f32_f16 v83, v10, v68, v83
	;;#ASMEND
	;;#ASMSTART
	v_dot2_f32_f16 v83, v11, v69, v83
	;;#ASMEND
	;;#ASMSTART
	v_dot2_f32_f16 v83, v12, v70, v83
	;;#ASMEND
	;;#ASMSTART
	v_dot2_f32_f16 v83, v13, v71, v83
	;;#ASMEND
	;; [unrolled: 13-line block ×8, first 2 shown]
	;;#ASMSTART
	v_dot2_f32_f16 v87, v21, v25, v87
	;;#ASMEND
	;;#ASMSTART
	v_dot2_f32_f16 v87, v22, v26, v87
	;;#ASMEND
	;; [unrolled: 3-line block ×32, first 2 shown]
	ds_read_b128 v[21:24], v15 offset:16
	ds_read_b128 v[10:13], v15 offset:4624
	;; [unrolled: 1-line block ×10, first 2 shown]
	s_waitcnt lgkmcnt(7)
	;;#ASMSTART
	v_dot2_f32_f16 v85, v21, v25, v85
	;;#ASMEND
	;;#ASMSTART
	v_dot2_f32_f16 v85, v22, v26, v85
	;;#ASMEND
	;;#ASMSTART
	v_dot2_f32_f16 v85, v23, v27, v85
	;;#ASMEND
	;;#ASMSTART
	v_dot2_f32_f16 v85, v24, v28, v85
	;;#ASMEND
	s_waitcnt lgkmcnt(6)
	;;#ASMSTART
	v_dot2_f32_f16 v83, v21, v68, v83
	;;#ASMEND
	;;#ASMSTART
	v_dot2_f32_f16 v83, v22, v69, v83
	;;#ASMEND
	;;#ASMSTART
	v_dot2_f32_f16 v83, v23, v70, v83
	;;#ASMEND
	;;#ASMSTART
	v_dot2_f32_f16 v83, v24, v71, v83
	;;#ASMEND
	;; [unrolled: 13-line block ×8, first 2 shown]
	;;#ASMSTART
	v_dot2_f32_f16 v87, v10, v25, v87
	;;#ASMEND
	;;#ASMSTART
	v_dot2_f32_f16 v87, v11, v26, v87
	;;#ASMEND
	;; [unrolled: 3-line block ×32, first 2 shown]
	ds_read_b128 v[21:24], v15 offset:32
	ds_read_b128 v[10:13], v15 offset:4640
	;; [unrolled: 1-line block ×10, first 2 shown]
	s_waitcnt lgkmcnt(7)
	;;#ASMSTART
	v_dot2_f32_f16 v85, v21, v25, v85
	;;#ASMEND
	;;#ASMSTART
	v_dot2_f32_f16 v85, v22, v26, v85
	;;#ASMEND
	;;#ASMSTART
	v_dot2_f32_f16 v85, v23, v27, v85
	;;#ASMEND
	;;#ASMSTART
	v_dot2_f32_f16 v85, v24, v28, v85
	;;#ASMEND
	s_waitcnt lgkmcnt(6)
	;;#ASMSTART
	v_dot2_f32_f16 v83, v21, v68, v83
	;;#ASMEND
	;;#ASMSTART
	v_dot2_f32_f16 v83, v22, v69, v83
	;;#ASMEND
	;;#ASMSTART
	v_dot2_f32_f16 v83, v23, v70, v83
	;;#ASMEND
	;;#ASMSTART
	v_dot2_f32_f16 v83, v24, v71, v83
	;;#ASMEND
	;; [unrolled: 13-line block ×8, first 2 shown]
	;;#ASMSTART
	v_dot2_f32_f16 v87, v10, v25, v87
	;;#ASMEND
	;;#ASMSTART
	v_dot2_f32_f16 v87, v11, v26, v87
	;;#ASMEND
	;; [unrolled: 3-line block ×32, first 2 shown]
	ds_read_b128 v[21:24], v15 offset:48
	ds_read_b128 v[10:13], v15 offset:4656
	;; [unrolled: 1-line block ×10, first 2 shown]
	s_waitcnt lgkmcnt(7)
	;;#ASMSTART
	v_dot2_f32_f16 v85, v21, v25, v85
	;;#ASMEND
	;;#ASMSTART
	v_dot2_f32_f16 v85, v22, v26, v85
	;;#ASMEND
	;;#ASMSTART
	v_dot2_f32_f16 v85, v23, v27, v85
	;;#ASMEND
	;;#ASMSTART
	v_dot2_f32_f16 v85, v24, v28, v85
	;;#ASMEND
	s_waitcnt lgkmcnt(6)
	;;#ASMSTART
	v_dot2_f32_f16 v83, v21, v68, v83
	;;#ASMEND
	;;#ASMSTART
	v_dot2_f32_f16 v83, v22, v69, v83
	;;#ASMEND
	;;#ASMSTART
	v_dot2_f32_f16 v83, v23, v70, v83
	;;#ASMEND
	;;#ASMSTART
	v_dot2_f32_f16 v83, v24, v71, v83
	;;#ASMEND
	;; [unrolled: 13-line block ×8, first 2 shown]
	;;#ASMSTART
	v_dot2_f32_f16 v87, v10, v25, v87
	;;#ASMEND
	;;#ASMSTART
	v_dot2_f32_f16 v87, v11, v26, v87
	;;#ASMEND
	;; [unrolled: 3-line block ×32, first 2 shown]
	ds_read_b128 v[21:24], v15 offset:64
	ds_read_b128 v[10:13], v15 offset:4672
	;; [unrolled: 1-line block ×10, first 2 shown]
	s_waitcnt lgkmcnt(7)
	;;#ASMSTART
	v_dot2_f32_f16 v85, v21, v25, v85
	;;#ASMEND
	;;#ASMSTART
	v_dot2_f32_f16 v85, v22, v26, v85
	;;#ASMEND
	;;#ASMSTART
	v_dot2_f32_f16 v85, v23, v27, v85
	;;#ASMEND
	;;#ASMSTART
	v_dot2_f32_f16 v85, v24, v28, v85
	;;#ASMEND
	s_waitcnt lgkmcnt(6)
	;;#ASMSTART
	v_dot2_f32_f16 v83, v21, v68, v83
	;;#ASMEND
	;;#ASMSTART
	v_dot2_f32_f16 v83, v22, v69, v83
	;;#ASMEND
	;;#ASMSTART
	v_dot2_f32_f16 v83, v23, v70, v83
	;;#ASMEND
	;;#ASMSTART
	v_dot2_f32_f16 v83, v24, v71, v83
	;;#ASMEND
	;; [unrolled: 13-line block ×8, first 2 shown]
	;;#ASMSTART
	v_dot2_f32_f16 v87, v10, v25, v87
	;;#ASMEND
	;;#ASMSTART
	v_dot2_f32_f16 v87, v11, v26, v87
	;;#ASMEND
	;; [unrolled: 3-line block ×32, first 2 shown]
	ds_read_b128 v[21:24], v15 offset:80
	ds_read_b128 v[10:13], v15 offset:4688
	;; [unrolled: 1-line block ×10, first 2 shown]
	s_waitcnt lgkmcnt(7)
	;;#ASMSTART
	v_dot2_f32_f16 v85, v21, v25, v85
	;;#ASMEND
	;;#ASMSTART
	v_dot2_f32_f16 v85, v22, v26, v85
	;;#ASMEND
	;;#ASMSTART
	v_dot2_f32_f16 v85, v23, v27, v85
	;;#ASMEND
	;;#ASMSTART
	v_dot2_f32_f16 v85, v24, v28, v85
	;;#ASMEND
	s_waitcnt lgkmcnt(6)
	;;#ASMSTART
	v_dot2_f32_f16 v83, v21, v68, v83
	;;#ASMEND
	;;#ASMSTART
	v_dot2_f32_f16 v83, v22, v69, v83
	;;#ASMEND
	;;#ASMSTART
	v_dot2_f32_f16 v83, v23, v70, v83
	;;#ASMEND
	;;#ASMSTART
	v_dot2_f32_f16 v83, v24, v71, v83
	;;#ASMEND
	;; [unrolled: 13-line block ×8, first 2 shown]
	;;#ASMSTART
	v_dot2_f32_f16 v87, v10, v25, v87
	;;#ASMEND
	;;#ASMSTART
	v_dot2_f32_f16 v87, v11, v26, v87
	;;#ASMEND
	;; [unrolled: 3-line block ×32, first 2 shown]
	ds_read_b128 v[21:24], v15 offset:96
	ds_read_b128 v[10:13], v15 offset:4704
	;; [unrolled: 1-line block ×10, first 2 shown]
	s_waitcnt lgkmcnt(7)
	;;#ASMSTART
	v_dot2_f32_f16 v85, v21, v25, v85
	;;#ASMEND
	;;#ASMSTART
	v_dot2_f32_f16 v85, v22, v26, v85
	;;#ASMEND
	;;#ASMSTART
	v_dot2_f32_f16 v85, v23, v27, v85
	;;#ASMEND
	;;#ASMSTART
	v_dot2_f32_f16 v85, v24, v28, v85
	;;#ASMEND
	s_waitcnt lgkmcnt(6)
	;;#ASMSTART
	v_dot2_f32_f16 v83, v21, v68, v83
	;;#ASMEND
	;;#ASMSTART
	v_dot2_f32_f16 v83, v22, v69, v83
	;;#ASMEND
	;;#ASMSTART
	v_dot2_f32_f16 v83, v23, v70, v83
	;;#ASMEND
	;;#ASMSTART
	v_dot2_f32_f16 v83, v24, v71, v83
	;;#ASMEND
	;; [unrolled: 13-line block ×8, first 2 shown]
	;;#ASMSTART
	v_dot2_f32_f16 v87, v10, v25, v87
	;;#ASMEND
	;;#ASMSTART
	v_dot2_f32_f16 v87, v11, v26, v87
	;;#ASMEND
	;; [unrolled: 3-line block ×32, first 2 shown]
	ds_read_b128 v[21:24], v15 offset:112
	ds_read_b128 v[10:13], v15 offset:4720
	;; [unrolled: 1-line block ×10, first 2 shown]
	s_waitcnt lgkmcnt(7)
	;;#ASMSTART
	v_dot2_f32_f16 v85, v21, v25, v85
	;;#ASMEND
	;;#ASMSTART
	v_dot2_f32_f16 v85, v22, v26, v85
	;;#ASMEND
	;;#ASMSTART
	v_dot2_f32_f16 v85, v23, v27, v85
	;;#ASMEND
	;;#ASMSTART
	v_dot2_f32_f16 v85, v24, v28, v85
	;;#ASMEND
	s_waitcnt lgkmcnt(6)
	;;#ASMSTART
	v_dot2_f32_f16 v83, v21, v68, v83
	;;#ASMEND
	;;#ASMSTART
	v_dot2_f32_f16 v83, v22, v69, v83
	;;#ASMEND
	;;#ASMSTART
	v_dot2_f32_f16 v83, v23, v70, v83
	;;#ASMEND
	;;#ASMSTART
	v_dot2_f32_f16 v83, v24, v71, v83
	;;#ASMEND
	;; [unrolled: 13-line block ×8, first 2 shown]
	;;#ASMSTART
	v_dot2_f32_f16 v87, v10, v25, v87
	;;#ASMEND
	;;#ASMSTART
	v_dot2_f32_f16 v87, v11, v26, v87
	;;#ASMEND
	;; [unrolled: 3-line block ×31, first 2 shown]
	v_cndmask_b32_e64 v11, 0, 1, s[10:11]
	;;#ASMSTART
	v_dot2_f32_f16 v74, v13, v111, v74
	;;#ASMEND
	v_add_u32_e32 v10, s36, v53
	v_cmp_ne_u32_e64 s[10:11], 1, v11
	v_mov_b32_e32 v13, v2
	s_and_saveexec_b64 s[14:15], s[12:13]
	s_cbranch_execz .LBB52_51
; %bb.48:
	s_and_b64 vcc, exec, s[10:11]
	s_cbranch_vccnz .LBB52_50
; %bb.49:
	v_add_u32_e32 v11, v10, v0
	v_ashrrev_i32_e32 v12, 31, v11
	v_lshlrev_b64 v[11:12], 1, v[11:12]
	v_mov_b32_e32 v13, s45
	v_add_co_u32_e32 v11, vcc, s44, v11
	v_addc_co_u32_e32 v12, vcc, v13, v12, vcc
	global_load_ushort v11, v[11:12], off
	s_waitcnt vmcnt(0)
	v_cvt_f32_f16_e32 v11, v11
	v_mul_f32_e32 v14, v20, v11
.LBB52_50:
	v_add_f32_e32 v85, v85, v14
	v_add_f32_e32 v11, 0x40051340, v85
	v_max_f32_e32 v12, v2, v2
	v_max_f32_e32 v13, v12, v11
.LBB52_51:
	s_or_b64 exec, exec, s[14:15]
	v_add_u32_e32 v53, 32, v0
	v_cmp_gt_i32_e64 s[14:15], s39, v53
	s_and_saveexec_b64 s[18:19], s[14:15]
	s_cbranch_execz .LBB52_56
; %bb.52:
	s_and_b64 vcc, exec, s[10:11]
	s_cbranch_vccnz .LBB52_54
; %bb.53:
	v_ashrrev_i32_e32 v11, 31, v10
	v_add_co_u32_e32 v10, vcc, v10, v0
	v_addc_co_u32_e32 v11, vcc, 0, v11, vcc
	v_lshlrev_b64 v[10:11], 1, v[10:11]
	v_mov_b32_e32 v12, s45
	v_add_co_u32_e32 v10, vcc, s44, v10
	v_addc_co_u32_e32 v11, vcc, v12, v11, vcc
	global_load_ushort v10, v[10:11], off offset:64
	s_waitcnt vmcnt(0)
	v_cvt_f32_f16_e32 v10, v10
	v_mul_f32_e32 v10, v20, v10
	s_branch .LBB52_55
.LBB52_54:
	v_mov_b32_e32 v10, 0
.LBB52_55:
	v_add_f32_e32 v87, v87, v10
	v_add_f32_e32 v10, 0x40051340, v87
	v_max_f32_e32 v11, v13, v13
	v_max_f32_e32 v13, v11, v10
.LBB52_56:
	s_or_b64 exec, exec, s[18:19]
	v_mbcnt_hi_u32_b32 v65, -1, v52
	v_and_b32_e32 v10, 0x60, v65
	v_add_u32_e32 v66, 32, v10
	v_xor_b32_e32 v68, 16, v65
	v_cmp_lt_i32_e32 vcc, v68, v66
	v_cndmask_b32_e32 v10, v65, v68, vcc
	v_lshlrev_b32_e32 v11, 2, v10
	ds_bpermute_b32 v14, v11, v13
	v_xor_b32_e32 v69, 8, v65
	v_cmp_lt_i32_e32 vcc, v69, v66
	v_cndmask_b32_e32 v10, v65, v69, vcc
	v_max_f32_e32 v13, v13, v13
	s_waitcnt lgkmcnt(0)
	v_max_f32_e32 v14, v14, v14
	v_lshlrev_b32_e32 v10, 2, v10
	v_max_f32_e32 v13, v13, v14
	ds_bpermute_b32 v14, v10, v13
	v_xor_b32_e32 v70, 4, v65
	v_cmp_lt_i32_e32 vcc, v70, v66
	v_cndmask_b32_e32 v12, v65, v70, vcc
	v_lshlrev_b32_e32 v12, 2, v12
	s_waitcnt lgkmcnt(0)
	v_max_f32_e32 v14, v14, v14
	v_max_f32_e32 v13, v13, v14
	ds_bpermute_b32 v14, v12, v13
	v_xor_b32_e32 v72, 2, v65
	v_mul_hi_u32 v16, s28, v51
	v_cmp_lt_i32_e32 vcc, v72, v66
	v_cndmask_b32_e32 v15, v65, v72, vcc
	s_waitcnt lgkmcnt(0)
	v_max_f32_e32 v14, v14, v14
	v_lshlrev_b32_e32 v17, 2, v15
	v_max_f32_e32 v13, v13, v14
	ds_bpermute_b32 v14, v17, v13
	v_add_u32_e32 v16, v51, v16
	v_lshrrev_b32_e32 v16, s29, v16
	v_mul_lo_u32 v16, v16, s30
	v_xor_b32_e32 v71, 1, v65
	v_cmp_lt_i32_e32 vcc, v71, v66
	v_cndmask_b32_e32 v15, v65, v71, vcc
	s_waitcnt lgkmcnt(0)
	v_max_f32_e32 v14, v14, v14
	v_lshlrev_b32_e32 v88, 2, v15
	v_max_f32_e32 v52, v13, v14
	v_sub_u32_e32 v13, v51, v16
	v_mul_lo_u32 v13, v13, s38
	ds_bpermute_b32 v51, v88, v52
	v_add_u32_e32 v14, s36, v13
	v_mov_b32_e32 v13, v3
	s_and_saveexec_b64 s[18:19], s[12:13]
	s_cbranch_execz .LBB52_61
; %bb.57:
	s_and_b64 vcc, exec, s[10:11]
	s_cbranch_vccnz .LBB52_59
; %bb.58:
	v_add_u32_e32 v15, v14, v0
	v_ashrrev_i32_e32 v16, 31, v15
	v_lshlrev_b64 v[15:16], 1, v[15:16]
	v_mov_b32_e32 v13, s45
	v_add_co_u32_e32 v15, vcc, s44, v15
	v_addc_co_u32_e32 v16, vcc, v13, v16, vcc
	global_load_ushort v13, v[15:16], off
	s_waitcnt vmcnt(0)
	v_cvt_f32_f16_e32 v13, v13
	v_mul_f32_e32 v13, v20, v13
	s_branch .LBB52_60
.LBB52_59:
	v_mov_b32_e32 v13, 0
.LBB52_60:
	v_add_f32_e32 v83, v83, v13
	v_add_f32_e32 v13, 0x40051340, v83
	v_max_f32_e32 v15, v3, v3
	v_max_f32_e32 v13, v15, v13
.LBB52_61:
	s_or_b64 exec, exec, s[18:19]
	s_and_saveexec_b64 s[18:19], s[14:15]
	s_cbranch_execz .LBB52_66
; %bb.62:
	s_and_b64 vcc, exec, s[10:11]
	s_cbranch_vccnz .LBB52_64
; %bb.63:
	v_ashrrev_i32_e32 v15, 31, v14
	v_add_co_u32_e32 v14, vcc, v14, v0
	v_addc_co_u32_e32 v15, vcc, 0, v15, vcc
	v_lshlrev_b64 v[14:15], 1, v[14:15]
	v_mov_b32_e32 v16, s45
	v_add_co_u32_e32 v14, vcc, s44, v14
	v_addc_co_u32_e32 v15, vcc, v16, v15, vcc
	global_load_ushort v14, v[14:15], off offset:64
	s_waitcnt vmcnt(0)
	v_cvt_f32_f16_e32 v14, v14
	v_mul_f32_e32 v14, v20, v14
	s_branch .LBB52_65
.LBB52_64:
	v_mov_b32_e32 v14, 0
.LBB52_65:
	v_add_f32_e32 v86, v86, v14
	v_add_f32_e32 v14, 0x40051340, v86
	v_max_f32_e32 v13, v13, v13
	v_max_f32_e32 v13, v13, v14
.LBB52_66:
	s_or_b64 exec, exec, s[18:19]
	ds_bpermute_b32 v14, v11, v13
	v_max_f32_e32 v13, v13, v13
	v_mul_hi_u32 v15, s28, v49
	s_waitcnt lgkmcnt(0)
	v_max_f32_e32 v14, v14, v14
	v_max_f32_e32 v13, v13, v14
	ds_bpermute_b32 v14, v10, v13
	v_add_u32_e32 v15, v49, v15
	v_lshrrev_b32_e32 v15, s29, v15
	v_mul_lo_u32 v15, v15, s30
	s_waitcnt lgkmcnt(0)
	v_max_f32_e32 v14, v14, v14
	v_max_f32_e32 v13, v13, v14
	ds_bpermute_b32 v14, v12, v13
	v_sub_u32_e32 v15, v49, v15
	s_waitcnt lgkmcnt(0)
	v_max_f32_e32 v14, v14, v14
	v_max_f32_e32 v13, v13, v14
	ds_bpermute_b32 v14, v17, v13
	s_waitcnt lgkmcnt(0)
	v_max_f32_e32 v14, v14, v14
	v_max_f32_e32 v49, v13, v14
	v_mul_lo_u32 v13, v15, s38
	ds_bpermute_b32 v89, v88, v49
	v_add_u32_e32 v14, s36, v13
	v_mov_b32_e32 v13, v4
	s_and_saveexec_b64 s[18:19], s[12:13]
	s_cbranch_execz .LBB52_71
; %bb.67:
	s_and_b64 vcc, exec, s[10:11]
	s_cbranch_vccnz .LBB52_69
; %bb.68:
	v_add_u32_e32 v15, v14, v0
	v_ashrrev_i32_e32 v16, 31, v15
	v_lshlrev_b64 v[15:16], 1, v[15:16]
	v_mov_b32_e32 v13, s45
	v_add_co_u32_e32 v15, vcc, s44, v15
	v_addc_co_u32_e32 v16, vcc, v13, v16, vcc
	global_load_ushort v13, v[15:16], off
	s_waitcnt vmcnt(0)
	v_cvt_f32_f16_e32 v13, v13
	v_mul_f32_e32 v13, v20, v13
	s_branch .LBB52_70
.LBB52_69:
	v_mov_b32_e32 v13, 0
.LBB52_70:
	v_add_f32_e32 v81, v81, v13
	v_add_f32_e32 v13, 0x40051340, v81
	v_max_f32_e32 v15, v4, v4
	v_max_f32_e32 v13, v15, v13
.LBB52_71:
	s_or_b64 exec, exec, s[18:19]
	s_and_saveexec_b64 s[18:19], s[14:15]
	s_cbranch_execz .LBB52_76
; %bb.72:
	s_and_b64 vcc, exec, s[10:11]
	s_cbranch_vccnz .LBB52_74
; %bb.73:
	v_ashrrev_i32_e32 v15, 31, v14
	v_add_co_u32_e32 v14, vcc, v14, v0
	v_addc_co_u32_e32 v15, vcc, 0, v15, vcc
	v_lshlrev_b64 v[14:15], 1, v[14:15]
	v_mov_b32_e32 v16, s45
	v_add_co_u32_e32 v14, vcc, s44, v14
	v_addc_co_u32_e32 v15, vcc, v16, v15, vcc
	global_load_ushort v14, v[14:15], off offset:64
	s_waitcnt vmcnt(0)
	v_cvt_f32_f16_e32 v14, v14
	v_mul_f32_e32 v14, v20, v14
	s_branch .LBB52_75
.LBB52_74:
	v_mov_b32_e32 v14, 0
.LBB52_75:
	v_add_f32_e32 v84, v84, v14
	v_add_f32_e32 v14, 0x40051340, v84
	v_max_f32_e32 v13, v13, v13
	v_max_f32_e32 v13, v13, v14
.LBB52_76:
	s_or_b64 exec, exec, s[18:19]
	ds_bpermute_b32 v14, v11, v13
	v_max_f32_e32 v13, v13, v13
	v_mul_hi_u32 v15, s28, v32
	s_waitcnt lgkmcnt(0)
	v_max_f32_e32 v14, v14, v14
	v_max_f32_e32 v13, v13, v14
	ds_bpermute_b32 v14, v10, v13
	v_add_u32_e32 v15, v32, v15
	v_lshrrev_b32_e32 v15, s29, v15
	v_mul_lo_u32 v15, v15, s30
	s_waitcnt lgkmcnt(0)
	v_max_f32_e32 v14, v14, v14
	v_max_f32_e32 v13, v13, v14
	ds_bpermute_b32 v14, v12, v13
	v_sub_u32_e32 v15, v32, v15
	s_waitcnt lgkmcnt(0)
	v_max_f32_e32 v14, v14, v14
	v_max_f32_e32 v13, v13, v14
	ds_bpermute_b32 v14, v17, v13
	s_waitcnt lgkmcnt(0)
	v_max_f32_e32 v14, v14, v14
	v_max_f32_e32 v25, v13, v14
	v_mul_lo_u32 v13, v15, s38
	ds_bpermute_b32 v90, v88, v25
	v_add_u32_e32 v14, s36, v13
	v_mov_b32_e32 v13, v5
	s_and_saveexec_b64 s[18:19], s[12:13]
	s_cbranch_execz .LBB52_81
; %bb.77:
	s_and_b64 vcc, exec, s[10:11]
	s_cbranch_vccnz .LBB52_79
; %bb.78:
	v_add_u32_e32 v15, v14, v0
	v_ashrrev_i32_e32 v16, 31, v15
	v_lshlrev_b64 v[15:16], 1, v[15:16]
	v_mov_b32_e32 v13, s45
	v_add_co_u32_e32 v15, vcc, s44, v15
	v_addc_co_u32_e32 v16, vcc, v13, v16, vcc
	global_load_ushort v13, v[15:16], off
	s_waitcnt vmcnt(0)
	v_cvt_f32_f16_e32 v13, v13
	v_mul_f32_e32 v13, v20, v13
	s_branch .LBB52_80
.LBB52_79:
	v_mov_b32_e32 v13, 0
.LBB52_80:
	v_add_f32_e32 v79, v79, v13
	v_add_f32_e32 v13, 0x40051340, v79
	v_max_f32_e32 v15, v5, v5
	v_max_f32_e32 v13, v15, v13
.LBB52_81:
	s_or_b64 exec, exec, s[18:19]
	s_and_saveexec_b64 s[18:19], s[14:15]
	s_cbranch_execz .LBB52_86
; %bb.82:
	s_and_b64 vcc, exec, s[10:11]
	s_cbranch_vccnz .LBB52_84
; %bb.83:
	v_ashrrev_i32_e32 v15, 31, v14
	v_add_co_u32_e32 v14, vcc, v14, v0
	v_addc_co_u32_e32 v15, vcc, 0, v15, vcc
	v_lshlrev_b64 v[14:15], 1, v[14:15]
	v_mov_b32_e32 v16, s45
	v_add_co_u32_e32 v14, vcc, s44, v14
	v_addc_co_u32_e32 v15, vcc, v16, v15, vcc
	global_load_ushort v14, v[14:15], off offset:64
	s_waitcnt vmcnt(0)
	v_cvt_f32_f16_e32 v14, v14
	v_mul_f32_e32 v14, v20, v14
	s_branch .LBB52_85
.LBB52_84:
	v_mov_b32_e32 v14, 0
.LBB52_85:
	v_add_f32_e32 v82, v82, v14
	v_add_f32_e32 v14, 0x40051340, v82
	v_max_f32_e32 v13, v13, v13
	v_max_f32_e32 v13, v13, v14
.LBB52_86:
	s_or_b64 exec, exec, s[18:19]
	ds_bpermute_b32 v14, v11, v13
	v_max_f32_e32 v13, v13, v13
	v_mul_hi_u32 v15, s28, v30
	s_waitcnt lgkmcnt(0)
	v_max_f32_e32 v14, v14, v14
	v_max_f32_e32 v13, v13, v14
	ds_bpermute_b32 v14, v10, v13
	v_add_u32_e32 v15, v30, v15
	v_lshrrev_b32_e32 v15, s29, v15
	v_mul_lo_u32 v15, v15, s30
	s_waitcnt lgkmcnt(0)
	v_max_f32_e32 v14, v14, v14
	v_max_f32_e32 v13, v13, v14
	ds_bpermute_b32 v14, v12, v13
	v_sub_u32_e32 v15, v30, v15
	s_waitcnt lgkmcnt(0)
	v_max_f32_e32 v14, v14, v14
	v_max_f32_e32 v13, v13, v14
	ds_bpermute_b32 v14, v17, v13
	s_waitcnt lgkmcnt(0)
	v_max_f32_e32 v14, v14, v14
	v_max_f32_e32 v13, v13, v14
	v_mul_lo_u32 v14, v15, s38
	ds_bpermute_b32 v24, v88, v13
	v_add_u32_e32 v15, s36, v14
	v_mov_b32_e32 v14, v6
	s_and_saveexec_b64 s[18:19], s[12:13]
	s_cbranch_execz .LBB52_91
; %bb.87:
	s_and_b64 vcc, exec, s[10:11]
	s_cbranch_vccnz .LBB52_89
; %bb.88:
	v_add_u32_e32 v21, v15, v0
	v_ashrrev_i32_e32 v22, 31, v21
	v_lshlrev_b64 v[21:22], 1, v[21:22]
	v_mov_b32_e32 v14, s45
	v_add_co_u32_e32 v21, vcc, s44, v21
	v_addc_co_u32_e32 v22, vcc, v14, v22, vcc
	global_load_ushort v14, v[21:22], off
	s_waitcnt vmcnt(0)
	v_cvt_f32_f16_e32 v14, v14
	v_mul_f32_e32 v14, v20, v14
	s_branch .LBB52_90
.LBB52_89:
	v_mov_b32_e32 v14, 0
.LBB52_90:
	v_add_f32_e32 v77, v77, v14
	v_add_f32_e32 v14, 0x40051340, v77
	v_max_f32_e32 v16, v6, v6
	v_max_f32_e32 v14, v16, v14
.LBB52_91:
	s_or_b64 exec, exec, s[18:19]
	s_and_saveexec_b64 s[18:19], s[14:15]
	s_cbranch_execz .LBB52_96
; %bb.92:
	s_and_b64 vcc, exec, s[10:11]
	s_cbranch_vccnz .LBB52_94
; %bb.93:
	v_ashrrev_i32_e32 v16, 31, v15
	v_add_co_u32_e32 v15, vcc, v15, v0
	v_addc_co_u32_e32 v16, vcc, 0, v16, vcc
	v_lshlrev_b64 v[15:16], 1, v[15:16]
	v_mov_b32_e32 v21, s45
	v_add_co_u32_e32 v15, vcc, s44, v15
	v_addc_co_u32_e32 v16, vcc, v21, v16, vcc
	global_load_ushort v15, v[15:16], off offset:64
	s_waitcnt vmcnt(0)
	v_cvt_f32_f16_e32 v15, v15
	v_mul_f32_e32 v15, v20, v15
	s_branch .LBB52_95
.LBB52_94:
	v_mov_b32_e32 v15, 0
.LBB52_95:
	v_add_f32_e32 v80, v80, v15
	v_add_f32_e32 v15, 0x40051340, v80
	v_max_f32_e32 v14, v14, v14
	v_max_f32_e32 v14, v14, v15
.LBB52_96:
	s_or_b64 exec, exec, s[18:19]
	ds_bpermute_b32 v15, v11, v14
	v_max_f32_e32 v14, v14, v14
	v_mul_hi_u32 v16, s28, v118
	s_waitcnt lgkmcnt(0)
	v_max_f32_e32 v15, v15, v15
	v_max_f32_e32 v14, v14, v15
	ds_bpermute_b32 v15, v10, v14
	v_add_u32_e32 v16, v118, v16
	v_lshrrev_b32_e32 v16, s29, v16
	v_mul_lo_u32 v16, v16, s30
	s_waitcnt lgkmcnt(0)
	v_max_f32_e32 v15, v15, v15
	v_max_f32_e32 v14, v14, v15
	ds_bpermute_b32 v15, v12, v14
	v_sub_u32_e32 v16, v118, v16
	s_waitcnt lgkmcnt(0)
	v_max_f32_e32 v15, v15, v15
	v_max_f32_e32 v14, v14, v15
	ds_bpermute_b32 v15, v17, v14
	s_waitcnt lgkmcnt(0)
	v_max_f32_e32 v15, v15, v15
	v_max_f32_e32 v14, v14, v15
	v_mul_lo_u32 v15, v16, s38
	ds_bpermute_b32 v23, v88, v14
	v_add_u32_e32 v16, s36, v15
	v_mov_b32_e32 v15, v7
	s_and_saveexec_b64 s[18:19], s[12:13]
	s_cbranch_execz .LBB52_101
; %bb.97:
	s_and_b64 vcc, exec, s[10:11]
	s_cbranch_vccnz .LBB52_99
; %bb.98:
	v_add_u32_e32 v21, v16, v0
	v_ashrrev_i32_e32 v22, 31, v21
	v_lshlrev_b64 v[21:22], 1, v[21:22]
	v_mov_b32_e32 v15, s45
	v_add_co_u32_e32 v21, vcc, s44, v21
	v_addc_co_u32_e32 v22, vcc, v15, v22, vcc
	global_load_ushort v15, v[21:22], off
	s_waitcnt vmcnt(0)
	v_cvt_f32_f16_e32 v15, v15
	v_mul_f32_e32 v15, v20, v15
	s_branch .LBB52_100
.LBB52_99:
	v_mov_b32_e32 v15, 0
.LBB52_100:
	v_add_f32_e32 v75, v75, v15
	v_add_f32_e32 v15, 0x40051340, v75
	v_max_f32_e32 v21, v7, v7
	v_max_f32_e32 v15, v21, v15
.LBB52_101:
	s_or_b64 exec, exec, s[18:19]
	s_and_saveexec_b64 s[18:19], s[14:15]
	s_cbranch_execz .LBB52_106
; %bb.102:
	s_and_b64 vcc, exec, s[10:11]
	s_cbranch_vccnz .LBB52_104
; %bb.103:
	v_ashrrev_i32_e32 v22, 31, v16
	v_add_co_u32_e32 v21, vcc, v16, v0
	v_addc_co_u32_e32 v22, vcc, 0, v22, vcc
	v_lshlrev_b64 v[21:22], 1, v[21:22]
	v_mov_b32_e32 v16, s45
	v_add_co_u32_e32 v21, vcc, s44, v21
	v_addc_co_u32_e32 v22, vcc, v16, v22, vcc
	global_load_ushort v16, v[21:22], off offset:64
	s_waitcnt vmcnt(0)
	v_cvt_f32_f16_e32 v16, v16
	v_mul_f32_e32 v16, v20, v16
	s_branch .LBB52_105
.LBB52_104:
	v_mov_b32_e32 v16, 0
.LBB52_105:
	v_add_f32_e32 v78, v78, v16
	v_add_f32_e32 v16, 0x40051340, v78
	v_max_f32_e32 v15, v15, v15
	v_max_f32_e32 v15, v15, v16
.LBB52_106:
	s_or_b64 exec, exec, s[18:19]
	ds_bpermute_b32 v16, v11, v15
	v_max_f32_e32 v15, v15, v15
	v_mul_hi_u32 v21, s28, v117
	s_waitcnt lgkmcnt(0)
	v_max_f32_e32 v16, v16, v16
	v_max_f32_e32 v15, v15, v16
	ds_bpermute_b32 v16, v10, v15
	v_add_u32_e32 v21, v117, v21
	v_lshrrev_b32_e32 v21, s29, v21
	v_mul_lo_u32 v21, v21, s30
	s_waitcnt lgkmcnt(0)
	v_max_f32_e32 v16, v16, v16
	v_max_f32_e32 v15, v15, v16
	ds_bpermute_b32 v16, v12, v15
	v_sub_u32_e32 v21, v117, v21
	s_waitcnt lgkmcnt(0)
	v_max_f32_e32 v16, v16, v16
	v_max_f32_e32 v15, v15, v16
	ds_bpermute_b32 v16, v17, v15
	s_waitcnt lgkmcnt(0)
	v_max_f32_e32 v16, v16, v16
	v_max_f32_e32 v15, v15, v16
	v_mul_lo_u32 v16, v21, s38
	ds_bpermute_b32 v22, v88, v15
	v_add_u32_e32 v91, s36, v16
	v_mov_b32_e32 v16, v8
	s_and_saveexec_b64 s[18:19], s[12:13]
	s_cbranch_execz .LBB52_111
; %bb.107:
	s_and_b64 vcc, exec, s[10:11]
	s_cbranch_vccnz .LBB52_109
; %bb.108:
	v_add_u32_e32 v26, v91, v0
	v_ashrrev_i32_e32 v27, 31, v26
	v_lshlrev_b64 v[26:27], 1, v[26:27]
	v_mov_b32_e32 v16, s45
	v_add_co_u32_e32 v26, vcc, s44, v26
	v_addc_co_u32_e32 v27, vcc, v16, v27, vcc
	global_load_ushort v16, v[26:27], off
	s_waitcnt vmcnt(0)
	v_cvt_f32_f16_e32 v16, v16
	v_mul_f32_e32 v16, v20, v16
	s_branch .LBB52_110
.LBB52_109:
	v_mov_b32_e32 v16, 0
.LBB52_110:
	v_add_f32_e32 v73, v73, v16
	v_add_f32_e32 v16, 0x40051340, v73
	v_max_f32_e32 v21, v8, v8
	v_max_f32_e32 v16, v21, v16
.LBB52_111:
	s_or_b64 exec, exec, s[18:19]
	s_and_saveexec_b64 s[18:19], s[14:15]
	s_cbranch_execz .LBB52_116
; %bb.112:
	s_and_b64 vcc, exec, s[10:11]
	s_cbranch_vccnz .LBB52_114
; %bb.113:
	v_ashrrev_i32_e32 v21, 31, v91
	v_add_co_u32_e32 v26, vcc, v91, v0
	v_addc_co_u32_e32 v27, vcc, 0, v21, vcc
	v_lshlrev_b64 v[26:27], 1, v[26:27]
	v_mov_b32_e32 v21, s45
	v_add_co_u32_e32 v26, vcc, s44, v26
	v_addc_co_u32_e32 v27, vcc, v21, v27, vcc
	global_load_ushort v21, v[26:27], off offset:64
	s_waitcnt vmcnt(0)
	v_cvt_f32_f16_e32 v21, v21
	v_mul_f32_e32 v91, v20, v21
	s_branch .LBB52_115
.LBB52_114:
	v_mov_b32_e32 v91, 0
.LBB52_115:
	v_add_f32_e32 v76, v76, v91
	v_add_f32_e32 v21, 0x40051340, v76
	v_max_f32_e32 v16, v16, v16
	v_max_f32_e32 v16, v16, v21
.LBB52_116:
	s_or_b64 exec, exec, s[18:19]
	ds_bpermute_b32 v21, v11, v16
	v_max_f32_e32 v16, v16, v16
	v_mul_hi_u32 v26, s28, v116
	v_mov_b32_e32 v91, v9
	s_waitcnt lgkmcnt(0)
	v_max_f32_e32 v21, v21, v21
	v_max_f32_e32 v16, v16, v21
	ds_bpermute_b32 v21, v10, v16
	v_add_u32_e32 v26, v116, v26
	v_lshrrev_b32_e32 v26, s29, v26
	v_mul_lo_u32 v26, v26, s30
	s_waitcnt lgkmcnt(0)
	v_max_f32_e32 v21, v21, v21
	v_max_f32_e32 v16, v16, v21
	ds_bpermute_b32 v21, v12, v16
	v_sub_u32_e32 v26, v116, v26
	v_mul_lo_u32 v26, v26, s38
	s_waitcnt lgkmcnt(0)
	v_max_f32_e32 v21, v21, v21
	v_max_f32_e32 v16, v16, v21
	ds_bpermute_b32 v21, v17, v16
	v_add_u32_e32 v92, s36, v26
	s_waitcnt lgkmcnt(0)
	v_max_f32_e32 v21, v21, v21
	v_max_f32_e32 v16, v16, v21
	ds_bpermute_b32 v21, v88, v16
	s_and_saveexec_b64 s[18:19], s[12:13]
	s_cbranch_execz .LBB52_121
; %bb.117:
	s_and_b64 vcc, exec, s[10:11]
	s_cbranch_vccnz .LBB52_119
; %bb.118:
	v_add_u32_e32 v26, v92, v0
	v_ashrrev_i32_e32 v27, 31, v26
	v_lshlrev_b64 v[26:27], 1, v[26:27]
	v_mov_b32_e32 v28, s45
	v_add_co_u32_e32 v26, vcc, s44, v26
	v_addc_co_u32_e32 v27, vcc, v28, v27, vcc
	global_load_ushort v26, v[26:27], off
	s_waitcnt vmcnt(0)
	v_cvt_f32_f16_e32 v26, v26
	v_mul_f32_e32 v91, v20, v26
	s_branch .LBB52_120
.LBB52_119:
	v_mov_b32_e32 v91, 0
.LBB52_120:
	v_add_f32_e32 v67, v67, v91
	v_add_f32_e32 v26, 0x40051340, v67
	v_max_f32_e32 v27, v9, v9
	v_max_f32_e32 v91, v27, v26
.LBB52_121:
	s_or_b64 exec, exec, s[18:19]
	s_and_saveexec_b64 s[12:13], s[14:15]
	s_cbranch_execz .LBB52_126
; %bb.122:
	s_and_b64 vcc, exec, s[10:11]
	s_cbranch_vccnz .LBB52_124
; %bb.123:
	v_ashrrev_i32_e32 v27, 31, v92
	v_add_co_u32_e32 v26, vcc, v92, v0
	v_addc_co_u32_e32 v27, vcc, 0, v27, vcc
	v_lshlrev_b64 v[26:27], 1, v[26:27]
	v_mov_b32_e32 v28, s45
	v_add_co_u32_e32 v26, vcc, s44, v26
	v_addc_co_u32_e32 v27, vcc, v28, v27, vcc
	global_load_ushort v26, v[26:27], off offset:64
	s_waitcnt vmcnt(0)
	v_cvt_f32_f16_e32 v26, v26
	v_mul_f32_e32 v20, v20, v26
	s_branch .LBB52_125
.LBB52_124:
	v_mov_b32_e32 v20, 0
.LBB52_125:
	v_add_f32_e32 v74, v74, v20
	v_add_f32_e32 v20, 0x40051340, v74
	v_max_f32_e32 v26, v91, v91
	v_max_f32_e32 v91, v26, v20
.LBB52_126:
	s_or_b64 exec, exec, s[12:13]
	ds_bpermute_b32 v11, v11, v91
	s_waitcnt lgkmcnt(1)
	v_max_f32_e32 v20, v21, v21
	v_max_f32_e32 v21, v91, v91
	v_max_f32_e32 v16, v16, v16
	v_max_f32_e32 v16, v16, v20
	s_waitcnt lgkmcnt(0)
	v_max_f32_e32 v11, v11, v11
	v_max_f32_e32 v11, v21, v11
	ds_bpermute_b32 v10, v10, v11
	v_max_f32_e32 v20, v22, v22
	v_max_f32_e32 v15, v15, v15
	v_max_f32_e32 v13, v13, v13
	v_max_f32_e32 v15, v15, v20
	s_waitcnt lgkmcnt(0)
	v_max_f32_e32 v10, v10, v10
	v_max_f32_e32 v10, v11, v10
	ds_bpermute_b32 v11, v12, v10
	;; [unrolled: 8-line block ×4, first 2 shown]
	v_max_f32_e32 v17, v89, v89
	v_max_f32_e32 v20, v49, v49
	;; [unrolled: 1-line block ×6, first 2 shown]
	s_mov_b64 s[14:15], src_private_base
	s_waitcnt lgkmcnt(0)
	v_max_f32_e32 v17, v22, v22
	v_sub_f32_e32 v20, v85, v10
	v_max_f32_e32 v17, v21, v17
	s_mov_b32 s14, 0x3fb8aa3b
	v_mul_f32_e32 v21, 0x3fb8aa3b, v20
	v_fma_f32 v22, v20, s14, -v21
	v_rndne_f32_e32 v23, v21
	v_fmac_f32_e32 v22, 0x32a5705f, v20
	v_sub_f32_e32 v21, v21, v23
	v_add_f32_e32 v21, v21, v22
	v_exp_f32_e32 v22, v21
	v_cvt_i32_f32_e32 v23, v23
	s_mov_b32 s18, 0xc2ce8ed0
	v_sub_f32_e32 v21, v2, v10
	v_cmp_ngt_f32_e32 vcc, s18, v20
	v_ldexp_f32 v2, v22, v23
	s_mov_b32 s19, 0x42b17218
	v_cndmask_b32_e32 v22, 0, v2, vcc
	v_mov_b32_e32 v2, 0x7f800000
	v_cmp_nlt_f32_e32 vcc, s19, v20
	v_cndmask_b32_e32 v20, v2, v22, vcc
	v_sub_f32_e32 v22, v87, v10
	v_mul_f32_e32 v23, 0x3fb8aa3b, v22
	v_fma_f32 v24, v22, s14, -v23
	v_rndne_f32_e32 v25, v23
	v_fmac_f32_e32 v24, 0x32a5705f, v22
	v_sub_f32_e32 v23, v23, v25
	v_add_f32_e32 v23, v23, v24
	v_exp_f32_e32 v23, v23
	v_cvt_i32_f32_e32 v24, v25
	v_sub_f32_e32 v26, v83, v11
	v_mul_f32_e32 v27, 0x3fb8aa3b, v26
	v_fma_f32 v28, v26, s14, -v27
	v_rndne_f32_e32 v30, v27
	v_fmac_f32_e32 v28, 0x32a5705f, v26
	v_sub_f32_e32 v27, v27, v30
	v_ldexp_f32 v23, v23, v24
	v_cmp_ngt_f32_e64 s[10:11], s18, v22
	v_add_f32_e32 v27, v27, v28
	v_cndmask_b32_e64 v23, 0, v23, s[10:11]
	v_cmp_nlt_f32_e64 s[10:11], s19, v22
	v_exp_f32_e32 v27, v27
	v_cvt_i32_f32_e32 v28, v30
	v_cndmask_b32_e64 v22, v2, v23, s[10:11]
	v_mul_f32_e32 v23, 0x3fb8aa3b, v21
	v_fma_f32 v24, v21, s14, -v23
	v_rndne_f32_e32 v25, v23
	v_fmac_f32_e32 v24, 0x32a5705f, v21
	v_sub_f32_e32 v23, v23, v25
	v_add_f32_e32 v23, v23, v24
	v_cvt_i32_f32_e32 v24, v25
	v_ldexp_f32 v25, v27, v28
	v_sub_f32_e32 v27, v86, v11
	v_mul_f32_e32 v28, 0x3fb8aa3b, v27
	v_fma_f32 v30, v27, s14, -v28
	v_rndne_f32_e32 v32, v28
	v_fmac_f32_e32 v30, 0x32a5705f, v27
	v_sub_f32_e32 v28, v28, v32
	v_add_f32_e32 v28, v28, v30
	v_exp_f32_e32 v28, v28
	v_cvt_i32_f32_e32 v30, v32
	v_cmp_ngt_f32_e64 s[12:13], s18, v26
	v_cndmask_b32_e64 v25, 0, v25, s[12:13]
	v_cmp_nlt_f32_e64 s[12:13], s19, v26
	v_ldexp_f32 v26, v28, v30
	v_sub_f32_e32 v28, v81, v12
	v_mul_f32_e32 v30, 0x3fb8aa3b, v28
	v_fma_f32 v32, v28, s14, -v30
	v_rndne_f32_e32 v52, v30
	v_fmac_f32_e32 v32, 0x32a5705f, v28
	v_sub_f32_e32 v30, v30, v52
	v_add_f32_e32 v30, v30, v32
	v_exp_f32_e32 v30, v30
	v_cvt_i32_f32_e32 v32, v52
	v_cndmask_b32_e64 v25, v2, v25, s[12:13]
	v_cmp_ngt_f32_e64 s[12:13], s18, v27
	v_cndmask_b32_e64 v26, 0, v26, s[12:13]
	v_cmp_nlt_f32_e64 s[12:13], s19, v27
	v_cmp_gt_u32_e64 s[10:11], s39, v53
	v_cndmask_b32_e64 v26, v2, v26, s[12:13]
	v_sub_f32_e32 v27, v84, v12
	v_cndmask_b32_e64 v52, 0, v26, s[10:11]
	v_ldexp_f32 v26, v30, v32
	v_mul_f32_e32 v30, 0x3fb8aa3b, v27
	v_fma_f32 v32, v27, s14, -v30
	v_rndne_f32_e32 v81, v30
	v_fmac_f32_e32 v32, 0x32a5705f, v27
	v_sub_f32_e32 v30, v30, v81
	v_add_f32_e32 v30, v30, v32
	v_exp_f32_e32 v30, v30
	v_cvt_i32_f32_e32 v32, v81
	v_cmp_ngt_f32_e64 s[12:13], s18, v28
	v_cndmask_b32_e64 v26, 0, v26, s[12:13]
	v_cmp_nlt_f32_e64 s[12:13], s19, v28
	v_cmp_gt_u32_e32 vcc, s39, v0
	v_cndmask_b32_e64 v26, v2, v26, s[12:13]
	v_sub_f32_e32 v28, v79, v13
	v_cndmask_b32_e32 v81, 0, v26, vcc
	v_ldexp_f32 v26, v30, v32
	v_mul_f32_e32 v30, 0x3fb8aa3b, v28
	v_fma_f32 v32, v28, s14, -v30
	v_rndne_f32_e32 v79, v30
	v_fmac_f32_e32 v32, 0x32a5705f, v28
	v_sub_f32_e32 v30, v30, v79
	v_add_f32_e32 v30, v30, v32
	v_exp_f32_e32 v30, v30
	v_cvt_i32_f32_e32 v32, v79
	v_cmp_ngt_f32_e64 s[12:13], s18, v27
	v_cndmask_b32_e64 v26, 0, v26, s[12:13]
	v_cmp_nlt_f32_e64 s[12:13], s19, v27
	v_cndmask_b32_e64 v26, v2, v26, s[12:13]
	v_sub_f32_e32 v27, v82, v13
	v_cndmask_b32_e64 v79, 0, v26, s[10:11]
	v_ldexp_f32 v26, v30, v32
	v_mul_f32_e32 v30, 0x3fb8aa3b, v27
	v_fma_f32 v32, v27, s14, -v30
	v_rndne_f32_e32 v82, v30
	v_fmac_f32_e32 v32, 0x32a5705f, v27
	v_sub_f32_e32 v30, v30, v82
	v_add_f32_e32 v30, v30, v32
	v_exp_f32_e32 v30, v30
	v_cvt_i32_f32_e32 v32, v82
	v_cmp_ngt_f32_e64 s[12:13], s18, v28
	v_cndmask_b32_e64 v26, 0, v26, s[12:13]
	v_cmp_nlt_f32_e64 s[12:13], s19, v28
	v_cndmask_b32_e64 v26, v2, v26, s[12:13]
	v_sub_f32_e32 v28, v77, v14
	v_cndmask_b32_e32 v82, 0, v26, vcc
	v_ldexp_f32 v26, v30, v32
	v_mul_f32_e32 v30, 0x3fb8aa3b, v28
	v_fma_f32 v32, v28, s14, -v30
	v_rndne_f32_e32 v77, v30
	v_fmac_f32_e32 v32, 0x32a5705f, v28
	v_sub_f32_e32 v30, v30, v77
	v_add_f32_e32 v30, v30, v32
	v_exp_f32_e32 v30, v30
	v_cvt_i32_f32_e32 v32, v77
	v_cmp_ngt_f32_e64 s[12:13], s18, v27
	v_cndmask_b32_e64 v26, 0, v26, s[12:13]
	v_cmp_nlt_f32_e64 s[12:13], s19, v27
	v_cndmask_b32_e64 v26, v2, v26, s[12:13]
	v_sub_f32_e32 v27, v80, v14
	v_cndmask_b32_e64 v84, 0, v26, s[10:11]
	v_ldexp_f32 v26, v30, v32
	v_mul_f32_e32 v30, 0x3fb8aa3b, v27
	v_fma_f32 v32, v27, s14, -v30
	v_rndne_f32_e32 v77, v30
	v_fmac_f32_e32 v32, 0x32a5705f, v27
	v_sub_f32_e32 v30, v30, v77
	v_add_f32_e32 v30, v30, v32
	v_exp_f32_e32 v30, v30
	v_cvt_i32_f32_e32 v32, v77
	v_cmp_ngt_f32_e64 s[12:13], s18, v28
	v_cndmask_b32_e64 v26, 0, v26, s[12:13]
	v_cmp_nlt_f32_e64 s[12:13], s19, v28
	v_ldexp_f32 v28, v30, v32
	v_sub_f32_e32 v30, v75, v15
	v_mul_f32_e32 v32, 0x3fb8aa3b, v30
	v_fma_f32 v75, v30, s14, -v32
	v_rndne_f32_e32 v80, v32
	v_fmac_f32_e32 v75, 0x32a5705f, v30
	v_sub_f32_e32 v32, v32, v80
	v_add_f32_e32 v32, v32, v75
	v_exp_f32_e32 v32, v32
	v_cvt_i32_f32_e32 v80, v80
	v_cndmask_b32_e64 v26, v2, v26, s[12:13]
	v_cmp_ngt_f32_e64 s[12:13], s18, v27
	v_cndmask_b32_e64 v28, 0, v28, s[12:13]
	v_cmp_nlt_f32_e64 s[12:13], s19, v27
	v_cndmask_b32_e64 v27, v2, v28, s[12:13]
	v_ldexp_f32 v28, v32, v80
	v_sub_f32_e32 v32, v78, v15
	v_mul_f32_e32 v78, 0x3fb8aa3b, v32
	v_fma_f32 v80, v32, s14, -v78
	v_rndne_f32_e32 v90, v78
	v_fmac_f32_e32 v80, 0x32a5705f, v32
	v_sub_f32_e32 v78, v78, v90
	v_add_f32_e32 v78, v78, v80
	v_exp_f32_e32 v80, v78
	v_cvt_i32_f32_e32 v90, v90
	v_cmp_ngt_f32_e64 s[12:13], s18, v30
	v_sub_f32_e32 v73, v73, v16
	v_cndmask_b32_e64 v28, 0, v28, s[12:13]
	v_cmp_nlt_f32_e64 s[12:13], s19, v30
	v_ldexp_f32 v30, v80, v90
	v_mul_f32_e32 v80, 0x3fb8aa3b, v73
	v_fma_f32 v90, v73, s14, -v80
	v_rndne_f32_e32 v91, v80
	v_fmac_f32_e32 v90, 0x32a5705f, v73
	v_sub_f32_e32 v80, v80, v91
	v_add_f32_e32 v80, v80, v90
	v_exp_f32_e32 v90, v80
	v_cvt_i32_f32_e32 v91, v91
	v_cndmask_b32_e64 v28, v2, v28, s[12:13]
	v_cmp_ngt_f32_e64 s[12:13], s18, v32
	v_sub_f32_e32 v76, v76, v16
	v_cndmask_b32_e64 v30, 0, v30, s[12:13]
	v_cmp_nlt_f32_e64 s[12:13], s19, v32
	v_ldexp_f32 v32, v90, v91
	v_mul_f32_e32 v90, 0x3fb8aa3b, v76
	v_fma_f32 v91, v76, s14, -v90
	v_rndne_f32_e32 v92, v90
	v_fmac_f32_e32 v91, 0x32a5705f, v76
	v_sub_f32_e32 v90, v90, v92
	v_add_f32_e32 v90, v90, v91
	v_exp_f32_e32 v90, v90
	v_cvt_i32_f32_e32 v91, v92
	v_cndmask_b32_e64 v30, v2, v30, s[12:13]
	v_cmp_ngt_f32_e64 s[12:13], s18, v73
	v_cndmask_b32_e64 v32, 0, v32, s[12:13]
	v_ldexp_f32 v90, v90, v91
	v_sub_f32_e32 v91, v67, v17
	v_mul_f32_e32 v67, 0x3fb8aa3b, v91
	v_fma_f32 v92, v91, s14, -v67
	v_rndne_f32_e32 v93, v67
	v_fmac_f32_e32 v92, 0x32a5705f, v91
	v_sub_f32_e32 v67, v67, v93
	v_add_f32_e32 v67, v67, v92
	v_exp_f32_e32 v92, v67
	v_cvt_i32_f32_e32 v93, v93
	v_cmp_nlt_f32_e64 s[12:13], s19, v73
	v_cndmask_b32_e64 v32, v2, v32, s[12:13]
	v_cmp_ngt_f32_e64 s[12:13], s18, v76
	v_cndmask_b32_e64 v90, 0, v90, s[12:13]
	v_cmp_nlt_f32_e64 s[12:13], s19, v76
	v_sub_f32_e32 v74, v74, v17
	v_cndmask_b32_e64 v67, v2, v90, s[12:13]
	v_ldexp_f32 v90, v92, v93
	v_mul_f32_e32 v92, 0x3fb8aa3b, v74
	v_fma_f32 v93, v74, s14, -v92
	v_rndne_f32_e32 v94, v92
	v_fmac_f32_e32 v93, 0x32a5705f, v74
	v_sub_f32_e32 v92, v92, v94
	v_add_f32_e32 v92, v92, v93
	v_exp_f32_e32 v92, v92
	v_cvt_i32_f32_e32 v93, v94
	v_cmp_ngt_f32_e64 s[12:13], s18, v91
	v_cndmask_b32_e64 v90, 0, v90, s[12:13]
	v_cmp_nlt_f32_e64 s[12:13], s19, v91
	v_cndmask_b32_e64 v90, v2, v90, s[12:13]
	v_cndmask_b32_e32 v20, 0, v20, vcc
	v_cndmask_b32_e32 v25, 0, v25, vcc
	;; [unrolled: 1-line block ×6, first 2 shown]
	v_ldexp_f32 v91, v92, v93
	v_cmp_ngt_f32_e32 vcc, s18, v74
	v_cndmask_b32_e32 v91, 0, v91, vcc
	v_cmp_nlt_f32_e32 vcc, s19, v74
	v_cndmask_b32_e32 v74, v2, v91, vcc
	v_cvt_f16_f32_e32 v51, v20
	v_cndmask_b32_e64 v22, 0, v22, s[10:11]
	v_cvt_f16_f32_e32 v83, v25
	v_cvt_f16_f32_e32 v86, v81
	;; [unrolled: 1-line block ×4, first 2 shown]
	v_cndmask_b32_e64 v75, 0, v27, s[10:11]
	v_cvt_f16_f32_e32 v28, v78
	v_cndmask_b32_e64 v80, 0, v30, s[10:11]
	v_cvt_f16_f32_e32 v32, v73
	;; [unrolled: 2-line block ×4, first 2 shown]
	v_cvt_f16_f32_e32 v85, v52
	v_cvt_f16_f32_e32 v87, v79
	;; [unrolled: 1-line block ×7, first 2 shown]
	v_add_u32_e32 v96, 0x2400, v18
	v_lshl_add_u32 v97, v0, 4, v96
	v_pack_b32_f16 v93, v32, v90
	v_pack_b32_f16 v92, v26, v28
	;; [unrolled: 1-line block ×4, first 2 shown]
	s_barrier
	ds_write_b128 v97, v[90:93]
	v_lshl_add_u32 v26, v53, 4, v96
	v_pack_b32_f16 v91, v76, v95
	v_pack_b32_f16 v90, v27, v30
	;; [unrolled: 1-line block ×4, first 2 shown]
	ds_write_b128 v26, v[88:91]
	v_mul_lo_u32 v26, s8, v64
	s_mul_hi_i32 s11, s36, s8
	s_mul_i32 s10, s36, s8
	s_lshl_b64 s[10:11], s[10:11], 2
	v_ashrrev_i32_e32 v27, 31, v26
	s_add_u32 s12, s22, s10
	v_lshlrev_b64 v[27:28], 2, v[26:27]
	s_addc_u32 s11, s23, s11
	v_mov_b32_e32 v30, s11
	v_add_co_u32_e32 v27, vcc, s12, v27
	v_addc_co_u32_e32 v28, vcc, v30, v28, vcc
	v_add_co_u32_e32 v27, vcc, v27, v1
	v_mov_b32_e32 v30, 0
	v_addc_co_u32_e32 v28, vcc, 0, v28, vcc
	v_mov_b32_e32 v32, s15
	v_mov_b32_e32 v49, 0
	buffer_store_dword v30, off, s[0:3], 0
	buffer_store_dword v30, off, s[0:3], 0 offset:4
	buffer_store_dword v30, off, s[0:3], 0 offset:8
	;; [unrolled: 1-line block ×3, first 2 shown]
	v_cndmask_b32_e64 v28, v32, v28, s[16:17]
	v_cndmask_b32_e64 v27, v49, v27, s[16:17]
	flat_load_dwordx4 v[85:88], v[27:28]
	v_exp_f32_e32 v23, v23
	v_add_f32_e32 v20, v20, v22
	v_cmp_ngt_f32_e32 vcc, s18, v21
	v_sub_f32_e32 v3, v3, v11
	v_ldexp_f32 v22, v23, v24
	v_cndmask_b32_e32 v22, 0, v22, vcc
	v_cmp_nlt_f32_e32 vcc, s19, v21
	v_cndmask_b32_e32 v21, v2, v22, vcc
	v_mul_f32_e32 v22, 0x3fb8aa3b, v3
	v_fma_f32 v23, v3, s14, -v22
	v_rndne_f32_e32 v24, v22
	v_fmac_f32_e32 v23, 0x32a5705f, v3
	v_sub_f32_e32 v22, v22, v24
	v_add_f32_e32 v22, v22, v23
	v_exp_f32_e32 v22, v22
	v_cvt_i32_f32_e32 v23, v24
	v_fmac_f32_e32 v20, v55, v21
	v_cvt_f16_f32_e32 v21, v21
	v_cmp_ngt_f32_e32 vcc, s18, v3
	v_ldexp_f32 v22, v22, v23
	v_cndmask_b32_e32 v22, 0, v22, vcc
	v_cmp_nlt_f32_e32 vcc, s19, v3
	v_sub_f32_e32 v4, v4, v12
	v_cndmask_b32_e32 v3, v2, v22, vcc
	v_mul_f32_e32 v22, 0x3fb8aa3b, v4
	v_mul_u32_u24_e32 v21, 0x10001, v21
	v_fma_f32 v23, v4, s14, -v22
	v_rndne_f32_e32 v24, v22
	v_pk_mul_f16 v28, v50, v21
	v_add_f32_e32 v21, v25, v52
	v_fmac_f32_e32 v23, 0x32a5705f, v4
	v_sub_f32_e32 v22, v22, v24
	v_fmac_f32_e32 v21, v56, v3
	v_cvt_f16_f32_e32 v3, v3
	v_add_f32_e32 v22, v22, v23
	v_exp_f32_e32 v23, v22
	v_cvt_i32_f32_e32 v24, v24
	v_mul_u32_u24_e32 v3, 0x10001, v3
	v_pk_mul_f16 v48, v48, v3
	v_cmp_ngt_f32_e32 vcc, s18, v4
	v_ldexp_f32 v3, v23, v24
	v_cndmask_b32_e32 v3, 0, v3, vcc
	v_cmp_nlt_f32_e32 vcc, s19, v4
	v_sub_f32_e32 v4, v5, v13
	v_mul_f32_e32 v5, 0x3fb8aa3b, v4
	v_fma_f32 v23, v4, s14, -v5
	v_rndne_f32_e32 v24, v5
	v_add_f32_e32 v22, v81, v79
	v_cndmask_b32_e32 v3, v2, v3, vcc
	v_fmac_f32_e32 v23, 0x32a5705f, v4
	v_sub_f32_e32 v5, v5, v24
	v_fmac_f32_e32 v22, v57, v3
	v_cvt_f16_f32_e32 v3, v3
	v_add_f32_e32 v5, v5, v23
	v_exp_f32_e32 v5, v5
	v_cvt_i32_f32_e32 v24, v24
	v_mul_u32_u24_e32 v3, 0x10001, v3
	v_pk_mul_f16 v47, v47, v3
	v_cmp_ngt_f32_e32 vcc, s18, v4
	v_ldexp_f32 v3, v5, v24
	v_cndmask_b32_e32 v3, 0, v3, vcc
	v_cmp_nlt_f32_e32 vcc, s19, v4
	v_add_f32_e32 v23, v82, v84
	v_cndmask_b32_e32 v3, v2, v3, vcc
	v_fmac_f32_e32 v23, v58, v3
	v_cvt_f16_f32_e32 v5, v3
	v_lshl_add_u32 v3, s8, 5, v26
	v_ashrrev_i32_e32 v4, 31, v3
	v_lshlrev_b64 v[3:4], 2, v[3:4]
	v_mov_b32_e32 v25, s11
	v_add_co_u32_e32 v3, vcc, s12, v3
	v_addc_co_u32_e32 v4, vcc, v25, v4, vcc
	v_add_co_u32_e32 v3, vcc, v3, v1
	v_lshl_or_b32 v24, v64, 7, v1
	v_addc_co_u32_e32 v4, vcc, 0, v4, vcc
	s_waitcnt vmcnt(0) lgkmcnt(0)
	ds_write_b128 v24, v[85:88]
	buffer_store_dword v30, off, s[0:3], 0
	buffer_store_dword v30, off, s[0:3], 0 offset:4
	buffer_store_dword v30, off, s[0:3], 0 offset:8
	;; [unrolled: 1-line block ×3, first 2 shown]
	v_cndmask_b32_e64 v4, v32, v4, s[6:7]
	v_cndmask_b32_e64 v3, v49, v3, s[6:7]
	flat_load_dwordx4 v[55:58], v[3:4]
	v_sub_f32_e32 v3, v6, v14
	v_mul_f32_e32 v4, 0x3fb8aa3b, v3
	v_fma_f32 v6, v3, s14, -v4
	v_rndne_f32_e32 v24, v4
	v_fmac_f32_e32 v6, 0x32a5705f, v3
	v_sub_f32_e32 v4, v4, v24
	v_add_f32_e32 v4, v4, v6
	v_exp_f32_e32 v4, v4
	v_cvt_i32_f32_e32 v6, v24
	v_cmp_ngt_f32_e32 vcc, s18, v3
	v_mul_u32_u24_e32 v5, 0x10001, v5
	v_pk_mul_f16 v30, v46, v5
	v_ldexp_f32 v4, v4, v6
	v_cndmask_b32_e32 v4, 0, v4, vcc
	v_cmp_nlt_f32_e32 vcc, s19, v3
	v_cndmask_b32_e32 v3, v2, v4, vcc
	v_sub_f32_e32 v4, v7, v15
	v_mul_f32_e32 v5, 0x3fb8aa3b, v4
	v_fma_f32 v6, v4, s14, -v5
	v_rndne_f32_e32 v7, v5
	v_add_f32_e32 v24, v77, v75
	v_fmac_f32_e32 v6, 0x32a5705f, v4
	v_sub_f32_e32 v5, v5, v7
	v_fmac_f32_e32 v24, v60, v3
	v_cvt_f16_f32_e32 v3, v3
	v_add_f32_e32 v5, v5, v6
	v_exp_f32_e32 v5, v5
	v_cvt_i32_f32_e32 v6, v7
	v_mul_u32_u24_e32 v3, 0x10001, v3
	v_pk_mul_f16 v32, v45, v3
	v_cmp_ngt_f32_e32 vcc, s18, v4
	v_ldexp_f32 v3, v5, v6
	v_sub_f32_e32 v5, v8, v16
	v_mul_f32_e32 v6, 0x3fb8aa3b, v5
	v_cndmask_b32_e32 v3, 0, v3, vcc
	v_cmp_nlt_f32_e32 vcc, s19, v4
	v_fma_f32 v7, v5, s14, -v6
	v_rndne_f32_e32 v8, v6
	v_cndmask_b32_e32 v3, v2, v3, vcc
	v_fmac_f32_e32 v7, 0x32a5705f, v5
	v_sub_f32_e32 v6, v6, v8
	v_cvt_f16_f32_e32 v4, v3
	v_add_f32_e32 v6, v6, v7
	v_exp_f32_e32 v6, v6
	v_cvt_i32_f32_e32 v7, v8
	v_add_f32_e32 v25, v78, v80
	v_fmac_f32_e32 v25, v59, v3
	v_mul_u32_u24_e32 v3, 0x10001, v4
	v_pk_mul_f16 v46, v44, v3
	v_ldexp_f32 v3, v6, v7
	v_cmp_ngt_f32_e32 vcc, s18, v5
	v_cndmask_b32_e32 v3, 0, v3, vcc
	v_cmp_nlt_f32_e32 vcc, s19, v5
	v_sub_f32_e32 v5, v9, v17
	v_mul_f32_e32 v6, 0x3fb8aa3b, v5
	v_fma_f32 v7, v5, s14, -v6
	v_rndne_f32_e32 v8, v6
	v_fmac_f32_e32 v7, 0x32a5705f, v5
	v_sub_f32_e32 v6, v6, v8
	v_cndmask_b32_e32 v3, v2, v3, vcc
	v_add_f32_e32 v6, v6, v7
	v_cvt_f16_f32_e32 v4, v3
	v_exp_f32_e32 v6, v6
	v_cvt_i32_f32_e32 v7, v8
	v_add_f32_e32 v49, v73, v67
	v_fmac_f32_e32 v49, v62, v3
	v_mul_u32_u24_e32 v3, 0x10001, v4
	v_ldexp_f32 v4, v6, v7
	v_cmp_ngt_f32_e32 vcc, s18, v5
	v_cndmask_b32_e32 v4, 0, v4, vcc
	v_cmp_nlt_f32_e32 vcc, s19, v5
	v_cndmask_b32_e32 v2, v2, v4, vcc
	v_cvt_f16_f32_e32 v4, v2
	v_add_f32_e32 v51, v94, v74
	v_fmac_f32_e32 v51, v61, v2
	v_lshl_or_b32 v1, v63, 7, v1
	v_mul_u32_u24_e32 v2, 0x10001, v4
	v_pk_mul_f16 v9, v43, v3
	v_pk_mul_f16 v50, v42, v2
	s_waitcnt vmcnt(0) lgkmcnt(0)
	ds_write_b128 v1, v[55:58]
	s_waitcnt lgkmcnt(0)
	s_barrier
	ds_read_b128 v[1:4], v18 offset:9216
	ds_read2_b32 v[26:27], v19 offset1:32
	ds_read_b128 v[5:8], v18 offset:9232
	ds_read_b128 v[42:45], v18 offset:9248
	;; [unrolled: 1-line block ×3, first 2 shown]
	s_mov_b32 s10, 0x10001
	s_waitcnt lgkmcnt(4)
	v_mul_u32_u24_sdwa v52, v1, s10 dst_sel:DWORD dst_unused:UNUSED_PAD src0_sel:WORD_0 src1_sel:DWORD
	v_mul_u32_u24_sdwa v1, v1, s10 dst_sel:DWORD dst_unused:UNUSED_PAD src0_sel:WORD_1 src1_sel:DWORD
	v_mul_u32_u24_sdwa v53, v2, s10 dst_sel:DWORD dst_unused:UNUSED_PAD src0_sel:WORD_0 src1_sel:DWORD
	v_mul_u32_u24_sdwa v2, v2, s10 dst_sel:DWORD dst_unused:UNUSED_PAD src0_sel:WORD_1 src1_sel:DWORD
	;; [unrolled: 2-line block ×4, first 2 shown]
	s_waitcnt lgkmcnt(3)
	v_pk_fma_f16 v28, v26, v52, v28
	v_pk_fma_f16 v1, v26, v1, v48
	;; [unrolled: 1-line block ×8, first 2 shown]
	s_waitcnt lgkmcnt(2)
	v_mul_u32_u24_sdwa v26, v5, s10 dst_sel:DWORD dst_unused:UNUSED_PAD src0_sel:WORD_0 src1_sel:DWORD
	v_mul_u32_u24_sdwa v5, v5, s10 dst_sel:DWORD dst_unused:UNUSED_PAD src0_sel:WORD_1 src1_sel:DWORD
	v_mul_u32_u24_sdwa v48, v8, s10 dst_sel:DWORD dst_unused:UNUSED_PAD src0_sel:WORD_0 src1_sel:DWORD
	v_mul_u32_u24_sdwa v8, v8, s10 dst_sel:DWORD dst_unused:UNUSED_PAD src0_sel:WORD_1 src1_sel:DWORD
	v_pk_fma_f16 v1, v27, v5, v1
	v_pk_fma_f16 v8, v27, v8, v4
	ds_read2_b32 v[4:5], v19 offset0:64 offset1:96
	v_mul_u32_u24_sdwa v32, v6, s10 dst_sel:DWORD dst_unused:UNUSED_PAD src0_sel:WORD_0 src1_sel:DWORD
	v_mul_u32_u24_sdwa v6, v6, s10 dst_sel:DWORD dst_unused:UNUSED_PAD src0_sel:WORD_1 src1_sel:DWORD
	v_mul_u32_u24_sdwa v46, v7, s10 dst_sel:DWORD dst_unused:UNUSED_PAD src0_sel:WORD_0 src1_sel:DWORD
	v_mul_u32_u24_sdwa v7, v7, s10 dst_sel:DWORD dst_unused:UNUSED_PAD src0_sel:WORD_1 src1_sel:DWORD
	v_pk_fma_f16 v26, v27, v26, v28
	v_pk_fma_f16 v28, v27, v32, v47
	;; [unrolled: 1-line block ×6, first 2 shown]
	s_waitcnt lgkmcnt(2)
	v_mul_u32_u24_sdwa v9, v42, s10 dst_sel:DWORD dst_unused:UNUSED_PAD src0_sel:WORD_0 src1_sel:DWORD
	v_mul_u32_u24_sdwa v27, v42, s10 dst_sel:DWORD dst_unused:UNUSED_PAD src0_sel:WORD_1 src1_sel:DWORD
	v_mul_u32_u24_sdwa v30, v43, s10 dst_sel:DWORD dst_unused:UNUSED_PAD src0_sel:WORD_0 src1_sel:DWORD
	v_mul_u32_u24_sdwa v32, v43, s10 dst_sel:DWORD dst_unused:UNUSED_PAD src0_sel:WORD_1 src1_sel:DWORD
	;; [unrolled: 2-line block ×4, first 2 shown]
	s_waitcnt lgkmcnt(0)
	v_pk_fma_f16 v9, v4, v9, v26
	v_pk_fma_f16 v1, v4, v27, v1
	;; [unrolled: 1-line block ×8, first 2 shown]
	v_mul_u32_u24_sdwa v4, v55, s10 dst_sel:DWORD dst_unused:UNUSED_PAD src0_sel:WORD_0 src1_sel:DWORD
	v_mul_u32_u24_sdwa v27, v55, s10 dst_sel:DWORD dst_unused:UNUSED_PAD src0_sel:WORD_1 src1_sel:DWORD
	v_mul_u32_u24_sdwa v30, v56, s10 dst_sel:DWORD dst_unused:UNUSED_PAD src0_sel:WORD_1 src1_sel:DWORD
	;; [unrolled: 1-line block ×3, first 2 shown]
	v_mul_u32_u24_sdwa v28, v56, s10 dst_sel:DWORD dst_unused:UNUSED_PAD src0_sel:WORD_0 src1_sel:DWORD
	v_mul_u32_u24_sdwa v32, v57, s10 dst_sel:DWORD dst_unused:UNUSED_PAD src0_sel:WORD_0 src1_sel:DWORD
	v_mul_u32_u24_sdwa v43, v58, s10 dst_sel:DWORD dst_unused:UNUSED_PAD src0_sel:WORD_0 src1_sel:DWORD
	v_mul_u32_u24_sdwa v44, v58, s10 dst_sel:DWORD dst_unused:UNUSED_PAD src0_sel:WORD_1 src1_sel:DWORD
	v_pk_fma_f16 v9, v5, v4, v9
	v_pk_fma_f16 v45, v5, v27, v1
	;; [unrolled: 1-line block ×4, first 2 shown]
	ds_read_b128 v[1:4], v18 offset:9280
	v_pk_fma_f16 v28, v5, v28, v26
	v_pk_fma_f16 v32, v5, v32, v6
	;; [unrolled: 1-line block ×4, first 2 shown]
	ds_read2_b32 v[26:27], v19 offset0:128 offset1:160
	ds_read_b128 v[5:8], v18 offset:9296
	s_waitcnt lgkmcnt(2)
	v_mul_u32_u24_sdwa v46, v1, s10 dst_sel:DWORD dst_unused:UNUSED_PAD src0_sel:WORD_0 src1_sel:DWORD
	v_mul_u32_u24_sdwa v1, v1, s10 dst_sel:DWORD dst_unused:UNUSED_PAD src0_sel:WORD_1 src1_sel:DWORD
	v_mul_u32_u24_sdwa v47, v2, s10 dst_sel:DWORD dst_unused:UNUSED_PAD src0_sel:WORD_0 src1_sel:DWORD
	v_mul_u32_u24_sdwa v2, v2, s10 dst_sel:DWORD dst_unused:UNUSED_PAD src0_sel:WORD_1 src1_sel:DWORD
	;; [unrolled: 2-line block ×4, first 2 shown]
	s_waitcnt lgkmcnt(1)
	v_pk_fma_f16 v9, v26, v46, v9
	v_pk_fma_f16 v1, v26, v1, v45
	;; [unrolled: 1-line block ×8, first 2 shown]
	s_waitcnt lgkmcnt(0)
	v_mul_u32_u24_sdwa v4, v5, s10 dst_sel:DWORD dst_unused:UNUSED_PAD src0_sel:WORD_0 src1_sel:DWORD
	v_mul_u32_u24_sdwa v5, v5, s10 dst_sel:DWORD dst_unused:UNUSED_PAD src0_sel:WORD_1 src1_sel:DWORD
	v_mul_u32_u24_sdwa v42, v6, s10 dst_sel:DWORD dst_unused:UNUSED_PAD src0_sel:WORD_0 src1_sel:DWORD
	v_mul_u32_u24_sdwa v6, v6, s10 dst_sel:DWORD dst_unused:UNUSED_PAD src0_sel:WORD_1 src1_sel:DWORD
	;; [unrolled: 2-line block ×4, first 2 shown]
	v_pk_fma_f16 v9, v27, v4, v9
	v_pk_fma_f16 v45, v27, v5, v1
	;; [unrolled: 1-line block ×6, first 2 shown]
	ds_read_b128 v[1:4], v18 offset:9312
	v_pk_fma_f16 v32, v27, v44, v32
	v_pk_fma_f16 v44, v27, v8, v26
	ds_read2_b32 v[26:27], v19 offset0:192 offset1:224
	ds_read_b128 v[5:8], v18 offset:9328
	v_mov_b32_e32 v61, v51
	s_waitcnt lgkmcnt(2)
	v_mul_u32_u24_sdwa v46, v1, s10 dst_sel:DWORD dst_unused:UNUSED_PAD src0_sel:WORD_0 src1_sel:DWORD
	v_mul_u32_u24_sdwa v1, v1, s10 dst_sel:DWORD dst_unused:UNUSED_PAD src0_sel:WORD_1 src1_sel:DWORD
	v_mul_u32_u24_sdwa v47, v2, s10 dst_sel:DWORD dst_unused:UNUSED_PAD src0_sel:WORD_0 src1_sel:DWORD
	v_mul_u32_u24_sdwa v2, v2, s10 dst_sel:DWORD dst_unused:UNUSED_PAD src0_sel:WORD_1 src1_sel:DWORD
	;; [unrolled: 2-line block ×4, first 2 shown]
	s_waitcnt lgkmcnt(1)
	v_pk_fma_f16 v9, v26, v46, v9
	v_pk_fma_f16 v1, v26, v1, v45
	v_pk_fma_f16 v28, v26, v47, v28
	v_pk_fma_f16 v2, v26, v2, v42
	v_pk_fma_f16 v30, v26, v48, v30
	v_pk_fma_f16 v3, v26, v3, v43
	v_pk_fma_f16 v32, v26, v50, v32
	v_pk_fma_f16 v26, v26, v4, v44
	s_waitcnt lgkmcnt(0)
	v_mul_u32_u24_sdwa v4, v5, s10 dst_sel:DWORD dst_unused:UNUSED_PAD src0_sel:WORD_0 src1_sel:DWORD
	v_mul_u32_u24_sdwa v5, v5, s10 dst_sel:DWORD dst_unused:UNUSED_PAD src0_sel:WORD_1 src1_sel:DWORD
	v_mul_u32_u24_sdwa v42, v6, s10 dst_sel:DWORD dst_unused:UNUSED_PAD src0_sel:WORD_0 src1_sel:DWORD
	v_mul_u32_u24_sdwa v6, v6, s10 dst_sel:DWORD dst_unused:UNUSED_PAD src0_sel:WORD_1 src1_sel:DWORD
	;; [unrolled: 2-line block ×4, first 2 shown]
	v_pk_fma_f16 v9, v27, v4, v9
	v_pk_fma_f16 v45, v27, v5, v1
	;; [unrolled: 1-line block ×6, first 2 shown]
	ds_read_b128 v[1:4], v18 offset:9344
	v_add_u32_e32 v46, 0x400, v19
	v_pk_fma_f16 v32, v27, v44, v32
	v_pk_fma_f16 v44, v27, v8, v26
	ds_read2_b32 v[26:27], v46 offset1:32
	ds_read_b128 v[5:8], v18 offset:9360
	s_waitcnt lgkmcnt(2)
	v_mul_u32_u24_sdwa v47, v1, s10 dst_sel:DWORD dst_unused:UNUSED_PAD src0_sel:WORD_0 src1_sel:DWORD
	v_mul_u32_u24_sdwa v1, v1, s10 dst_sel:DWORD dst_unused:UNUSED_PAD src0_sel:WORD_1 src1_sel:DWORD
	v_mul_u32_u24_sdwa v48, v2, s10 dst_sel:DWORD dst_unused:UNUSED_PAD src0_sel:WORD_0 src1_sel:DWORD
	v_mul_u32_u24_sdwa v2, v2, s10 dst_sel:DWORD dst_unused:UNUSED_PAD src0_sel:WORD_1 src1_sel:DWORD
	v_mul_u32_u24_sdwa v50, v3, s10 dst_sel:DWORD dst_unused:UNUSED_PAD src0_sel:WORD_0 src1_sel:DWORD
	v_mul_u32_u24_sdwa v3, v3, s10 dst_sel:DWORD dst_unused:UNUSED_PAD src0_sel:WORD_1 src1_sel:DWORD
	v_mul_u32_u24_sdwa v52, v4, s10 dst_sel:DWORD dst_unused:UNUSED_PAD src0_sel:WORD_0 src1_sel:DWORD
	v_mul_u32_u24_sdwa v4, v4, s10 dst_sel:DWORD dst_unused:UNUSED_PAD src0_sel:WORD_1 src1_sel:DWORD
	s_waitcnt lgkmcnt(1)
	v_pk_fma_f16 v9, v26, v47, v9
	v_pk_fma_f16 v1, v26, v1, v45
	v_pk_fma_f16 v28, v26, v48, v28
	v_pk_fma_f16 v2, v26, v2, v42
	v_pk_fma_f16 v30, v26, v50, v30
	v_pk_fma_f16 v3, v26, v3, v43
	v_pk_fma_f16 v32, v26, v52, v32
	v_pk_fma_f16 v26, v26, v4, v44
	s_waitcnt lgkmcnt(0)
	v_mul_u32_u24_sdwa v4, v5, s10 dst_sel:DWORD dst_unused:UNUSED_PAD src0_sel:WORD_0 src1_sel:DWORD
	v_mul_u32_u24_sdwa v5, v5, s10 dst_sel:DWORD dst_unused:UNUSED_PAD src0_sel:WORD_1 src1_sel:DWORD
	v_mul_u32_u24_sdwa v42, v6, s10 dst_sel:DWORD dst_unused:UNUSED_PAD src0_sel:WORD_0 src1_sel:DWORD
	v_mul_u32_u24_sdwa v6, v6, s10 dst_sel:DWORD dst_unused:UNUSED_PAD src0_sel:WORD_1 src1_sel:DWORD
	v_mul_u32_u24_sdwa v43, v7, s10 dst_sel:DWORD dst_unused:UNUSED_PAD src0_sel:WORD_0 src1_sel:DWORD
	v_mul_u32_u24_sdwa v7, v7, s10 dst_sel:DWORD dst_unused:UNUSED_PAD src0_sel:WORD_1 src1_sel:DWORD
	v_mul_u32_u24_sdwa v44, v8, s10 dst_sel:DWORD dst_unused:UNUSED_PAD src0_sel:WORD_0 src1_sel:DWORD
	v_mul_u32_u24_sdwa v8, v8, s10 dst_sel:DWORD dst_unused:UNUSED_PAD src0_sel:WORD_1 src1_sel:DWORD
	v_pk_fma_f16 v9, v27, v4, v9
	v_pk_fma_f16 v45, v27, v5, v1
	v_pk_fma_f16 v28, v27, v42, v28
	v_pk_fma_f16 v42, v27, v6, v2
	v_pk_fma_f16 v30, v27, v43, v30
	v_pk_fma_f16 v43, v27, v7, v3
	ds_read_b128 v[1:4], v18 offset:9376
	v_pk_fma_f16 v32, v27, v44, v32
	v_pk_fma_f16 v44, v27, v8, v26
	ds_read2_b32 v[26:27], v46 offset0:64 offset1:96
	ds_read_b128 v[5:8], v18 offset:9392
	v_mov_b32_e32 v62, v49
	s_waitcnt lgkmcnt(2)
	v_mul_u32_u24_sdwa v47, v1, s10 dst_sel:DWORD dst_unused:UNUSED_PAD src0_sel:WORD_0 src1_sel:DWORD
	v_mul_u32_u24_sdwa v1, v1, s10 dst_sel:DWORD dst_unused:UNUSED_PAD src0_sel:WORD_1 src1_sel:DWORD
	v_mul_u32_u24_sdwa v48, v2, s10 dst_sel:DWORD dst_unused:UNUSED_PAD src0_sel:WORD_0 src1_sel:DWORD
	v_mul_u32_u24_sdwa v2, v2, s10 dst_sel:DWORD dst_unused:UNUSED_PAD src0_sel:WORD_1 src1_sel:DWORD
	v_mul_u32_u24_sdwa v50, v3, s10 dst_sel:DWORD dst_unused:UNUSED_PAD src0_sel:WORD_0 src1_sel:DWORD
	v_mul_u32_u24_sdwa v3, v3, s10 dst_sel:DWORD dst_unused:UNUSED_PAD src0_sel:WORD_1 src1_sel:DWORD
	v_mul_u32_u24_sdwa v52, v4, s10 dst_sel:DWORD dst_unused:UNUSED_PAD src0_sel:WORD_0 src1_sel:DWORD
	v_mul_u32_u24_sdwa v4, v4, s10 dst_sel:DWORD dst_unused:UNUSED_PAD src0_sel:WORD_1 src1_sel:DWORD
	s_waitcnt lgkmcnt(1)
	v_pk_fma_f16 v9, v26, v47, v9
	v_pk_fma_f16 v1, v26, v1, v45
	v_pk_fma_f16 v28, v26, v48, v28
	v_pk_fma_f16 v2, v26, v2, v42
	v_pk_fma_f16 v30, v26, v50, v30
	v_pk_fma_f16 v3, v26, v3, v43
	v_pk_fma_f16 v32, v26, v52, v32
	v_pk_fma_f16 v26, v26, v4, v44
	s_waitcnt lgkmcnt(0)
	v_mul_u32_u24_sdwa v4, v5, s10 dst_sel:DWORD dst_unused:UNUSED_PAD src0_sel:WORD_0 src1_sel:DWORD
	v_mul_u32_u24_sdwa v5, v5, s10 dst_sel:DWORD dst_unused:UNUSED_PAD src0_sel:WORD_1 src1_sel:DWORD
	v_mul_u32_u24_sdwa v42, v6, s10 dst_sel:DWORD dst_unused:UNUSED_PAD src0_sel:WORD_0 src1_sel:DWORD
	v_mul_u32_u24_sdwa v6, v6, s10 dst_sel:DWORD dst_unused:UNUSED_PAD src0_sel:WORD_1 src1_sel:DWORD
	v_mul_u32_u24_sdwa v43, v7, s10 dst_sel:DWORD dst_unused:UNUSED_PAD src0_sel:WORD_0 src1_sel:DWORD
	v_mul_u32_u24_sdwa v7, v7, s10 dst_sel:DWORD dst_unused:UNUSED_PAD src0_sel:WORD_1 src1_sel:DWORD
	v_mul_u32_u24_sdwa v44, v8, s10 dst_sel:DWORD dst_unused:UNUSED_PAD src0_sel:WORD_0 src1_sel:DWORD
	v_mul_u32_u24_sdwa v8, v8, s10 dst_sel:DWORD dst_unused:UNUSED_PAD src0_sel:WORD_1 src1_sel:DWORD
	v_pk_fma_f16 v9, v27, v4, v9
	v_pk_fma_f16 v45, v27, v5, v1
	v_pk_fma_f16 v28, v27, v42, v28
	v_pk_fma_f16 v42, v27, v6, v2
	v_pk_fma_f16 v30, v27, v43, v30
	v_pk_fma_f16 v43, v27, v7, v3
	ds_read_b128 v[1:4], v18 offset:9408
	v_pk_fma_f16 v32, v27, v44, v32
	v_pk_fma_f16 v44, v27, v8, v26
	ds_read2_b32 v[26:27], v46 offset0:128 offset1:160
	ds_read_b128 v[5:8], v18 offset:9424
	v_mov_b32_e32 v59, v25
	s_waitcnt lgkmcnt(2)
	v_mul_u32_u24_sdwa v47, v1, s10 dst_sel:DWORD dst_unused:UNUSED_PAD src0_sel:WORD_0 src1_sel:DWORD
	v_mul_u32_u24_sdwa v1, v1, s10 dst_sel:DWORD dst_unused:UNUSED_PAD src0_sel:WORD_1 src1_sel:DWORD
	v_mul_u32_u24_sdwa v48, v2, s10 dst_sel:DWORD dst_unused:UNUSED_PAD src0_sel:WORD_0 src1_sel:DWORD
	v_mul_u32_u24_sdwa v2, v2, s10 dst_sel:DWORD dst_unused:UNUSED_PAD src0_sel:WORD_1 src1_sel:DWORD
	v_mul_u32_u24_sdwa v50, v3, s10 dst_sel:DWORD dst_unused:UNUSED_PAD src0_sel:WORD_0 src1_sel:DWORD
	v_mul_u32_u24_sdwa v3, v3, s10 dst_sel:DWORD dst_unused:UNUSED_PAD src0_sel:WORD_1 src1_sel:DWORD
	v_mul_u32_u24_sdwa v52, v4, s10 dst_sel:DWORD dst_unused:UNUSED_PAD src0_sel:WORD_0 src1_sel:DWORD
	v_mul_u32_u24_sdwa v4, v4, s10 dst_sel:DWORD dst_unused:UNUSED_PAD src0_sel:WORD_1 src1_sel:DWORD
	s_waitcnt lgkmcnt(1)
	v_pk_fma_f16 v9, v26, v47, v9
	v_pk_fma_f16 v1, v26, v1, v45
	v_pk_fma_f16 v28, v26, v48, v28
	v_pk_fma_f16 v2, v26, v2, v42
	v_pk_fma_f16 v30, v26, v50, v30
	v_pk_fma_f16 v3, v26, v3, v43
	v_pk_fma_f16 v32, v26, v52, v32
	v_pk_fma_f16 v26, v26, v4, v44
	s_waitcnt lgkmcnt(0)
	v_mul_u32_u24_sdwa v4, v5, s10 dst_sel:DWORD dst_unused:UNUSED_PAD src0_sel:WORD_0 src1_sel:DWORD
	v_mul_u32_u24_sdwa v5, v5, s10 dst_sel:DWORD dst_unused:UNUSED_PAD src0_sel:WORD_1 src1_sel:DWORD
	v_mul_u32_u24_sdwa v42, v6, s10 dst_sel:DWORD dst_unused:UNUSED_PAD src0_sel:WORD_0 src1_sel:DWORD
	v_mul_u32_u24_sdwa v6, v6, s10 dst_sel:DWORD dst_unused:UNUSED_PAD src0_sel:WORD_1 src1_sel:DWORD
	v_mul_u32_u24_sdwa v43, v7, s10 dst_sel:DWORD dst_unused:UNUSED_PAD src0_sel:WORD_0 src1_sel:DWORD
	v_mul_u32_u24_sdwa v7, v7, s10 dst_sel:DWORD dst_unused:UNUSED_PAD src0_sel:WORD_1 src1_sel:DWORD
	v_mul_u32_u24_sdwa v44, v8, s10 dst_sel:DWORD dst_unused:UNUSED_PAD src0_sel:WORD_0 src1_sel:DWORD
	v_mul_u32_u24_sdwa v8, v8, s10 dst_sel:DWORD dst_unused:UNUSED_PAD src0_sel:WORD_1 src1_sel:DWORD
	v_pk_fma_f16 v9, v27, v4, v9
	v_pk_fma_f16 v45, v27, v5, v1
	v_pk_fma_f16 v28, v27, v42, v28
	v_pk_fma_f16 v42, v27, v6, v2
	v_pk_fma_f16 v30, v27, v43, v30
	v_pk_fma_f16 v43, v27, v7, v3
	ds_read_b128 v[1:4], v18 offset:9440
	v_pk_fma_f16 v32, v27, v44, v32
	v_pk_fma_f16 v44, v27, v8, v26
	ds_read2_b32 v[26:27], v46 offset0:192 offset1:224
	ds_read_b128 v[5:8], v18 offset:9456
	v_mov_b32_e32 v60, v24
	s_waitcnt lgkmcnt(2)
	v_mul_u32_u24_sdwa v46, v1, s10 dst_sel:DWORD dst_unused:UNUSED_PAD src0_sel:WORD_0 src1_sel:DWORD
	v_mul_u32_u24_sdwa v1, v1, s10 dst_sel:DWORD dst_unused:UNUSED_PAD src0_sel:WORD_1 src1_sel:DWORD
	v_mul_u32_u24_sdwa v47, v2, s10 dst_sel:DWORD dst_unused:UNUSED_PAD src0_sel:WORD_0 src1_sel:DWORD
	v_mul_u32_u24_sdwa v2, v2, s10 dst_sel:DWORD dst_unused:UNUSED_PAD src0_sel:WORD_1 src1_sel:DWORD
	;; [unrolled: 2-line block ×4, first 2 shown]
	s_waitcnt lgkmcnt(1)
	v_pk_fma_f16 v9, v26, v46, v9
	v_pk_fma_f16 v1, v26, v1, v45
	;; [unrolled: 1-line block ×8, first 2 shown]
	s_waitcnt lgkmcnt(0)
	v_mul_u32_u24_sdwa v4, v5, s10 dst_sel:DWORD dst_unused:UNUSED_PAD src0_sel:WORD_0 src1_sel:DWORD
	v_mul_u32_u24_sdwa v5, v5, s10 dst_sel:DWORD dst_unused:UNUSED_PAD src0_sel:WORD_1 src1_sel:DWORD
	v_mul_u32_u24_sdwa v42, v6, s10 dst_sel:DWORD dst_unused:UNUSED_PAD src0_sel:WORD_0 src1_sel:DWORD
	v_mul_u32_u24_sdwa v6, v6, s10 dst_sel:DWORD dst_unused:UNUSED_PAD src0_sel:WORD_1 src1_sel:DWORD
	;; [unrolled: 2-line block ×4, first 2 shown]
	v_pk_fma_f16 v9, v27, v4, v9
	v_pk_fma_f16 v45, v27, v5, v1
	;; [unrolled: 1-line block ×6, first 2 shown]
	ds_read_b128 v[1:4], v18 offset:9472
	v_add_u32_e32 v46, 0x800, v19
	v_pk_fma_f16 v32, v27, v44, v32
	v_pk_fma_f16 v44, v27, v8, v26
	ds_read2_b32 v[26:27], v46 offset1:32
	ds_read_b128 v[5:8], v18 offset:9488
	s_waitcnt lgkmcnt(2)
	v_mul_u32_u24_sdwa v47, v1, s10 dst_sel:DWORD dst_unused:UNUSED_PAD src0_sel:WORD_0 src1_sel:DWORD
	v_mul_u32_u24_sdwa v1, v1, s10 dst_sel:DWORD dst_unused:UNUSED_PAD src0_sel:WORD_1 src1_sel:DWORD
	v_mul_u32_u24_sdwa v48, v2, s10 dst_sel:DWORD dst_unused:UNUSED_PAD src0_sel:WORD_0 src1_sel:DWORD
	v_mul_u32_u24_sdwa v2, v2, s10 dst_sel:DWORD dst_unused:UNUSED_PAD src0_sel:WORD_1 src1_sel:DWORD
	v_mul_u32_u24_sdwa v50, v3, s10 dst_sel:DWORD dst_unused:UNUSED_PAD src0_sel:WORD_0 src1_sel:DWORD
	v_mul_u32_u24_sdwa v3, v3, s10 dst_sel:DWORD dst_unused:UNUSED_PAD src0_sel:WORD_1 src1_sel:DWORD
	v_mul_u32_u24_sdwa v52, v4, s10 dst_sel:DWORD dst_unused:UNUSED_PAD src0_sel:WORD_0 src1_sel:DWORD
	v_mul_u32_u24_sdwa v4, v4, s10 dst_sel:DWORD dst_unused:UNUSED_PAD src0_sel:WORD_1 src1_sel:DWORD
	s_waitcnt lgkmcnt(1)
	v_pk_fma_f16 v9, v26, v47, v9
	v_pk_fma_f16 v1, v26, v1, v45
	v_pk_fma_f16 v28, v26, v48, v28
	v_pk_fma_f16 v2, v26, v2, v42
	v_pk_fma_f16 v30, v26, v50, v30
	v_pk_fma_f16 v3, v26, v3, v43
	v_pk_fma_f16 v32, v26, v52, v32
	v_pk_fma_f16 v26, v26, v4, v44
	s_waitcnt lgkmcnt(0)
	v_mul_u32_u24_sdwa v4, v5, s10 dst_sel:DWORD dst_unused:UNUSED_PAD src0_sel:WORD_0 src1_sel:DWORD
	v_mul_u32_u24_sdwa v5, v5, s10 dst_sel:DWORD dst_unused:UNUSED_PAD src0_sel:WORD_1 src1_sel:DWORD
	v_mul_u32_u24_sdwa v42, v6, s10 dst_sel:DWORD dst_unused:UNUSED_PAD src0_sel:WORD_0 src1_sel:DWORD
	v_mul_u32_u24_sdwa v6, v6, s10 dst_sel:DWORD dst_unused:UNUSED_PAD src0_sel:WORD_1 src1_sel:DWORD
	v_mul_u32_u24_sdwa v43, v7, s10 dst_sel:DWORD dst_unused:UNUSED_PAD src0_sel:WORD_0 src1_sel:DWORD
	v_mul_u32_u24_sdwa v7, v7, s10 dst_sel:DWORD dst_unused:UNUSED_PAD src0_sel:WORD_1 src1_sel:DWORD
	v_mul_u32_u24_sdwa v44, v8, s10 dst_sel:DWORD dst_unused:UNUSED_PAD src0_sel:WORD_0 src1_sel:DWORD
	v_mul_u32_u24_sdwa v8, v8, s10 dst_sel:DWORD dst_unused:UNUSED_PAD src0_sel:WORD_1 src1_sel:DWORD
	v_pk_fma_f16 v9, v27, v4, v9
	v_pk_fma_f16 v45, v27, v5, v1
	v_pk_fma_f16 v28, v27, v42, v28
	v_pk_fma_f16 v42, v27, v6, v2
	v_pk_fma_f16 v30, v27, v43, v30
	v_pk_fma_f16 v43, v27, v7, v3
	ds_read_b128 v[1:4], v18 offset:9504
	v_pk_fma_f16 v32, v27, v44, v32
	v_pk_fma_f16 v44, v27, v8, v26
	ds_read2_b32 v[26:27], v46 offset0:64 offset1:96
	ds_read_b128 v[5:8], v18 offset:9520
	v_mov_b32_e32 v58, v23
	s_waitcnt lgkmcnt(2)
	v_mul_u32_u24_sdwa v47, v1, s10 dst_sel:DWORD dst_unused:UNUSED_PAD src0_sel:WORD_0 src1_sel:DWORD
	v_mul_u32_u24_sdwa v1, v1, s10 dst_sel:DWORD dst_unused:UNUSED_PAD src0_sel:WORD_1 src1_sel:DWORD
	v_mul_u32_u24_sdwa v48, v2, s10 dst_sel:DWORD dst_unused:UNUSED_PAD src0_sel:WORD_0 src1_sel:DWORD
	v_mul_u32_u24_sdwa v2, v2, s10 dst_sel:DWORD dst_unused:UNUSED_PAD src0_sel:WORD_1 src1_sel:DWORD
	v_mul_u32_u24_sdwa v50, v3, s10 dst_sel:DWORD dst_unused:UNUSED_PAD src0_sel:WORD_0 src1_sel:DWORD
	v_mul_u32_u24_sdwa v3, v3, s10 dst_sel:DWORD dst_unused:UNUSED_PAD src0_sel:WORD_1 src1_sel:DWORD
	v_mul_u32_u24_sdwa v52, v4, s10 dst_sel:DWORD dst_unused:UNUSED_PAD src0_sel:WORD_0 src1_sel:DWORD
	v_mul_u32_u24_sdwa v4, v4, s10 dst_sel:DWORD dst_unused:UNUSED_PAD src0_sel:WORD_1 src1_sel:DWORD
	s_waitcnt lgkmcnt(1)
	v_pk_fma_f16 v9, v26, v47, v9
	v_pk_fma_f16 v1, v26, v1, v45
	v_pk_fma_f16 v28, v26, v48, v28
	v_pk_fma_f16 v2, v26, v2, v42
	v_pk_fma_f16 v30, v26, v50, v30
	v_pk_fma_f16 v3, v26, v3, v43
	v_pk_fma_f16 v32, v26, v52, v32
	v_pk_fma_f16 v26, v26, v4, v44
	s_waitcnt lgkmcnt(0)
	v_mul_u32_u24_sdwa v4, v5, s10 dst_sel:DWORD dst_unused:UNUSED_PAD src0_sel:WORD_0 src1_sel:DWORD
	v_mul_u32_u24_sdwa v5, v5, s10 dst_sel:DWORD dst_unused:UNUSED_PAD src0_sel:WORD_1 src1_sel:DWORD
	v_mul_u32_u24_sdwa v42, v6, s10 dst_sel:DWORD dst_unused:UNUSED_PAD src0_sel:WORD_0 src1_sel:DWORD
	v_mul_u32_u24_sdwa v6, v6, s10 dst_sel:DWORD dst_unused:UNUSED_PAD src0_sel:WORD_1 src1_sel:DWORD
	v_mul_u32_u24_sdwa v43, v7, s10 dst_sel:DWORD dst_unused:UNUSED_PAD src0_sel:WORD_0 src1_sel:DWORD
	v_mul_u32_u24_sdwa v7, v7, s10 dst_sel:DWORD dst_unused:UNUSED_PAD src0_sel:WORD_1 src1_sel:DWORD
	v_mul_u32_u24_sdwa v44, v8, s10 dst_sel:DWORD dst_unused:UNUSED_PAD src0_sel:WORD_0 src1_sel:DWORD
	v_mul_u32_u24_sdwa v8, v8, s10 dst_sel:DWORD dst_unused:UNUSED_PAD src0_sel:WORD_1 src1_sel:DWORD
	v_pk_fma_f16 v9, v27, v4, v9
	v_pk_fma_f16 v45, v27, v5, v1
	v_pk_fma_f16 v28, v27, v42, v28
	v_pk_fma_f16 v42, v27, v6, v2
	v_pk_fma_f16 v30, v27, v43, v30
	v_pk_fma_f16 v43, v27, v7, v3
	ds_read_b128 v[1:4], v18 offset:9536
	v_pk_fma_f16 v32, v27, v44, v32
	v_pk_fma_f16 v44, v27, v8, v26
	ds_read2_b32 v[26:27], v46 offset0:128 offset1:160
	ds_read_b128 v[5:8], v18 offset:9552
	v_mov_b32_e32 v57, v22
	;; [unrolled: 39-line block ×3, first 2 shown]
	s_waitcnt lgkmcnt(2)
	v_mul_u32_u24_sdwa v46, v1, s10 dst_sel:DWORD dst_unused:UNUSED_PAD src0_sel:WORD_0 src1_sel:DWORD
	v_mul_u32_u24_sdwa v1, v1, s10 dst_sel:DWORD dst_unused:UNUSED_PAD src0_sel:WORD_1 src1_sel:DWORD
	v_mul_u32_u24_sdwa v47, v2, s10 dst_sel:DWORD dst_unused:UNUSED_PAD src0_sel:WORD_0 src1_sel:DWORD
	v_mul_u32_u24_sdwa v2, v2, s10 dst_sel:DWORD dst_unused:UNUSED_PAD src0_sel:WORD_1 src1_sel:DWORD
	;; [unrolled: 2-line block ×4, first 2 shown]
	s_waitcnt lgkmcnt(1)
	v_pk_fma_f16 v9, v26, v46, v9
	v_pk_fma_f16 v1, v26, v1, v45
	;; [unrolled: 1-line block ×8, first 2 shown]
	s_waitcnt lgkmcnt(0)
	v_mul_u32_u24_sdwa v4, v5, s10 dst_sel:DWORD dst_unused:UNUSED_PAD src0_sel:WORD_0 src1_sel:DWORD
	v_mul_u32_u24_sdwa v5, v5, s10 dst_sel:DWORD dst_unused:UNUSED_PAD src0_sel:WORD_1 src1_sel:DWORD
	v_mul_u32_u24_sdwa v42, v6, s10 dst_sel:DWORD dst_unused:UNUSED_PAD src0_sel:WORD_0 src1_sel:DWORD
	v_mul_u32_u24_sdwa v6, v6, s10 dst_sel:DWORD dst_unused:UNUSED_PAD src0_sel:WORD_1 src1_sel:DWORD
	;; [unrolled: 2-line block ×4, first 2 shown]
	v_pk_fma_f16 v9, v27, v4, v9
	v_pk_fma_f16 v45, v27, v5, v1
	;; [unrolled: 1-line block ×6, first 2 shown]
	ds_read_b128 v[1:4], v18 offset:9600
	v_add_u32_e32 v46, 0xc00, v19
	v_pk_fma_f16 v32, v27, v44, v32
	v_pk_fma_f16 v44, v27, v8, v26
	ds_read2_b32 v[26:27], v46 offset1:32
	ds_read_b128 v[5:8], v18 offset:9616
	s_waitcnt lgkmcnt(2)
	v_mul_u32_u24_sdwa v47, v1, s10 dst_sel:DWORD dst_unused:UNUSED_PAD src0_sel:WORD_0 src1_sel:DWORD
	v_mul_u32_u24_sdwa v1, v1, s10 dst_sel:DWORD dst_unused:UNUSED_PAD src0_sel:WORD_1 src1_sel:DWORD
	v_mul_u32_u24_sdwa v48, v2, s10 dst_sel:DWORD dst_unused:UNUSED_PAD src0_sel:WORD_0 src1_sel:DWORD
	v_mul_u32_u24_sdwa v2, v2, s10 dst_sel:DWORD dst_unused:UNUSED_PAD src0_sel:WORD_1 src1_sel:DWORD
	;; [unrolled: 2-line block ×4, first 2 shown]
	s_waitcnt lgkmcnt(1)
	v_pk_fma_f16 v9, v26, v47, v9
	v_pk_fma_f16 v1, v26, v1, v45
	;; [unrolled: 1-line block ×8, first 2 shown]
	s_waitcnt lgkmcnt(0)
	v_mul_u32_u24_sdwa v4, v5, s10 dst_sel:DWORD dst_unused:UNUSED_PAD src0_sel:WORD_0 src1_sel:DWORD
	v_mul_u32_u24_sdwa v5, v5, s10 dst_sel:DWORD dst_unused:UNUSED_PAD src0_sel:WORD_1 src1_sel:DWORD
	v_mul_u32_u24_sdwa v42, v6, s10 dst_sel:DWORD dst_unused:UNUSED_PAD src0_sel:WORD_0 src1_sel:DWORD
	v_mul_u32_u24_sdwa v6, v6, s10 dst_sel:DWORD dst_unused:UNUSED_PAD src0_sel:WORD_1 src1_sel:DWORD
	;; [unrolled: 2-line block ×4, first 2 shown]
	v_pk_fma_f16 v9, v27, v4, v9
	v_pk_fma_f16 v45, v27, v5, v1
	;; [unrolled: 1-line block ×6, first 2 shown]
	ds_read_b128 v[1:4], v18 offset:9632
	v_pk_fma_f16 v32, v27, v44, v32
	v_pk_fma_f16 v44, v27, v8, v26
	ds_read2_b32 v[26:27], v46 offset0:64 offset1:96
	ds_read_b128 v[5:8], v18 offset:9648
	v_mov_b32_e32 v55, v20
	s_waitcnt lgkmcnt(2)
	v_mul_u32_u24_sdwa v47, v1, s10 dst_sel:DWORD dst_unused:UNUSED_PAD src0_sel:WORD_0 src1_sel:DWORD
	v_mul_u32_u24_sdwa v1, v1, s10 dst_sel:DWORD dst_unused:UNUSED_PAD src0_sel:WORD_1 src1_sel:DWORD
	v_mul_u32_u24_sdwa v48, v2, s10 dst_sel:DWORD dst_unused:UNUSED_PAD src0_sel:WORD_0 src1_sel:DWORD
	v_mul_u32_u24_sdwa v2, v2, s10 dst_sel:DWORD dst_unused:UNUSED_PAD src0_sel:WORD_1 src1_sel:DWORD
	;; [unrolled: 2-line block ×4, first 2 shown]
	s_waitcnt lgkmcnt(1)
	v_pk_fma_f16 v9, v26, v47, v9
	v_pk_fma_f16 v1, v26, v1, v45
	;; [unrolled: 1-line block ×8, first 2 shown]
	s_waitcnt lgkmcnt(0)
	v_mul_u32_u24_sdwa v4, v5, s10 dst_sel:DWORD dst_unused:UNUSED_PAD src0_sel:WORD_0 src1_sel:DWORD
	v_mul_u32_u24_sdwa v5, v5, s10 dst_sel:DWORD dst_unused:UNUSED_PAD src0_sel:WORD_1 src1_sel:DWORD
	v_mul_u32_u24_sdwa v42, v6, s10 dst_sel:DWORD dst_unused:UNUSED_PAD src0_sel:WORD_0 src1_sel:DWORD
	v_mul_u32_u24_sdwa v6, v6, s10 dst_sel:DWORD dst_unused:UNUSED_PAD src0_sel:WORD_1 src1_sel:DWORD
	;; [unrolled: 2-line block ×4, first 2 shown]
	v_pk_fma_f16 v9, v27, v4, v9
	v_pk_fma_f16 v45, v27, v5, v1
	;; [unrolled: 1-line block ×6, first 2 shown]
	ds_read_b128 v[1:4], v18 offset:9664
	v_pk_fma_f16 v32, v27, v44, v32
	v_pk_fma_f16 v44, v27, v8, v26
	ds_read2_b32 v[26:27], v46 offset0:128 offset1:160
	ds_read_b128 v[5:8], v18 offset:9680
	s_waitcnt lgkmcnt(2)
	v_mul_u32_u24_sdwa v47, v1, s10 dst_sel:DWORD dst_unused:UNUSED_PAD src0_sel:WORD_0 src1_sel:DWORD
	v_mul_u32_u24_sdwa v1, v1, s10 dst_sel:DWORD dst_unused:UNUSED_PAD src0_sel:WORD_1 src1_sel:DWORD
	v_mul_u32_u24_sdwa v48, v2, s10 dst_sel:DWORD dst_unused:UNUSED_PAD src0_sel:WORD_0 src1_sel:DWORD
	v_mul_u32_u24_sdwa v2, v2, s10 dst_sel:DWORD dst_unused:UNUSED_PAD src0_sel:WORD_1 src1_sel:DWORD
	;; [unrolled: 2-line block ×4, first 2 shown]
	s_waitcnt lgkmcnt(1)
	v_pk_fma_f16 v9, v26, v47, v9
	v_pk_fma_f16 v1, v26, v1, v45
	;; [unrolled: 1-line block ×8, first 2 shown]
	s_waitcnt lgkmcnt(0)
	v_mul_u32_u24_sdwa v4, v5, s10 dst_sel:DWORD dst_unused:UNUSED_PAD src0_sel:WORD_0 src1_sel:DWORD
	v_mul_u32_u24_sdwa v5, v5, s10 dst_sel:DWORD dst_unused:UNUSED_PAD src0_sel:WORD_1 src1_sel:DWORD
	v_mul_u32_u24_sdwa v42, v6, s10 dst_sel:DWORD dst_unused:UNUSED_PAD src0_sel:WORD_0 src1_sel:DWORD
	v_mul_u32_u24_sdwa v6, v6, s10 dst_sel:DWORD dst_unused:UNUSED_PAD src0_sel:WORD_1 src1_sel:DWORD
	;; [unrolled: 2-line block ×4, first 2 shown]
	v_pk_fma_f16 v9, v27, v4, v9
	v_pk_fma_f16 v45, v27, v5, v1
	;; [unrolled: 1-line block ×6, first 2 shown]
	ds_read_b128 v[1:4], v18 offset:9696
	v_pk_fma_f16 v32, v27, v44, v32
	v_pk_fma_f16 v44, v27, v8, v26
	ds_read2_b32 v[26:27], v46 offset0:192 offset1:224
	ds_read_b128 v[5:8], v18 offset:9712
	s_waitcnt lgkmcnt(2)
	v_mul_u32_u24_sdwa v46, v1, s10 dst_sel:DWORD dst_unused:UNUSED_PAD src0_sel:WORD_0 src1_sel:DWORD
	v_mul_u32_u24_sdwa v1, v1, s10 dst_sel:DWORD dst_unused:UNUSED_PAD src0_sel:WORD_1 src1_sel:DWORD
	v_mul_u32_u24_sdwa v47, v2, s10 dst_sel:DWORD dst_unused:UNUSED_PAD src0_sel:WORD_0 src1_sel:DWORD
	v_mul_u32_u24_sdwa v2, v2, s10 dst_sel:DWORD dst_unused:UNUSED_PAD src0_sel:WORD_1 src1_sel:DWORD
	;; [unrolled: 2-line block ×4, first 2 shown]
	s_waitcnt lgkmcnt(1)
	v_pk_fma_f16 v9, v26, v46, v9
	v_pk_fma_f16 v1, v26, v1, v45
	;; [unrolled: 1-line block ×8, first 2 shown]
	s_waitcnt lgkmcnt(0)
	v_mul_u32_u24_sdwa v4, v5, s10 dst_sel:DWORD dst_unused:UNUSED_PAD src0_sel:WORD_0 src1_sel:DWORD
	v_mul_u32_u24_sdwa v5, v5, s10 dst_sel:DWORD dst_unused:UNUSED_PAD src0_sel:WORD_1 src1_sel:DWORD
	v_mul_u32_u24_sdwa v42, v6, s10 dst_sel:DWORD dst_unused:UNUSED_PAD src0_sel:WORD_0 src1_sel:DWORD
	v_mul_u32_u24_sdwa v6, v6, s10 dst_sel:DWORD dst_unused:UNUSED_PAD src0_sel:WORD_1 src1_sel:DWORD
	;; [unrolled: 2-line block ×4, first 2 shown]
	v_pk_fma_f16 v9, v27, v4, v9
	v_pk_fma_f16 v45, v27, v5, v1
	;; [unrolled: 1-line block ×6, first 2 shown]
	ds_read_b128 v[1:4], v18 offset:9728
	v_add_u32_e32 v46, 0x1000, v19
	v_pk_fma_f16 v32, v27, v44, v32
	v_pk_fma_f16 v44, v27, v8, v26
	ds_read2_b32 v[26:27], v46 offset1:32
	ds_read_b128 v[5:8], v18 offset:9744
	s_waitcnt lgkmcnt(2)
	v_mul_u32_u24_sdwa v47, v1, s10 dst_sel:DWORD dst_unused:UNUSED_PAD src0_sel:WORD_0 src1_sel:DWORD
	v_mul_u32_u24_sdwa v1, v1, s10 dst_sel:DWORD dst_unused:UNUSED_PAD src0_sel:WORD_1 src1_sel:DWORD
	v_mul_u32_u24_sdwa v48, v2, s10 dst_sel:DWORD dst_unused:UNUSED_PAD src0_sel:WORD_0 src1_sel:DWORD
	v_mul_u32_u24_sdwa v2, v2, s10 dst_sel:DWORD dst_unused:UNUSED_PAD src0_sel:WORD_1 src1_sel:DWORD
	v_mul_u32_u24_sdwa v50, v3, s10 dst_sel:DWORD dst_unused:UNUSED_PAD src0_sel:WORD_0 src1_sel:DWORD
	v_mul_u32_u24_sdwa v3, v3, s10 dst_sel:DWORD dst_unused:UNUSED_PAD src0_sel:WORD_1 src1_sel:DWORD
	v_mul_u32_u24_sdwa v52, v4, s10 dst_sel:DWORD dst_unused:UNUSED_PAD src0_sel:WORD_0 src1_sel:DWORD
	v_mul_u32_u24_sdwa v4, v4, s10 dst_sel:DWORD dst_unused:UNUSED_PAD src0_sel:WORD_1 src1_sel:DWORD
	s_waitcnt lgkmcnt(1)
	v_pk_fma_f16 v9, v26, v47, v9
	v_pk_fma_f16 v1, v26, v1, v45
	v_pk_fma_f16 v28, v26, v48, v28
	v_pk_fma_f16 v2, v26, v2, v42
	v_pk_fma_f16 v30, v26, v50, v30
	v_pk_fma_f16 v3, v26, v3, v43
	v_pk_fma_f16 v32, v26, v52, v32
	v_pk_fma_f16 v26, v26, v4, v44
	s_waitcnt lgkmcnt(0)
	v_mul_u32_u24_sdwa v4, v5, s10 dst_sel:DWORD dst_unused:UNUSED_PAD src0_sel:WORD_0 src1_sel:DWORD
	v_mul_u32_u24_sdwa v5, v5, s10 dst_sel:DWORD dst_unused:UNUSED_PAD src0_sel:WORD_1 src1_sel:DWORD
	v_mul_u32_u24_sdwa v42, v6, s10 dst_sel:DWORD dst_unused:UNUSED_PAD src0_sel:WORD_0 src1_sel:DWORD
	v_mul_u32_u24_sdwa v6, v6, s10 dst_sel:DWORD dst_unused:UNUSED_PAD src0_sel:WORD_1 src1_sel:DWORD
	v_mul_u32_u24_sdwa v43, v7, s10 dst_sel:DWORD dst_unused:UNUSED_PAD src0_sel:WORD_0 src1_sel:DWORD
	v_mul_u32_u24_sdwa v7, v7, s10 dst_sel:DWORD dst_unused:UNUSED_PAD src0_sel:WORD_1 src1_sel:DWORD
	v_mul_u32_u24_sdwa v44, v8, s10 dst_sel:DWORD dst_unused:UNUSED_PAD src0_sel:WORD_0 src1_sel:DWORD
	v_mul_u32_u24_sdwa v8, v8, s10 dst_sel:DWORD dst_unused:UNUSED_PAD src0_sel:WORD_1 src1_sel:DWORD
	v_pk_fma_f16 v9, v27, v4, v9
	v_pk_fma_f16 v45, v27, v5, v1
	v_pk_fma_f16 v28, v27, v42, v28
	v_pk_fma_f16 v42, v27, v6, v2
	v_pk_fma_f16 v30, v27, v43, v30
	v_pk_fma_f16 v43, v27, v7, v3
	ds_read_b128 v[1:4], v18 offset:9760
	v_pk_fma_f16 v32, v27, v44, v32
	v_pk_fma_f16 v44, v27, v8, v26
	ds_read2_b32 v[26:27], v46 offset0:64 offset1:96
	ds_read_b128 v[5:8], v18 offset:9776
	s_waitcnt lgkmcnt(2)
	v_mul_u32_u24_sdwa v47, v1, s10 dst_sel:DWORD dst_unused:UNUSED_PAD src0_sel:WORD_0 src1_sel:DWORD
	v_mul_u32_u24_sdwa v1, v1, s10 dst_sel:DWORD dst_unused:UNUSED_PAD src0_sel:WORD_1 src1_sel:DWORD
	v_mul_u32_u24_sdwa v48, v2, s10 dst_sel:DWORD dst_unused:UNUSED_PAD src0_sel:WORD_0 src1_sel:DWORD
	v_mul_u32_u24_sdwa v2, v2, s10 dst_sel:DWORD dst_unused:UNUSED_PAD src0_sel:WORD_1 src1_sel:DWORD
	v_mul_u32_u24_sdwa v50, v3, s10 dst_sel:DWORD dst_unused:UNUSED_PAD src0_sel:WORD_0 src1_sel:DWORD
	v_mul_u32_u24_sdwa v3, v3, s10 dst_sel:DWORD dst_unused:UNUSED_PAD src0_sel:WORD_1 src1_sel:DWORD
	v_mul_u32_u24_sdwa v52, v4, s10 dst_sel:DWORD dst_unused:UNUSED_PAD src0_sel:WORD_0 src1_sel:DWORD
	v_mul_u32_u24_sdwa v4, v4, s10 dst_sel:DWORD dst_unused:UNUSED_PAD src0_sel:WORD_1 src1_sel:DWORD
	s_waitcnt lgkmcnt(1)
	v_pk_fma_f16 v9, v26, v47, v9
	v_pk_fma_f16 v1, v26, v1, v45
	v_pk_fma_f16 v28, v26, v48, v28
	v_pk_fma_f16 v2, v26, v2, v42
	v_pk_fma_f16 v30, v26, v50, v30
	v_pk_fma_f16 v3, v26, v3, v43
	v_pk_fma_f16 v32, v26, v52, v32
	v_pk_fma_f16 v26, v26, v4, v44
	s_waitcnt lgkmcnt(0)
	v_mul_u32_u24_sdwa v4, v5, s10 dst_sel:DWORD dst_unused:UNUSED_PAD src0_sel:WORD_0 src1_sel:DWORD
	v_mul_u32_u24_sdwa v5, v5, s10 dst_sel:DWORD dst_unused:UNUSED_PAD src0_sel:WORD_1 src1_sel:DWORD
	v_mul_u32_u24_sdwa v42, v6, s10 dst_sel:DWORD dst_unused:UNUSED_PAD src0_sel:WORD_0 src1_sel:DWORD
	v_mul_u32_u24_sdwa v6, v6, s10 dst_sel:DWORD dst_unused:UNUSED_PAD src0_sel:WORD_1 src1_sel:DWORD
	v_mul_u32_u24_sdwa v43, v7, s10 dst_sel:DWORD dst_unused:UNUSED_PAD src0_sel:WORD_0 src1_sel:DWORD
	v_mul_u32_u24_sdwa v7, v7, s10 dst_sel:DWORD dst_unused:UNUSED_PAD src0_sel:WORD_1 src1_sel:DWORD
	v_mul_u32_u24_sdwa v44, v8, s10 dst_sel:DWORD dst_unused:UNUSED_PAD src0_sel:WORD_0 src1_sel:DWORD
	v_mul_u32_u24_sdwa v8, v8, s10 dst_sel:DWORD dst_unused:UNUSED_PAD src0_sel:WORD_1 src1_sel:DWORD
	v_pk_fma_f16 v9, v27, v4, v9
	v_pk_fma_f16 v45, v27, v5, v1
	v_pk_fma_f16 v28, v27, v42, v28
	v_pk_fma_f16 v42, v27, v6, v2
	v_pk_fma_f16 v30, v27, v43, v30
	v_pk_fma_f16 v43, v27, v7, v3
	ds_read_b128 v[1:4], v18 offset:9792
	v_pk_fma_f16 v32, v27, v44, v32
	v_pk_fma_f16 v44, v27, v8, v26
	ds_read2_b32 v[26:27], v46 offset0:128 offset1:160
	;; [unrolled: 38-line block ×3, first 2 shown]
	ds_read_b128 v[5:8], v18 offset:9840
	s_waitcnt lgkmcnt(2)
	v_mul_u32_u24_sdwa v46, v1, s10 dst_sel:DWORD dst_unused:UNUSED_PAD src0_sel:WORD_0 src1_sel:DWORD
	v_mul_u32_u24_sdwa v1, v1, s10 dst_sel:DWORD dst_unused:UNUSED_PAD src0_sel:WORD_1 src1_sel:DWORD
	v_mul_u32_u24_sdwa v47, v2, s10 dst_sel:DWORD dst_unused:UNUSED_PAD src0_sel:WORD_0 src1_sel:DWORD
	v_mul_u32_u24_sdwa v2, v2, s10 dst_sel:DWORD dst_unused:UNUSED_PAD src0_sel:WORD_1 src1_sel:DWORD
	;; [unrolled: 2-line block ×4, first 2 shown]
	s_waitcnt lgkmcnt(1)
	v_pk_fma_f16 v9, v26, v46, v9
	v_pk_fma_f16 v1, v26, v1, v45
	v_pk_fma_f16 v28, v26, v47, v28
	v_pk_fma_f16 v2, v26, v2, v42
	v_pk_fma_f16 v30, v26, v48, v30
	v_pk_fma_f16 v3, v26, v3, v43
	v_pk_fma_f16 v32, v26, v50, v32
	v_pk_fma_f16 v26, v26, v4, v44
	s_waitcnt lgkmcnt(0)
	v_mul_u32_u24_sdwa v4, v5, s10 dst_sel:DWORD dst_unused:UNUSED_PAD src0_sel:WORD_0 src1_sel:DWORD
	v_mul_u32_u24_sdwa v5, v5, s10 dst_sel:DWORD dst_unused:UNUSED_PAD src0_sel:WORD_1 src1_sel:DWORD
	v_mul_u32_u24_sdwa v42, v6, s10 dst_sel:DWORD dst_unused:UNUSED_PAD src0_sel:WORD_0 src1_sel:DWORD
	v_mul_u32_u24_sdwa v6, v6, s10 dst_sel:DWORD dst_unused:UNUSED_PAD src0_sel:WORD_1 src1_sel:DWORD
	;; [unrolled: 2-line block ×4, first 2 shown]
	v_pk_fma_f16 v9, v27, v4, v9
	v_pk_fma_f16 v45, v27, v5, v1
	;; [unrolled: 1-line block ×6, first 2 shown]
	ds_read_b128 v[1:4], v18 offset:9856
	v_add_u32_e32 v46, 0x1400, v19
	v_pk_fma_f16 v32, v27, v44, v32
	v_pk_fma_f16 v44, v27, v8, v26
	ds_read2_b32 v[26:27], v46 offset1:32
	ds_read_b128 v[5:8], v18 offset:9872
	s_waitcnt lgkmcnt(2)
	v_mul_u32_u24_sdwa v47, v1, s10 dst_sel:DWORD dst_unused:UNUSED_PAD src0_sel:WORD_0 src1_sel:DWORD
	v_mul_u32_u24_sdwa v1, v1, s10 dst_sel:DWORD dst_unused:UNUSED_PAD src0_sel:WORD_1 src1_sel:DWORD
	v_mul_u32_u24_sdwa v48, v2, s10 dst_sel:DWORD dst_unused:UNUSED_PAD src0_sel:WORD_0 src1_sel:DWORD
	v_mul_u32_u24_sdwa v2, v2, s10 dst_sel:DWORD dst_unused:UNUSED_PAD src0_sel:WORD_1 src1_sel:DWORD
	v_mul_u32_u24_sdwa v50, v3, s10 dst_sel:DWORD dst_unused:UNUSED_PAD src0_sel:WORD_0 src1_sel:DWORD
	v_mul_u32_u24_sdwa v3, v3, s10 dst_sel:DWORD dst_unused:UNUSED_PAD src0_sel:WORD_1 src1_sel:DWORD
	v_mul_u32_u24_sdwa v52, v4, s10 dst_sel:DWORD dst_unused:UNUSED_PAD src0_sel:WORD_0 src1_sel:DWORD
	v_mul_u32_u24_sdwa v4, v4, s10 dst_sel:DWORD dst_unused:UNUSED_PAD src0_sel:WORD_1 src1_sel:DWORD
	s_waitcnt lgkmcnt(1)
	v_pk_fma_f16 v9, v26, v47, v9
	v_pk_fma_f16 v1, v26, v1, v45
	v_pk_fma_f16 v28, v26, v48, v28
	v_pk_fma_f16 v2, v26, v2, v42
	v_pk_fma_f16 v30, v26, v50, v30
	v_pk_fma_f16 v3, v26, v3, v43
	v_pk_fma_f16 v32, v26, v52, v32
	v_pk_fma_f16 v26, v26, v4, v44
	s_waitcnt lgkmcnt(0)
	v_mul_u32_u24_sdwa v4, v5, s10 dst_sel:DWORD dst_unused:UNUSED_PAD src0_sel:WORD_0 src1_sel:DWORD
	v_mul_u32_u24_sdwa v5, v5, s10 dst_sel:DWORD dst_unused:UNUSED_PAD src0_sel:WORD_1 src1_sel:DWORD
	v_mul_u32_u24_sdwa v42, v6, s10 dst_sel:DWORD dst_unused:UNUSED_PAD src0_sel:WORD_0 src1_sel:DWORD
	v_mul_u32_u24_sdwa v6, v6, s10 dst_sel:DWORD dst_unused:UNUSED_PAD src0_sel:WORD_1 src1_sel:DWORD
	v_mul_u32_u24_sdwa v43, v7, s10 dst_sel:DWORD dst_unused:UNUSED_PAD src0_sel:WORD_0 src1_sel:DWORD
	v_mul_u32_u24_sdwa v7, v7, s10 dst_sel:DWORD dst_unused:UNUSED_PAD src0_sel:WORD_1 src1_sel:DWORD
	v_mul_u32_u24_sdwa v44, v8, s10 dst_sel:DWORD dst_unused:UNUSED_PAD src0_sel:WORD_0 src1_sel:DWORD
	v_mul_u32_u24_sdwa v8, v8, s10 dst_sel:DWORD dst_unused:UNUSED_PAD src0_sel:WORD_1 src1_sel:DWORD
	v_pk_fma_f16 v9, v27, v4, v9
	v_pk_fma_f16 v45, v27, v5, v1
	v_pk_fma_f16 v28, v27, v42, v28
	v_pk_fma_f16 v42, v27, v6, v2
	v_pk_fma_f16 v30, v27, v43, v30
	v_pk_fma_f16 v43, v27, v7, v3
	ds_read_b128 v[1:4], v18 offset:9888
	v_pk_fma_f16 v32, v27, v44, v32
	v_pk_fma_f16 v44, v27, v8, v26
	ds_read2_b32 v[26:27], v46 offset0:64 offset1:96
	ds_read_b128 v[5:8], v18 offset:9904
	s_waitcnt lgkmcnt(2)
	v_mul_u32_u24_sdwa v47, v1, s10 dst_sel:DWORD dst_unused:UNUSED_PAD src0_sel:WORD_0 src1_sel:DWORD
	v_mul_u32_u24_sdwa v1, v1, s10 dst_sel:DWORD dst_unused:UNUSED_PAD src0_sel:WORD_1 src1_sel:DWORD
	v_mul_u32_u24_sdwa v48, v2, s10 dst_sel:DWORD dst_unused:UNUSED_PAD src0_sel:WORD_0 src1_sel:DWORD
	v_mul_u32_u24_sdwa v2, v2, s10 dst_sel:DWORD dst_unused:UNUSED_PAD src0_sel:WORD_1 src1_sel:DWORD
	v_mul_u32_u24_sdwa v50, v3, s10 dst_sel:DWORD dst_unused:UNUSED_PAD src0_sel:WORD_0 src1_sel:DWORD
	v_mul_u32_u24_sdwa v3, v3, s10 dst_sel:DWORD dst_unused:UNUSED_PAD src0_sel:WORD_1 src1_sel:DWORD
	v_mul_u32_u24_sdwa v52, v4, s10 dst_sel:DWORD dst_unused:UNUSED_PAD src0_sel:WORD_0 src1_sel:DWORD
	v_mul_u32_u24_sdwa v4, v4, s10 dst_sel:DWORD dst_unused:UNUSED_PAD src0_sel:WORD_1 src1_sel:DWORD
	s_waitcnt lgkmcnt(1)
	v_pk_fma_f16 v9, v26, v47, v9
	v_pk_fma_f16 v1, v26, v1, v45
	v_pk_fma_f16 v28, v26, v48, v28
	v_pk_fma_f16 v2, v26, v2, v42
	v_pk_fma_f16 v30, v26, v50, v30
	v_pk_fma_f16 v3, v26, v3, v43
	v_pk_fma_f16 v32, v26, v52, v32
	v_pk_fma_f16 v26, v26, v4, v44
	s_waitcnt lgkmcnt(0)
	v_mul_u32_u24_sdwa v4, v5, s10 dst_sel:DWORD dst_unused:UNUSED_PAD src0_sel:WORD_0 src1_sel:DWORD
	v_mul_u32_u24_sdwa v5, v5, s10 dst_sel:DWORD dst_unused:UNUSED_PAD src0_sel:WORD_1 src1_sel:DWORD
	v_mul_u32_u24_sdwa v42, v6, s10 dst_sel:DWORD dst_unused:UNUSED_PAD src0_sel:WORD_0 src1_sel:DWORD
	v_mul_u32_u24_sdwa v6, v6, s10 dst_sel:DWORD dst_unused:UNUSED_PAD src0_sel:WORD_1 src1_sel:DWORD
	v_mul_u32_u24_sdwa v43, v7, s10 dst_sel:DWORD dst_unused:UNUSED_PAD src0_sel:WORD_0 src1_sel:DWORD
	v_mul_u32_u24_sdwa v7, v7, s10 dst_sel:DWORD dst_unused:UNUSED_PAD src0_sel:WORD_1 src1_sel:DWORD
	v_mul_u32_u24_sdwa v44, v8, s10 dst_sel:DWORD dst_unused:UNUSED_PAD src0_sel:WORD_0 src1_sel:DWORD
	v_mul_u32_u24_sdwa v8, v8, s10 dst_sel:DWORD dst_unused:UNUSED_PAD src0_sel:WORD_1 src1_sel:DWORD
	v_pk_fma_f16 v9, v27, v4, v9
	v_pk_fma_f16 v45, v27, v5, v1
	v_pk_fma_f16 v28, v27, v42, v28
	v_pk_fma_f16 v42, v27, v6, v2
	v_pk_fma_f16 v30, v27, v43, v30
	v_pk_fma_f16 v43, v27, v7, v3
	ds_read_b128 v[1:4], v18 offset:9920
	v_pk_fma_f16 v32, v27, v44, v32
	v_pk_fma_f16 v44, v27, v8, v26
	ds_read2_b32 v[26:27], v46 offset0:128 offset1:160
	;; [unrolled: 38-line block ×3, first 2 shown]
	ds_read_b128 v[5:8], v18 offset:9968
	s_waitcnt lgkmcnt(2)
	v_mul_u32_u24_sdwa v46, v1, s10 dst_sel:DWORD dst_unused:UNUSED_PAD src0_sel:WORD_0 src1_sel:DWORD
	v_mul_u32_u24_sdwa v1, v1, s10 dst_sel:DWORD dst_unused:UNUSED_PAD src0_sel:WORD_1 src1_sel:DWORD
	v_mul_u32_u24_sdwa v47, v2, s10 dst_sel:DWORD dst_unused:UNUSED_PAD src0_sel:WORD_0 src1_sel:DWORD
	v_mul_u32_u24_sdwa v2, v2, s10 dst_sel:DWORD dst_unused:UNUSED_PAD src0_sel:WORD_1 src1_sel:DWORD
	;; [unrolled: 2-line block ×4, first 2 shown]
	s_waitcnt lgkmcnt(1)
	v_pk_fma_f16 v9, v26, v46, v9
	v_pk_fma_f16 v1, v26, v1, v45
	;; [unrolled: 1-line block ×8, first 2 shown]
	s_waitcnt lgkmcnt(0)
	v_mul_u32_u24_sdwa v4, v5, s10 dst_sel:DWORD dst_unused:UNUSED_PAD src0_sel:WORD_0 src1_sel:DWORD
	v_mul_u32_u24_sdwa v5, v5, s10 dst_sel:DWORD dst_unused:UNUSED_PAD src0_sel:WORD_1 src1_sel:DWORD
	v_mul_u32_u24_sdwa v42, v6, s10 dst_sel:DWORD dst_unused:UNUSED_PAD src0_sel:WORD_0 src1_sel:DWORD
	v_mul_u32_u24_sdwa v6, v6, s10 dst_sel:DWORD dst_unused:UNUSED_PAD src0_sel:WORD_1 src1_sel:DWORD
	;; [unrolled: 2-line block ×4, first 2 shown]
	v_pk_fma_f16 v9, v27, v4, v9
	v_pk_fma_f16 v45, v27, v5, v1
	;; [unrolled: 1-line block ×6, first 2 shown]
	ds_read_b128 v[1:4], v18 offset:9984
	v_add_u32_e32 v46, 0x1800, v19
	v_pk_fma_f16 v32, v27, v44, v32
	v_pk_fma_f16 v44, v27, v8, v26
	ds_read2_b32 v[26:27], v46 offset1:32
	ds_read_b128 v[5:8], v18 offset:10000
	s_waitcnt lgkmcnt(2)
	v_mul_u32_u24_sdwa v47, v1, s10 dst_sel:DWORD dst_unused:UNUSED_PAD src0_sel:WORD_0 src1_sel:DWORD
	v_mul_u32_u24_sdwa v1, v1, s10 dst_sel:DWORD dst_unused:UNUSED_PAD src0_sel:WORD_1 src1_sel:DWORD
	v_mul_u32_u24_sdwa v48, v2, s10 dst_sel:DWORD dst_unused:UNUSED_PAD src0_sel:WORD_0 src1_sel:DWORD
	v_mul_u32_u24_sdwa v2, v2, s10 dst_sel:DWORD dst_unused:UNUSED_PAD src0_sel:WORD_1 src1_sel:DWORD
	;; [unrolled: 2-line block ×4, first 2 shown]
	s_waitcnt lgkmcnt(1)
	v_pk_fma_f16 v9, v26, v47, v9
	v_pk_fma_f16 v1, v26, v1, v45
	;; [unrolled: 1-line block ×8, first 2 shown]
	s_waitcnt lgkmcnt(0)
	v_mul_u32_u24_sdwa v4, v5, s10 dst_sel:DWORD dst_unused:UNUSED_PAD src0_sel:WORD_0 src1_sel:DWORD
	v_mul_u32_u24_sdwa v5, v5, s10 dst_sel:DWORD dst_unused:UNUSED_PAD src0_sel:WORD_1 src1_sel:DWORD
	v_mul_u32_u24_sdwa v42, v6, s10 dst_sel:DWORD dst_unused:UNUSED_PAD src0_sel:WORD_0 src1_sel:DWORD
	v_mul_u32_u24_sdwa v6, v6, s10 dst_sel:DWORD dst_unused:UNUSED_PAD src0_sel:WORD_1 src1_sel:DWORD
	;; [unrolled: 2-line block ×4, first 2 shown]
	v_pk_fma_f16 v9, v27, v4, v9
	v_pk_fma_f16 v45, v27, v5, v1
	;; [unrolled: 1-line block ×6, first 2 shown]
	ds_read_b128 v[1:4], v18 offset:10016
	v_pk_fma_f16 v32, v27, v44, v32
	v_pk_fma_f16 v44, v27, v8, v26
	ds_read2_b32 v[26:27], v46 offset0:64 offset1:96
	ds_read_b128 v[5:8], v18 offset:10032
	v_add_u32_e32 v19, 0x1c00, v19
	s_waitcnt lgkmcnt(2)
	v_mul_u32_u24_sdwa v47, v1, s10 dst_sel:DWORD dst_unused:UNUSED_PAD src0_sel:WORD_0 src1_sel:DWORD
	v_mul_u32_u24_sdwa v1, v1, s10 dst_sel:DWORD dst_unused:UNUSED_PAD src0_sel:WORD_1 src1_sel:DWORD
	v_mul_u32_u24_sdwa v48, v2, s10 dst_sel:DWORD dst_unused:UNUSED_PAD src0_sel:WORD_0 src1_sel:DWORD
	v_mul_u32_u24_sdwa v2, v2, s10 dst_sel:DWORD dst_unused:UNUSED_PAD src0_sel:WORD_1 src1_sel:DWORD
	;; [unrolled: 2-line block ×4, first 2 shown]
	s_waitcnt lgkmcnt(1)
	v_pk_fma_f16 v9, v26, v47, v9
	v_pk_fma_f16 v1, v26, v1, v45
	;; [unrolled: 1-line block ×8, first 2 shown]
	s_waitcnt lgkmcnt(0)
	v_mul_u32_u24_sdwa v4, v5, s10 dst_sel:DWORD dst_unused:UNUSED_PAD src0_sel:WORD_0 src1_sel:DWORD
	v_mul_u32_u24_sdwa v5, v5, s10 dst_sel:DWORD dst_unused:UNUSED_PAD src0_sel:WORD_1 src1_sel:DWORD
	v_mul_u32_u24_sdwa v42, v6, s10 dst_sel:DWORD dst_unused:UNUSED_PAD src0_sel:WORD_0 src1_sel:DWORD
	v_mul_u32_u24_sdwa v6, v6, s10 dst_sel:DWORD dst_unused:UNUSED_PAD src0_sel:WORD_1 src1_sel:DWORD
	;; [unrolled: 2-line block ×4, first 2 shown]
	v_pk_fma_f16 v9, v27, v4, v9
	v_pk_fma_f16 v45, v27, v5, v1
	;; [unrolled: 1-line block ×6, first 2 shown]
	ds_read_b128 v[1:4], v18 offset:10048
	v_pk_fma_f16 v32, v27, v44, v32
	v_pk_fma_f16 v44, v27, v8, v26
	ds_read2_b32 v[26:27], v46 offset0:128 offset1:160
	ds_read_b128 v[5:8], v18 offset:10064
	s_waitcnt lgkmcnt(2)
	v_mul_u32_u24_sdwa v47, v1, s10 dst_sel:DWORD dst_unused:UNUSED_PAD src0_sel:WORD_0 src1_sel:DWORD
	v_mul_u32_u24_sdwa v1, v1, s10 dst_sel:DWORD dst_unused:UNUSED_PAD src0_sel:WORD_1 src1_sel:DWORD
	v_mul_u32_u24_sdwa v48, v2, s10 dst_sel:DWORD dst_unused:UNUSED_PAD src0_sel:WORD_0 src1_sel:DWORD
	v_mul_u32_u24_sdwa v2, v2, s10 dst_sel:DWORD dst_unused:UNUSED_PAD src0_sel:WORD_1 src1_sel:DWORD
	v_mul_u32_u24_sdwa v50, v3, s10 dst_sel:DWORD dst_unused:UNUSED_PAD src0_sel:WORD_0 src1_sel:DWORD
	v_mul_u32_u24_sdwa v3, v3, s10 dst_sel:DWORD dst_unused:UNUSED_PAD src0_sel:WORD_1 src1_sel:DWORD
	v_mul_u32_u24_sdwa v52, v4, s10 dst_sel:DWORD dst_unused:UNUSED_PAD src0_sel:WORD_0 src1_sel:DWORD
	v_mul_u32_u24_sdwa v4, v4, s10 dst_sel:DWORD dst_unused:UNUSED_PAD src0_sel:WORD_1 src1_sel:DWORD
	s_waitcnt lgkmcnt(1)
	v_pk_fma_f16 v9, v26, v47, v9
	v_pk_fma_f16 v1, v26, v1, v45
	;; [unrolled: 1-line block ×8, first 2 shown]
	s_waitcnt lgkmcnt(0)
	v_mul_u32_u24_sdwa v4, v5, s10 dst_sel:DWORD dst_unused:UNUSED_PAD src0_sel:WORD_0 src1_sel:DWORD
	v_mul_u32_u24_sdwa v5, v5, s10 dst_sel:DWORD dst_unused:UNUSED_PAD src0_sel:WORD_1 src1_sel:DWORD
	v_mul_u32_u24_sdwa v42, v6, s10 dst_sel:DWORD dst_unused:UNUSED_PAD src0_sel:WORD_0 src1_sel:DWORD
	v_mul_u32_u24_sdwa v6, v6, s10 dst_sel:DWORD dst_unused:UNUSED_PAD src0_sel:WORD_1 src1_sel:DWORD
	;; [unrolled: 2-line block ×4, first 2 shown]
	v_pk_fma_f16 v9, v27, v4, v9
	v_pk_fma_f16 v45, v27, v5, v1
	;; [unrolled: 1-line block ×6, first 2 shown]
	ds_read_b128 v[1:4], v18 offset:10080
	v_pk_fma_f16 v32, v27, v44, v32
	v_pk_fma_f16 v44, v27, v8, v26
	ds_read2_b32 v[26:27], v46 offset0:192 offset1:224
	ds_read_b128 v[5:8], v18 offset:10096
	s_waitcnt lgkmcnt(2)
	v_mul_u32_u24_sdwa v46, v1, s10 dst_sel:DWORD dst_unused:UNUSED_PAD src0_sel:WORD_0 src1_sel:DWORD
	v_mul_u32_u24_sdwa v1, v1, s10 dst_sel:DWORD dst_unused:UNUSED_PAD src0_sel:WORD_1 src1_sel:DWORD
	v_mul_u32_u24_sdwa v47, v2, s10 dst_sel:DWORD dst_unused:UNUSED_PAD src0_sel:WORD_0 src1_sel:DWORD
	v_mul_u32_u24_sdwa v2, v2, s10 dst_sel:DWORD dst_unused:UNUSED_PAD src0_sel:WORD_1 src1_sel:DWORD
	;; [unrolled: 2-line block ×4, first 2 shown]
	s_waitcnt lgkmcnt(1)
	v_pk_fma_f16 v9, v26, v46, v9
	v_pk_fma_f16 v1, v26, v1, v45
	;; [unrolled: 1-line block ×8, first 2 shown]
	s_waitcnt lgkmcnt(0)
	v_mul_u32_u24_sdwa v4, v5, s10 dst_sel:DWORD dst_unused:UNUSED_PAD src0_sel:WORD_0 src1_sel:DWORD
	v_mul_u32_u24_sdwa v5, v5, s10 dst_sel:DWORD dst_unused:UNUSED_PAD src0_sel:WORD_1 src1_sel:DWORD
	v_mul_u32_u24_sdwa v42, v6, s10 dst_sel:DWORD dst_unused:UNUSED_PAD src0_sel:WORD_0 src1_sel:DWORD
	v_mul_u32_u24_sdwa v6, v6, s10 dst_sel:DWORD dst_unused:UNUSED_PAD src0_sel:WORD_1 src1_sel:DWORD
	;; [unrolled: 2-line block ×4, first 2 shown]
	v_pk_fma_f16 v9, v27, v4, v9
	v_pk_fma_f16 v45, v27, v5, v1
	;; [unrolled: 1-line block ×6, first 2 shown]
	ds_read_b128 v[1:4], v18 offset:10112
	v_pk_fma_f16 v32, v27, v44, v32
	v_pk_fma_f16 v44, v27, v8, v26
	ds_read2_b32 v[26:27], v19 offset1:32
	ds_read_b128 v[5:8], v18 offset:10128
	s_waitcnt lgkmcnt(2)
	v_mul_u32_u24_sdwa v46, v1, s10 dst_sel:DWORD dst_unused:UNUSED_PAD src0_sel:WORD_0 src1_sel:DWORD
	v_mul_u32_u24_sdwa v1, v1, s10 dst_sel:DWORD dst_unused:UNUSED_PAD src0_sel:WORD_1 src1_sel:DWORD
	v_mul_u32_u24_sdwa v47, v2, s10 dst_sel:DWORD dst_unused:UNUSED_PAD src0_sel:WORD_0 src1_sel:DWORD
	v_mul_u32_u24_sdwa v2, v2, s10 dst_sel:DWORD dst_unused:UNUSED_PAD src0_sel:WORD_1 src1_sel:DWORD
	v_mul_u32_u24_sdwa v48, v3, s10 dst_sel:DWORD dst_unused:UNUSED_PAD src0_sel:WORD_0 src1_sel:DWORD
	v_mul_u32_u24_sdwa v3, v3, s10 dst_sel:DWORD dst_unused:UNUSED_PAD src0_sel:WORD_1 src1_sel:DWORD
	v_mul_u32_u24_sdwa v50, v4, s10 dst_sel:DWORD dst_unused:UNUSED_PAD src0_sel:WORD_0 src1_sel:DWORD
	v_mul_u32_u24_sdwa v4, v4, s10 dst_sel:DWORD dst_unused:UNUSED_PAD src0_sel:WORD_1 src1_sel:DWORD
	s_waitcnt lgkmcnt(1)
	v_pk_fma_f16 v9, v26, v46, v9
	v_pk_fma_f16 v1, v26, v1, v45
	v_pk_fma_f16 v28, v26, v47, v28
	v_pk_fma_f16 v2, v26, v2, v42
	v_pk_fma_f16 v30, v26, v48, v30
	v_pk_fma_f16 v3, v26, v3, v43
	v_pk_fma_f16 v32, v26, v50, v32
	v_pk_fma_f16 v26, v26, v4, v44
	s_waitcnt lgkmcnt(0)
	v_mul_u32_u24_sdwa v4, v5, s10 dst_sel:DWORD dst_unused:UNUSED_PAD src0_sel:WORD_0 src1_sel:DWORD
	v_mul_u32_u24_sdwa v5, v5, s10 dst_sel:DWORD dst_unused:UNUSED_PAD src0_sel:WORD_1 src1_sel:DWORD
	v_mul_u32_u24_sdwa v42, v6, s10 dst_sel:DWORD dst_unused:UNUSED_PAD src0_sel:WORD_0 src1_sel:DWORD
	v_mul_u32_u24_sdwa v6, v6, s10 dst_sel:DWORD dst_unused:UNUSED_PAD src0_sel:WORD_1 src1_sel:DWORD
	v_mul_u32_u24_sdwa v43, v7, s10 dst_sel:DWORD dst_unused:UNUSED_PAD src0_sel:WORD_0 src1_sel:DWORD
	v_mul_u32_u24_sdwa v7, v7, s10 dst_sel:DWORD dst_unused:UNUSED_PAD src0_sel:WORD_1 src1_sel:DWORD
	v_mul_u32_u24_sdwa v44, v8, s10 dst_sel:DWORD dst_unused:UNUSED_PAD src0_sel:WORD_0 src1_sel:DWORD
	v_mul_u32_u24_sdwa v8, v8, s10 dst_sel:DWORD dst_unused:UNUSED_PAD src0_sel:WORD_1 src1_sel:DWORD
	v_pk_fma_f16 v9, v27, v4, v9
	v_pk_fma_f16 v45, v27, v5, v1
	v_pk_fma_f16 v28, v27, v42, v28
	v_pk_fma_f16 v42, v27, v6, v2
	v_pk_fma_f16 v30, v27, v43, v30
	v_pk_fma_f16 v43, v27, v7, v3
	ds_read_b128 v[1:4], v18 offset:10144
	v_pk_fma_f16 v32, v27, v44, v32
	v_pk_fma_f16 v44, v27, v8, v26
	ds_read2_b32 v[26:27], v19 offset0:64 offset1:96
	ds_read_b128 v[5:8], v18 offset:10160
	s_waitcnt lgkmcnt(2)
	v_mul_u32_u24_sdwa v46, v1, s10 dst_sel:DWORD dst_unused:UNUSED_PAD src0_sel:WORD_0 src1_sel:DWORD
	v_mul_u32_u24_sdwa v1, v1, s10 dst_sel:DWORD dst_unused:UNUSED_PAD src0_sel:WORD_1 src1_sel:DWORD
	v_mul_u32_u24_sdwa v47, v2, s10 dst_sel:DWORD dst_unused:UNUSED_PAD src0_sel:WORD_0 src1_sel:DWORD
	v_mul_u32_u24_sdwa v2, v2, s10 dst_sel:DWORD dst_unused:UNUSED_PAD src0_sel:WORD_1 src1_sel:DWORD
	v_mul_u32_u24_sdwa v48, v3, s10 dst_sel:DWORD dst_unused:UNUSED_PAD src0_sel:WORD_0 src1_sel:DWORD
	v_mul_u32_u24_sdwa v3, v3, s10 dst_sel:DWORD dst_unused:UNUSED_PAD src0_sel:WORD_1 src1_sel:DWORD
	v_mul_u32_u24_sdwa v50, v4, s10 dst_sel:DWORD dst_unused:UNUSED_PAD src0_sel:WORD_0 src1_sel:DWORD
	v_mul_u32_u24_sdwa v4, v4, s10 dst_sel:DWORD dst_unused:UNUSED_PAD src0_sel:WORD_1 src1_sel:DWORD
	s_waitcnt lgkmcnt(1)
	v_pk_fma_f16 v9, v26, v46, v9
	v_pk_fma_f16 v1, v26, v1, v45
	v_pk_fma_f16 v28, v26, v47, v28
	v_pk_fma_f16 v2, v26, v2, v42
	v_pk_fma_f16 v30, v26, v48, v30
	v_pk_fma_f16 v3, v26, v3, v43
	v_pk_fma_f16 v32, v26, v50, v32
	v_pk_fma_f16 v26, v26, v4, v44
	s_waitcnt lgkmcnt(0)
	v_mul_u32_u24_sdwa v4, v5, s10 dst_sel:DWORD dst_unused:UNUSED_PAD src0_sel:WORD_0 src1_sel:DWORD
	v_mul_u32_u24_sdwa v5, v5, s10 dst_sel:DWORD dst_unused:UNUSED_PAD src0_sel:WORD_1 src1_sel:DWORD
	v_mul_u32_u24_sdwa v42, v6, s10 dst_sel:DWORD dst_unused:UNUSED_PAD src0_sel:WORD_0 src1_sel:DWORD
	v_mul_u32_u24_sdwa v6, v6, s10 dst_sel:DWORD dst_unused:UNUSED_PAD src0_sel:WORD_1 src1_sel:DWORD
	v_mul_u32_u24_sdwa v43, v7, s10 dst_sel:DWORD dst_unused:UNUSED_PAD src0_sel:WORD_0 src1_sel:DWORD
	v_mul_u32_u24_sdwa v7, v7, s10 dst_sel:DWORD dst_unused:UNUSED_PAD src0_sel:WORD_1 src1_sel:DWORD
	v_mul_u32_u24_sdwa v44, v8, s10 dst_sel:DWORD dst_unused:UNUSED_PAD src0_sel:WORD_0 src1_sel:DWORD
	v_mul_u32_u24_sdwa v8, v8, s10 dst_sel:DWORD dst_unused:UNUSED_PAD src0_sel:WORD_1 src1_sel:DWORD
	v_pk_fma_f16 v9, v27, v4, v9
	v_pk_fma_f16 v45, v27, v5, v1
	v_pk_fma_f16 v28, v27, v42, v28
	v_pk_fma_f16 v42, v27, v6, v2
	v_pk_fma_f16 v30, v27, v43, v30
	v_pk_fma_f16 v43, v27, v7, v3
	ds_read_b128 v[1:4], v18 offset:10176
	v_pk_fma_f16 v32, v27, v44, v32
	v_pk_fma_f16 v44, v27, v8, v26
	ds_read2_b32 v[26:27], v19 offset0:128 offset1:160
	;; [unrolled: 38-line block ×3, first 2 shown]
	ds_read_b128 v[5:8], v18 offset:10224
	s_waitcnt lgkmcnt(0)
	v_mul_u32_u24_sdwa v18, v1, s10 dst_sel:DWORD dst_unused:UNUSED_PAD src0_sel:WORD_0 src1_sel:DWORD
	v_mul_u32_u24_sdwa v1, v1, s10 dst_sel:DWORD dst_unused:UNUSED_PAD src0_sel:WORD_1 src1_sel:DWORD
	v_mul_u32_u24_sdwa v19, v2, s10 dst_sel:DWORD dst_unused:UNUSED_PAD src0_sel:WORD_0 src1_sel:DWORD
	v_mul_u32_u24_sdwa v2, v2, s10 dst_sel:DWORD dst_unused:UNUSED_PAD src0_sel:WORD_1 src1_sel:DWORD
	;; [unrolled: 2-line block ×4, first 2 shown]
	v_pk_fma_f16 v9, v26, v18, v9
	v_pk_fma_f16 v1, v26, v1, v45
	;; [unrolled: 1-line block ×8, first 2 shown]
	v_mul_u32_u24_sdwa v26, v5, s10 dst_sel:DWORD dst_unused:UNUSED_PAD src0_sel:WORD_0 src1_sel:DWORD
	v_mul_u32_u24_sdwa v5, v5, s10 dst_sel:DWORD dst_unused:UNUSED_PAD src0_sel:WORD_1 src1_sel:DWORD
	v_mul_u32_u24_sdwa v30, v6, s10 dst_sel:DWORD dst_unused:UNUSED_PAD src0_sel:WORD_0 src1_sel:DWORD
	v_mul_u32_u24_sdwa v6, v6, s10 dst_sel:DWORD dst_unused:UNUSED_PAD src0_sel:WORD_1 src1_sel:DWORD
	;; [unrolled: 2-line block ×4, first 2 shown]
	v_pk_fma_f16 v50, v27, v26, v9
	v_pk_fma_f16 v48, v27, v5, v1
	;; [unrolled: 1-line block ×8, first 2 shown]
	v_mov_b32_e32 v9, v17
	v_mov_b32_e32 v8, v16
	;; [unrolled: 1-line block ×8, first 2 shown]
	s_barrier
.LBB52_127:
	v_cmp_lt_i32_e32 vcc, v68, v66
	v_cndmask_b32_e32 v1, v65, v68, vcc
	v_cmp_lt_i32_e32 vcc, v69, v66
	v_lshlrev_b32_e32 v1, 2, v1
	v_cndmask_b32_e32 v18, v65, v69, vcc
	v_lshlrev_b32_e32 v21, 2, v18
	ds_bpermute_b32 v18, v1, v55
	v_cmp_lt_i32_e32 vcc, v70, v66
	v_cndmask_b32_e32 v19, v65, v70, vcc
	v_cmp_lt_i32_e32 vcc, v72, v66
	v_lshlrev_b32_e32 v22, 2, v19
	v_cndmask_b32_e32 v19, v65, v72, vcc
	s_waitcnt lgkmcnt(0)
	v_add_f32_e32 v18, v55, v18
	v_lshlrev_b32_e32 v23, 2, v19
	ds_bpermute_b32 v19, v1, v56
	ds_bpermute_b32 v20, v21, v18
	;; [unrolled: 1-line block ×3, first 2 shown]
	v_cmp_lt_i32_e32 vcc, v71, v66
	v_cndmask_b32_e32 v24, v65, v71, vcc
	s_waitcnt lgkmcnt(2)
	v_add_f32_e32 v19, v56, v19
	s_waitcnt lgkmcnt(1)
	v_add_f32_e32 v18, v18, v20
	ds_bpermute_b32 v25, v21, v19
	ds_bpermute_b32 v20, v22, v18
	s_waitcnt lgkmcnt(2)
	v_add_f32_e32 v26, v57, v26
	ds_bpermute_b32 v27, v21, v26
	v_lshlrev_b32_e32 v24, 2, v24
	s_waitcnt lgkmcnt(2)
	v_add_f32_e32 v19, v19, v25
	s_waitcnt lgkmcnt(1)
	v_add_f32_e32 v18, v18, v20
	ds_bpermute_b32 v25, v22, v19
	ds_bpermute_b32 v20, v23, v18
	s_waitcnt lgkmcnt(2)
	v_add_f32_e32 v26, v26, v27
	ds_bpermute_b32 v27, v22, v26
	ds_bpermute_b32 v28, v1, v58
	s_waitcnt lgkmcnt(3)
	v_add_f32_e32 v19, v19, v25
	s_waitcnt lgkmcnt(2)
	v_add_f32_e32 v18, v18, v20
	ds_bpermute_b32 v25, v23, v19
	ds_bpermute_b32 v20, v24, v18
	s_cmp_eq_u64 s[20:21], 0
	s_cselect_b64 s[6:7], -1, 0
	s_cmp_lg_u32 s9, 0
	s_waitcnt lgkmcnt(1)
	v_add_f32_e32 v19, v19, v25
	v_add_f32_e32 v25, v26, v27
	;; [unrolled: 1-line block ×3, first 2 shown]
	s_waitcnt lgkmcnt(0)
	v_add_f32_e32 v18, v18, v20
	ds_bpermute_b32 v20, v1, v60
	ds_bpermute_b32 v27, v21, v26
	ds_bpermute_b32 v28, v23, v25
	ds_bpermute_b32 v32, v24, v19
	s_cselect_b64 s[10:11], -1, 0
	s_waitcnt lgkmcnt(3)
	v_add_f32_e32 v20, v60, v20
	s_waitcnt lgkmcnt(2)
	v_add_f32_e32 v26, v26, v27
	ds_bpermute_b32 v30, v21, v20
	ds_bpermute_b32 v27, v22, v26
	s_waitcnt lgkmcnt(3)
	v_add_f32_e32 v25, v25, v28
	s_waitcnt lgkmcnt(2)
	v_add_f32_e32 v19, v19, v32
	s_or_b64 s[6:7], s[10:11], s[6:7]
	s_waitcnt lgkmcnt(1)
	v_add_f32_e32 v20, v20, v30
	s_waitcnt lgkmcnt(0)
	v_add_f32_e32 v26, v26, v27
	ds_bpermute_b32 v28, v22, v20
	ds_bpermute_b32 v30, v24, v25
	;; [unrolled: 1-line block ×3, first 2 shown]
	s_and_b64 vcc, exec, s[6:7]
	s_waitcnt lgkmcnt(2)
	v_add_f32_e32 v28, v20, v28
	s_waitcnt lgkmcnt(1)
	v_add_f32_e32 v20, v25, v30
	;; [unrolled: 2-line block ×3, first 2 shown]
	ds_bpermute_b32 v27, v1, v59
	ds_bpermute_b32 v30, v1, v62
	;; [unrolled: 1-line block ×5, first 2 shown]
	s_waitcnt lgkmcnt(4)
	v_add_f32_e32 v27, v59, v27
	s_waitcnt lgkmcnt(3)
	v_add_f32_e32 v30, v62, v30
	;; [unrolled: 2-line block ×3, first 2 shown]
	ds_bpermute_b32 v49, v21, v27
	ds_bpermute_b32 v51, v21, v30
	;; [unrolled: 1-line block ×3, first 2 shown]
	s_waitcnt lgkmcnt(4)
	v_add_f32_e32 v28, v28, v32
	ds_bpermute_b32 v32, v24, v28
	s_waitcnt lgkmcnt(3)
	v_add_f32_e32 v27, v27, v49
	s_waitcnt lgkmcnt(2)
	v_add_f32_e32 v30, v30, v51
	s_waitcnt lgkmcnt(1)
	v_add_f32_e32 v1, v1, v21
	ds_bpermute_b32 v49, v22, v27
	ds_bpermute_b32 v51, v22, v30
	ds_bpermute_b32 v21, v22, v1
	s_waitcnt lgkmcnt(2)
	v_add_f32_e32 v22, v27, v49
	s_waitcnt lgkmcnt(1)
	v_add_f32_e32 v30, v30, v51
	s_waitcnt lgkmcnt(0)
	v_add_f32_e32 v1, v1, v21
	ds_bpermute_b32 v27, v23, v22
	ds_bpermute_b32 v49, v23, v30
	;; [unrolled: 9-line block ×3, first 2 shown]
	ds_bpermute_b32 v51, v24, v1
	v_add_f32_e32 v21, v25, v26
	v_add_f32_e32 v22, v28, v32
	s_waitcnt lgkmcnt(2)
	v_add_f32_e32 v23, v23, v27
	s_waitcnt lgkmcnt(1)
	;; [unrolled: 2-line block ×3, first 2 shown]
	v_add_f32_e32 v25, v1, v51
	s_cbranch_vccnz .LBB52_130
; %bb.128:
	s_lshl_b64 s[6:7], s[34:35], 2
	s_add_u32 s6, s20, s6
	s_addc_u32 s7, s21, s7
	v_mov_b32_e32 v1, 0
	global_load_dword v51, v1, s[6:7]
	v_max_f32_e32 v1, v2, v2
	v_max_f32_e32 v11, v3, v3
	s_mov_b32 s8, 0x3fb8aa3b
	v_max_f32_e32 v12, v4, v4
	s_mov_b32 s7, 0xc2ce8ed0
	s_mov_b32 s6, 0x42b17218
	v_mov_b32_e32 v49, 0x7f800000
	s_waitcnt vmcnt(0)
	v_max_f32_e32 v17, v51, v51
	v_max_f32_e32 v10, v1, v17
	v_sub_f32_e32 v1, v2, v10
	v_max_f32_e32 v11, v11, v17
	v_sub_f32_e32 v2, v51, v10
	v_mul_f32_e32 v15, 0x3fb8aa3b, v1
	v_sub_f32_e32 v3, v3, v11
	v_mul_f32_e32 v16, 0x3fb8aa3b, v2
	v_fma_f32 v32, v1, s8, -v15
	v_rndne_f32_e32 v52, v15
	v_max_f32_e32 v12, v12, v17
	v_sub_f32_e32 v13, v51, v11
	v_mul_f32_e32 v26, 0x3fb8aa3b, v3
	v_fma_f32 v53, v2, s8, -v16
	v_rndne_f32_e32 v55, v16
	v_fmac_f32_e32 v32, 0x32a5705f, v1
	v_sub_f32_e32 v15, v15, v52
	v_sub_f32_e32 v4, v4, v12
	v_mul_f32_e32 v27, 0x3fb8aa3b, v13
	v_fma_f32 v56, v3, s8, -v26
	v_rndne_f32_e32 v57, v26
	v_fmac_f32_e32 v53, 0x32a5705f, v2
	v_sub_f32_e32 v16, v16, v55
	v_add_f32_e32 v15, v15, v32
	v_mul_f32_e32 v28, 0x3fb8aa3b, v4
	v_fma_f32 v58, v13, s8, -v27
	v_rndne_f32_e32 v59, v27
	v_cvt_i32_f32_e32 v52, v52
	v_fmac_f32_e32 v56, 0x32a5705f, v3
	v_sub_f32_e32 v26, v26, v57
	v_add_f32_e32 v16, v16, v53
	v_exp_f32_e32 v15, v15
	v_fma_f32 v60, v4, s8, -v28
	v_rndne_f32_e32 v61, v28
	v_cvt_i32_f32_e32 v55, v55
	v_fmac_f32_e32 v58, 0x32a5705f, v13
	v_sub_f32_e32 v27, v27, v59
	v_add_f32_e32 v26, v26, v56
	v_exp_f32_e32 v16, v16
	v_cvt_i32_f32_e32 v57, v57
	v_fmac_f32_e32 v60, 0x32a5705f, v4
	v_sub_f32_e32 v28, v28, v61
	v_add_f32_e32 v27, v27, v58
	v_exp_f32_e32 v26, v26
	v_cvt_i32_f32_e32 v59, v59
	v_add_f32_e32 v28, v28, v60
	v_exp_f32_e32 v27, v27
	v_cvt_i32_f32_e32 v61, v61
	v_exp_f32_e32 v28, v28
	v_ldexp_f32 v15, v15, v52
	v_cmp_ngt_f32_e32 vcc, s7, v1
	v_ldexp_f32 v16, v16, v55
	v_cndmask_b32_e32 v15, 0, v15, vcc
	v_cmp_ngt_f32_e32 vcc, s7, v2
	v_ldexp_f32 v26, v26, v57
	v_cndmask_b32_e32 v16, 0, v16, vcc
	;; [unrolled: 3-line block ×4, first 2 shown]
	v_cmp_ngt_f32_e32 vcc, s7, v4
	v_cndmask_b32_e32 v28, 0, v28, vcc
	v_cmp_nlt_f32_e32 vcc, s6, v1
	v_cndmask_b32_e32 v15, v49, v15, vcc
	v_cmp_nlt_f32_e32 vcc, s6, v2
	;; [unrolled: 2-line block ×4, first 2 shown]
	v_cvt_f16_f32_e32 v13, v15
	v_cvt_f16_f32_e32 v16, v3
	v_sub_f32_e32 v14, v51, v12
	v_mul_f32_e32 v30, 0x3fb8aa3b, v14
	v_fma_f32 v62, v14, s8, -v30
	v_rndne_f32_e32 v63, v30
	v_cndmask_b32_e32 v2, v49, v27, vcc
	v_fmac_f32_e32 v62, 0x32a5705f, v14
	v_sub_f32_e32 v30, v30, v63
	v_fmac_f32_e32 v2, v19, v3
	v_mul_u32_u24_e32 v3, 0x10001, v13
	v_mul_u32_u24_e32 v13, 0x10001, v16
	v_add_f32_e32 v30, v30, v62
	v_pk_mul_f16 v48, v48, v13
	v_max_f32_e32 v13, v5, v5
	v_cvt_i32_f32_e32 v63, v63
	v_exp_f32_e32 v30, v30
	v_max_f32_e32 v13, v13, v17
	v_sub_f32_e32 v5, v5, v13
	v_fmac_f32_e32 v1, v18, v15
	v_mul_f32_e32 v15, 0x3fb8aa3b, v5
	v_cmp_nlt_f32_e32 vcc, s6, v4
	v_fma_f32 v16, v5, s8, -v15
	v_rndne_f32_e32 v18, v15
	v_cndmask_b32_e32 v4, v49, v28, vcc
	v_pk_mul_f16 v50, v50, v3
	v_ldexp_f32 v3, v30, v63
	v_cmp_ngt_f32_e32 vcc, s7, v14
	v_fmac_f32_e32 v16, 0x32a5705f, v5
	v_sub_f32_e32 v15, v15, v18
	v_cndmask_b32_e32 v3, 0, v3, vcc
	v_cmp_nlt_f32_e32 vcc, s6, v14
	v_cvt_f16_f32_e32 v14, v4
	v_add_f32_e32 v15, v15, v16
	v_exp_f32_e32 v15, v15
	v_cvt_i32_f32_e32 v16, v18
	v_cndmask_b32_e32 v3, v49, v3, vcc
	v_fmac_f32_e32 v3, v20, v4
	v_mul_u32_u24_e32 v4, 0x10001, v14
	v_sub_f32_e32 v14, v51, v13
	v_pk_mul_f16 v47, v47, v4
	v_ldexp_f32 v4, v15, v16
	v_mul_f32_e32 v15, 0x3fb8aa3b, v14
	v_fma_f32 v16, v14, s8, -v15
	v_rndne_f32_e32 v18, v15
	v_fmac_f32_e32 v16, 0x32a5705f, v14
	v_sub_f32_e32 v15, v15, v18
	v_add_f32_e32 v15, v15, v16
	v_exp_f32_e32 v15, v15
	v_cvt_i32_f32_e32 v16, v18
	v_cmp_ngt_f32_e32 vcc, s7, v5
	v_cndmask_b32_e32 v4, 0, v4, vcc
	v_cmp_nlt_f32_e32 vcc, s6, v5
	v_cndmask_b32_e32 v5, v49, v4, vcc
	v_ldexp_f32 v4, v15, v16
	v_cmp_ngt_f32_e32 vcc, s7, v14
	v_cndmask_b32_e32 v4, 0, v4, vcc
	v_cmp_nlt_f32_e32 vcc, s6, v14
	v_max_f32_e32 v14, v6, v6
	v_max_f32_e32 v14, v14, v17
	v_sub_f32_e32 v6, v6, v14
	v_mul_f32_e32 v16, 0x3fb8aa3b, v6
	v_fma_f32 v18, v6, s8, -v16
	v_rndne_f32_e32 v19, v16
	v_fmac_f32_e32 v18, 0x32a5705f, v6
	v_sub_f32_e32 v16, v16, v19
	v_cvt_f16_f32_e32 v15, v5
	v_add_f32_e32 v16, v16, v18
	v_exp_f32_e32 v16, v16
	v_cvt_i32_f32_e32 v18, v19
	v_cndmask_b32_e32 v4, v49, v4, vcc
	v_fmac_f32_e32 v4, v21, v5
	v_mul_u32_u24_e32 v5, 0x10001, v15
	v_sub_f32_e32 v15, v51, v14
	v_pk_mul_f16 v46, v46, v5
	v_ldexp_f32 v5, v16, v18
	v_mul_f32_e32 v16, 0x3fb8aa3b, v15
	v_fma_f32 v18, v15, s8, -v16
	v_rndne_f32_e32 v19, v16
	v_fmac_f32_e32 v18, 0x32a5705f, v15
	v_sub_f32_e32 v16, v16, v19
	v_add_f32_e32 v16, v16, v18
	v_exp_f32_e32 v16, v16
	v_cvt_i32_f32_e32 v18, v19
	v_cmp_ngt_f32_e32 vcc, s7, v6
	v_cndmask_b32_e32 v5, 0, v5, vcc
	v_cmp_nlt_f32_e32 vcc, s6, v6
	v_cndmask_b32_e32 v6, v49, v5, vcc
	v_ldexp_f32 v5, v16, v18
	v_cmp_ngt_f32_e32 vcc, s7, v15
	v_cndmask_b32_e32 v5, 0, v5, vcc
	v_cmp_nlt_f32_e32 vcc, s6, v15
	v_max_f32_e32 v15, v7, v7
	v_max_f32_e32 v15, v15, v17
	v_sub_f32_e32 v7, v7, v15
	v_mul_f32_e32 v18, 0x3fb8aa3b, v7
	v_fma_f32 v19, v7, s8, -v18
	v_rndne_f32_e32 v20, v18
	v_fmac_f32_e32 v19, 0x32a5705f, v7
	v_sub_f32_e32 v18, v18, v20
	;; [unrolled: 34-line block ×3, first 2 shown]
	v_cvt_f16_f32_e32 v18, v7
	v_add_f32_e32 v19, v19, v20
	v_exp_f32_e32 v19, v19
	v_cvt_i32_f32_e32 v20, v21
	v_cndmask_b32_e32 v6, v49, v6, vcc
	v_fmac_f32_e32 v6, v23, v7
	v_mul_u32_u24_e32 v7, 0x10001, v18
	v_sub_f32_e32 v18, v51, v16
	v_pk_mul_f16 v44, v44, v7
	v_ldexp_f32 v7, v19, v20
	v_mul_f32_e32 v19, 0x3fb8aa3b, v18
	v_fma_f32 v20, v18, s8, -v19
	v_rndne_f32_e32 v21, v19
	v_fmac_f32_e32 v20, 0x32a5705f, v18
	v_sub_f32_e32 v19, v19, v21
	v_add_f32_e32 v19, v19, v20
	v_exp_f32_e32 v19, v19
	v_cvt_i32_f32_e32 v20, v21
	v_cmp_ngt_f32_e32 vcc, s7, v8
	v_cndmask_b32_e32 v7, 0, v7, vcc
	v_cmp_nlt_f32_e32 vcc, s6, v8
	v_cndmask_b32_e32 v8, v49, v7, vcc
	v_ldexp_f32 v7, v19, v20
	v_max_f32_e32 v19, v9, v9
	v_max_f32_e32 v17, v19, v17
	v_sub_f32_e32 v9, v9, v17
	v_mul_f32_e32 v19, 0x3fb8aa3b, v9
	v_fma_f32 v20, v9, s8, -v19
	v_rndne_f32_e32 v21, v19
	v_cmp_ngt_f32_e32 vcc, s7, v18
	v_fmac_f32_e32 v20, 0x32a5705f, v9
	v_sub_f32_e32 v19, v19, v21
	v_cndmask_b32_e32 v7, 0, v7, vcc
	v_cmp_nlt_f32_e32 vcc, s6, v18
	v_cvt_f16_f32_e32 v18, v8
	v_add_f32_e32 v19, v19, v20
	v_exp_f32_e32 v19, v19
	v_cvt_i32_f32_e32 v20, v21
	v_cndmask_b32_e32 v7, v49, v7, vcc
	v_fmac_f32_e32 v7, v24, v8
	v_mul_u32_u24_e32 v8, 0x10001, v18
	v_sub_f32_e32 v18, v51, v17
	v_pk_mul_f16 v43, v43, v8
	v_ldexp_f32 v8, v19, v20
	v_mul_f32_e32 v19, 0x3fb8aa3b, v18
	v_fma_f32 v20, v18, s8, -v19
	v_rndne_f32_e32 v21, v19
	v_fmac_f32_e32 v20, 0x32a5705f, v18
	v_sub_f32_e32 v19, v19, v21
	v_add_f32_e32 v19, v19, v20
	v_exp_f32_e32 v19, v19
	v_cvt_i32_f32_e32 v20, v21
	v_cmp_ngt_f32_e32 vcc, s7, v9
	v_cndmask_b32_e32 v8, 0, v8, vcc
	v_cmp_nlt_f32_e32 vcc, s6, v9
	v_cndmask_b32_e32 v9, v49, v8, vcc
	v_ldexp_f32 v8, v19, v20
	v_cmp_ngt_f32_e32 vcc, s7, v18
	v_cvt_f16_f32_e32 v19, v9
	v_cndmask_b32_e32 v8, 0, v8, vcc
	v_cmp_nlt_f32_e32 vcc, s6, v18
	v_cndmask_b32_e32 v8, v49, v8, vcc
	v_fmac_f32_e32 v8, v25, v9
	v_mul_u32_u24_e32 v9, 0x10001, v19
	v_mov_b32_e32 v25, v8
	v_pk_mul_f16 v42, v42, v9
	v_mov_b32_e32 v24, v7
	v_mov_b32_e32 v23, v6
	;; [unrolled: 1-line block ×7, first 2 shown]
	v_cmp_gt_i32_e32 vcc, s30, v41
	s_and_saveexec_b64 s[6:7], vcc
	s_cbranch_execnz .LBB52_131
.LBB52_129:
	s_endpgm
.LBB52_130:
	v_mov_b32_e32 v1, v18
	v_mov_b32_e32 v2, v19
	;; [unrolled: 1-line block ×8, first 2 shown]
	v_cmp_gt_i32_e32 vcc, s30, v41
	s_and_saveexec_b64 s[6:7], vcc
	s_cbranch_execz .LBB52_129
.LBB52_131:
	s_load_dword s8, s[4:5], 0xd4
	v_mov_b32_e32 v9, 1.0
	s_waitcnt lgkmcnt(0)
	s_cmp_lg_u32 s8, 1
	s_cselect_b64 s[6:7], -1, 0
	s_cmp_eq_u32 s8, 1
	s_cselect_b64 s[10:11], -1, 0
	s_and_b64 vcc, exec, s[6:7]
	s_cbranch_vccnz .LBB52_133
; %bb.132:
	v_div_scale_f32 v9, s[4:5], v1, v1, 1.0
	v_div_scale_f32 v26, vcc, 1.0, v1, 1.0
	v_rcp_f32_e32 v27, v9
	v_fma_f32 v28, -v9, v27, 1.0
	v_fmac_f32_e32 v27, v28, v27
	v_mul_f32_e32 v28, v26, v27
	v_fma_f32 v30, -v9, v28, v26
	v_fmac_f32_e32 v28, v30, v27
	v_fma_f32 v9, -v9, v28, v26
	v_div_fmas_f32 v9, v9, v27, v28
	v_div_fixup_f32 v9, v9, v1, 1.0
.LBB52_133:
	s_mul_i32 s12, s33, s30
	s_add_i32 s12, s12, s37
	v_add_u32_e32 v1, s12, v40
	v_mul_lo_u32 v1, v1, s31
	v_cmp_eq_u32_e32 vcc, 0, v0
	v_cvt_f32_f16_e32 v0, v50
	v_cvt_f32_f16_sdwa v26, v50 dst_sel:DWORD dst_unused:UNUSED_PAD src0_sel:WORD_1
	v_add_u32_e32 v1, s34, v1
	v_mul_lo_u32 v1, s8, v1
	v_mul_f32_e32 v40, v9, v0
	v_mov_b32_e32 v27, 0
	v_mul_f32_e32 v41, v9, v26
	v_add_u32_e32 v0, s9, v1
	v_lshl_add_u32 v26, v0, 6, v54
	v_lshlrev_b64 v[26:27], 2, v[26:27]
	v_mov_b32_e32 v1, s25
	v_add_co_u32_e64 v26, s[4:5], s24, v26
	v_addc_co_u32_e64 v27, s[4:5], v1, v27, s[4:5]
	s_and_b64 s[6:7], vcc, s[6:7]
	global_store_dwordx2 v[26:27], v[40:41], off
	s_and_saveexec_b64 s[4:5], s[6:7]
	s_cbranch_execz .LBB52_135
; %bb.134:
	v_ashrrev_i32_e32 v1, 31, v0
	v_lshlrev_b64 v[0:1], 3, v[0:1]
	v_mov_b32_e32 v9, s27
	v_add_co_u32_e32 v0, vcc, s26, v0
	v_addc_co_u32_e32 v1, vcc, v9, v1, vcc
	v_mov_b32_e32 v9, v10
	v_mov_b32_e32 v10, v18
	global_store_dwordx2 v[0:1], v[9:10], off
.LBB52_135:
	s_or_b64 exec, exec, s[4:5]
	v_cmp_gt_i32_e32 vcc, s30, v39
	s_and_b64 exec, exec, vcc
	s_cbranch_execz .LBB52_129
; %bb.136:
	v_cndmask_b32_e64 v0, 0, 1, s[10:11]
	v_cmp_ne_u32_e64 s[4:5], 1, v0
	s_andn2_b64 vcc, exec, s[10:11]
	v_mov_b32_e32 v0, 1.0
	s_cbranch_vccnz .LBB52_138
; %bb.137:
	v_div_scale_f32 v0, s[10:11], v2, v2, 1.0
	v_div_scale_f32 v1, vcc, 1.0, v2, 1.0
	v_rcp_f32_e32 v9, v0
	v_fma_f32 v10, -v0, v9, 1.0
	v_fmac_f32_e32 v9, v10, v9
	v_mul_f32_e32 v10, v1, v9
	v_fma_f32 v18, -v0, v10, v1
	v_fmac_f32_e32 v10, v18, v9
	v_fma_f32 v0, -v0, v10, v1
	v_div_fmas_f32 v0, v0, v9, v10
	v_div_fixup_f32 v0, v0, v2, 1.0
.LBB52_138:
	v_add_u32_e32 v1, s12, v38
	v_mul_lo_u32 v1, v1, s31
	v_cvt_f32_f16_e32 v9, v48
	v_cvt_f32_f16_sdwa v10, v48 dst_sel:DWORD dst_unused:UNUSED_PAD src0_sel:WORD_1
	v_mov_b32_e32 v2, 0
	v_add_u32_e32 v1, s34, v1
	v_mul_lo_u32 v1, s8, v1
	v_mul_f32_e32 v9, v0, v9
	v_mul_f32_e32 v10, v0, v10
	v_mov_b32_e32 v18, s25
	v_add_u32_e32 v0, s9, v1
	v_lshl_add_u32 v1, v0, 6, v54
	v_lshlrev_b64 v[1:2], 2, v[1:2]
	v_add_co_u32_e32 v1, vcc, s24, v1
	v_addc_co_u32_e32 v2, vcc, v18, v2, vcc
	global_store_dwordx2 v[1:2], v[9:10], off
	s_and_saveexec_b64 s[10:11], s[6:7]
	s_cbranch_execz .LBB52_140
; %bb.139:
	v_ashrrev_i32_e32 v1, 31, v0
	v_lshlrev_b64 v[0:1], 3, v[0:1]
	v_mov_b32_e32 v2, s27
	v_add_co_u32_e32 v0, vcc, s26, v0
	v_addc_co_u32_e32 v1, vcc, v2, v1, vcc
	v_mov_b32_e32 v18, v11
	global_store_dwordx2 v[0:1], v[18:19], off
.LBB52_140:
	s_or_b64 exec, exec, s[10:11]
	v_cmp_gt_i32_e32 vcc, s30, v37
	s_and_b64 exec, exec, vcc
	s_cbranch_execz .LBB52_129
; %bb.141:
	s_and_b64 vcc, exec, s[4:5]
	v_mov_b32_e32 v0, 1.0
	s_cbranch_vccnz .LBB52_143
; %bb.142:
	v_div_scale_f32 v0, s[10:11], v3, v3, 1.0
	v_div_scale_f32 v1, vcc, 1.0, v3, 1.0
	v_rcp_f32_e32 v2, v0
	v_fma_f32 v9, -v0, v2, 1.0
	v_fmac_f32_e32 v2, v9, v2
	v_mul_f32_e32 v9, v1, v2
	v_fma_f32 v10, -v0, v9, v1
	v_fmac_f32_e32 v9, v10, v2
	v_fma_f32 v0, -v0, v9, v1
	v_div_fmas_f32 v0, v0, v2, v9
	v_div_fixup_f32 v0, v0, v3, 1.0
.LBB52_143:
	v_add_u32_e32 v1, s12, v36
	v_mul_lo_u32 v1, v1, s31
	v_cvt_f32_f16_e32 v3, v47
	v_cvt_f32_f16_sdwa v10, v47 dst_sel:DWORD dst_unused:UNUSED_PAD src0_sel:WORD_1
	v_mov_b32_e32 v2, 0
	v_add_u32_e32 v1, s34, v1
	v_mul_lo_u32 v1, s8, v1
	v_mul_f32_e32 v9, v0, v3
	v_mul_f32_e32 v10, v0, v10
	v_mov_b32_e32 v11, s25
	v_add_u32_e32 v0, s9, v1
	v_lshl_add_u32 v1, v0, 6, v54
	v_lshlrev_b64 v[1:2], 2, v[1:2]
	v_add_co_u32_e32 v1, vcc, s24, v1
	v_addc_co_u32_e32 v2, vcc, v11, v2, vcc
	global_store_dwordx2 v[1:2], v[9:10], off
	s_and_saveexec_b64 s[10:11], s[6:7]
	s_cbranch_execz .LBB52_145
; %bb.144:
	v_ashrrev_i32_e32 v1, 31, v0
	v_lshlrev_b64 v[0:1], 3, v[0:1]
	v_mov_b32_e32 v2, s27
	v_add_co_u32_e32 v0, vcc, s26, v0
	v_addc_co_u32_e32 v1, vcc, v2, v1, vcc
	v_mov_b32_e32 v19, v12
	global_store_dwordx2 v[0:1], v[19:20], off
.LBB52_145:
	s_or_b64 exec, exec, s[10:11]
	v_cmp_gt_i32_e32 vcc, s30, v35
	s_and_b64 exec, exec, vcc
	s_cbranch_execz .LBB52_129
; %bb.146:
	s_and_b64 vcc, exec, s[4:5]
	;; [unrolled: 48-line block ×6, first 2 shown]
	v_mov_b32_e32 v0, 1.0
	s_cbranch_vccnz .LBB52_168
; %bb.167:
	v_div_scale_f32 v0, s[4:5], v8, v8, 1.0
	v_div_scale_f32 v1, vcc, 1.0, v8, 1.0
	v_rcp_f32_e32 v2, v0
	v_fma_f32 v3, -v0, v2, 1.0
	v_fmac_f32_e32 v2, v3, v2
	v_mul_f32_e32 v3, v1, v2
	v_fma_f32 v4, -v0, v3, v1
	v_fmac_f32_e32 v3, v4, v2
	v_fma_f32 v0, -v0, v3, v1
	v_div_fmas_f32 v0, v0, v2, v3
	v_div_fixup_f32 v0, v0, v8, 1.0
.LBB52_168:
	v_add_u32_e32 v1, s12, v112
	v_mul_lo_u32 v1, v1, s31
	v_cvt_f32_f16_e32 v3, v42
	v_cvt_f32_f16_sdwa v4, v42 dst_sel:DWORD dst_unused:UNUSED_PAD src0_sel:WORD_1
	v_mov_b32_e32 v2, 0
	v_add_u32_e32 v1, s34, v1
	v_mul_lo_u32 v1, s8, v1
	v_mul_f32_e32 v3, v0, v3
	v_mul_f32_e32 v4, v0, v4
	v_mov_b32_e32 v5, s25
	v_add_u32_e32 v0, s9, v1
	v_lshl_add_u32 v1, v0, 6, v54
	v_lshlrev_b64 v[1:2], 2, v[1:2]
	v_add_co_u32_e32 v1, vcc, s24, v1
	v_addc_co_u32_e32 v2, vcc, v5, v2, vcc
	global_store_dwordx2 v[1:2], v[3:4], off
	s_and_b64 exec, exec, s[6:7]
	s_cbranch_execz .LBB52_129
; %bb.169:
	v_ashrrev_i32_e32 v1, 31, v0
	v_lshlrev_b64 v[0:1], 3, v[0:1]
	v_mov_b32_e32 v2, s27
	v_add_co_u32_e32 v0, vcc, s26, v0
	v_addc_co_u32_e32 v1, vcc, v2, v1, vcc
	v_mov_b32_e32 v24, v17
	global_store_dwordx2 v[0:1], v[24:25], off
	s_endpgm
	.section	.rodata,"a",@progbits
	.p2align	6, 0x0
	.amdhsa_kernel _ZL15flash_attn_tileILi64ELi64ELi64ELi1ELb0EEvPKcS1_S1_S1_S1_PKiPfP15HIP_vector_typeIfLj2EEffffjfiS5_IjLj3EEiiiiiiiiiiiliiliiiiil
		.amdhsa_group_segment_fixed_size 25600
		.amdhsa_private_segment_fixed_size 32
		.amdhsa_kernarg_size 464
		.amdhsa_user_sgpr_count 8
		.amdhsa_user_sgpr_private_segment_buffer 1
		.amdhsa_user_sgpr_dispatch_ptr 0
		.amdhsa_user_sgpr_queue_ptr 0
		.amdhsa_user_sgpr_kernarg_segment_ptr 1
		.amdhsa_user_sgpr_dispatch_id 0
		.amdhsa_user_sgpr_flat_scratch_init 1
		.amdhsa_user_sgpr_private_segment_size 0
		.amdhsa_uses_dynamic_stack 0
		.amdhsa_system_sgpr_private_segment_wavefront_offset 1
		.amdhsa_system_sgpr_workgroup_id_x 1
		.amdhsa_system_sgpr_workgroup_id_y 1
		.amdhsa_system_sgpr_workgroup_id_z 1
		.amdhsa_system_sgpr_workgroup_info 0
		.amdhsa_system_vgpr_workitem_id 1
		.amdhsa_next_free_vgpr 128
		.amdhsa_next_free_sgpr 96
		.amdhsa_reserve_vcc 1
		.amdhsa_reserve_flat_scratch 1
		.amdhsa_float_round_mode_32 0
		.amdhsa_float_round_mode_16_64 0
		.amdhsa_float_denorm_mode_32 3
		.amdhsa_float_denorm_mode_16_64 3
		.amdhsa_dx10_clamp 1
		.amdhsa_ieee_mode 1
		.amdhsa_fp16_overflow 0
		.amdhsa_exception_fp_ieee_invalid_op 0
		.amdhsa_exception_fp_denorm_src 0
		.amdhsa_exception_fp_ieee_div_zero 0
		.amdhsa_exception_fp_ieee_overflow 0
		.amdhsa_exception_fp_ieee_underflow 0
		.amdhsa_exception_fp_ieee_inexact 0
		.amdhsa_exception_int_div_zero 0
	.end_amdhsa_kernel
	.section	.text._ZL15flash_attn_tileILi64ELi64ELi64ELi1ELb0EEvPKcS1_S1_S1_S1_PKiPfP15HIP_vector_typeIfLj2EEffffjfiS5_IjLj3EEiiiiiiiiiiiliiliiiiil,"axG",@progbits,_ZL15flash_attn_tileILi64ELi64ELi64ELi1ELb0EEvPKcS1_S1_S1_S1_PKiPfP15HIP_vector_typeIfLj2EEffffjfiS5_IjLj3EEiiiiiiiiiiiliiliiiiil,comdat
.Lfunc_end52:
	.size	_ZL15flash_attn_tileILi64ELi64ELi64ELi1ELb0EEvPKcS1_S1_S1_S1_PKiPfP15HIP_vector_typeIfLj2EEffffjfiS5_IjLj3EEiiiiiiiiiiiliiliiiiil, .Lfunc_end52-_ZL15flash_attn_tileILi64ELi64ELi64ELi1ELb0EEvPKcS1_S1_S1_S1_PKiPfP15HIP_vector_typeIfLj2EEffffjfiS5_IjLj3EEiiiiiiiiiiiliiliiiiil
                                        ; -- End function
	.set _ZL15flash_attn_tileILi64ELi64ELi64ELi1ELb0EEvPKcS1_S1_S1_S1_PKiPfP15HIP_vector_typeIfLj2EEffffjfiS5_IjLj3EEiiiiiiiiiiiliiliiiiil.num_vgpr, 128
	.set _ZL15flash_attn_tileILi64ELi64ELi64ELi1ELb0EEvPKcS1_S1_S1_S1_PKiPfP15HIP_vector_typeIfLj2EEffffjfiS5_IjLj3EEiiiiiiiiiiiliiliiiiil.num_agpr, 0
	.set _ZL15flash_attn_tileILi64ELi64ELi64ELi1ELb0EEvPKcS1_S1_S1_S1_PKiPfP15HIP_vector_typeIfLj2EEffffjfiS5_IjLj3EEiiiiiiiiiiiliiliiiiil.numbered_sgpr, 52
	.set _ZL15flash_attn_tileILi64ELi64ELi64ELi1ELb0EEvPKcS1_S1_S1_S1_PKiPfP15HIP_vector_typeIfLj2EEffffjfiS5_IjLj3EEiiiiiiiiiiiliiliiiiil.num_named_barrier, 0
	.set _ZL15flash_attn_tileILi64ELi64ELi64ELi1ELb0EEvPKcS1_S1_S1_S1_PKiPfP15HIP_vector_typeIfLj2EEffffjfiS5_IjLj3EEiiiiiiiiiiiliiliiiiil.private_seg_size, 32
	.set _ZL15flash_attn_tileILi64ELi64ELi64ELi1ELb0EEvPKcS1_S1_S1_S1_PKiPfP15HIP_vector_typeIfLj2EEffffjfiS5_IjLj3EEiiiiiiiiiiiliiliiiiil.uses_vcc, 1
	.set _ZL15flash_attn_tileILi64ELi64ELi64ELi1ELb0EEvPKcS1_S1_S1_S1_PKiPfP15HIP_vector_typeIfLj2EEffffjfiS5_IjLj3EEiiiiiiiiiiiliiliiiiil.uses_flat_scratch, 1
	.set _ZL15flash_attn_tileILi64ELi64ELi64ELi1ELb0EEvPKcS1_S1_S1_S1_PKiPfP15HIP_vector_typeIfLj2EEffffjfiS5_IjLj3EEiiiiiiiiiiiliiliiiiil.has_dyn_sized_stack, 0
	.set _ZL15flash_attn_tileILi64ELi64ELi64ELi1ELb0EEvPKcS1_S1_S1_S1_PKiPfP15HIP_vector_typeIfLj2EEffffjfiS5_IjLj3EEiiiiiiiiiiiliiliiiiil.has_recursion, 0
	.set _ZL15flash_attn_tileILi64ELi64ELi64ELi1ELb0EEvPKcS1_S1_S1_S1_PKiPfP15HIP_vector_typeIfLj2EEffffjfiS5_IjLj3EEiiiiiiiiiiiliiliiiiil.has_indirect_call, 0
	.section	.AMDGPU.csdata,"",@progbits
; Kernel info:
; codeLenInByte = 47312
; TotalNumSgprs: 58
; NumVgprs: 128
; ScratchSize: 32
; MemoryBound: 0
; FloatMode: 240
; IeeeMode: 1
; LDSByteSize: 25600 bytes/workgroup (compile time only)
; SGPRBlocks: 12
; VGPRBlocks: 31
; NumSGPRsForWavesPerEU: 102
; NumVGPRsForWavesPerEU: 128
; Occupancy: 2
; WaveLimiterHint : 0
; COMPUTE_PGM_RSRC2:SCRATCH_EN: 1
; COMPUTE_PGM_RSRC2:USER_SGPR: 8
; COMPUTE_PGM_RSRC2:TRAP_HANDLER: 0
; COMPUTE_PGM_RSRC2:TGID_X_EN: 1
; COMPUTE_PGM_RSRC2:TGID_Y_EN: 1
; COMPUTE_PGM_RSRC2:TGID_Z_EN: 1
; COMPUTE_PGM_RSRC2:TIDIG_COMP_CNT: 1
	.section	.text._ZL25flash_attn_mask_to_KV_maxILi64EEvPK7__half2Piiii,"axG",@progbits,_ZL25flash_attn_mask_to_KV_maxILi64EEvPK7__half2Piiii,comdat
	.globl	_ZL25flash_attn_mask_to_KV_maxILi64EEvPK7__half2Piiii ; -- Begin function _ZL25flash_attn_mask_to_KV_maxILi64EEvPK7__half2Piiii
	.p2align	8
	.type	_ZL25flash_attn_mask_to_KV_maxILi64EEvPK7__half2Piiii,@function
_ZL25flash_attn_mask_to_KV_maxILi64EEvPK7__half2Piiii: ; @_ZL25flash_attn_mask_to_KV_maxILi64EEvPK7__half2Piiii
; %bb.0:
	s_load_dwordx4 s[8:11], s[4:5], 0x0
	v_cmp_gt_u32_e32 vcc, 32, v0
	s_and_saveexec_b64 s[0:1], vcc
; %bb.1:
	v_lshlrev_b32_e32 v1, 2, v0
	v_mov_b32_e32 v2, 1
	ds_write_b32 v1, v2
; %bb.2:
	s_or_b64 exec, exec, s[0:1]
	s_load_dwordx4 s[12:15], s[4:5], 0x10
	s_load_dword s33, s[4:5], 0x20
	v_and_b32_e32 v1, 31, v0
	v_lshlrev_b32_e32 v6, 2, v1
	v_lshrrev_b32_e32 v5, 3, v0
	s_waitcnt lgkmcnt(0)
	s_mul_i32 s1, s6, s13
	s_mul_i32 s0, s14, s7
	s_lshl_b32 s1, s1, 6
	s_add_i32 s0, s0, s1
	s_ashr_i32 s1, s0, 31
	s_lshl_b64 s[0:1], s[0:1], 2
	s_add_u32 s94, s8, s0
	s_addc_u32 s95, s9, s1
	v_cmp_eq_u32_e64 s[0:1], 0, v1
	v_mbcnt_lo_u32_b32 v1, -1, 0
	s_lshl_b32 s12, s12, 8
	s_mov_b64 s[4:5], 0
	v_mov_b32_e32 v2, 0
	s_movk_i32 s92, 0x204
	v_mbcnt_hi_u32_b32 v7, -1, v1
	s_barrier
                                        ; implicit-def: $sgpr2_sgpr3
	s_branch .LBB53_5
.LBB53_3:                               ;   in Loop: Header=BB53_5 Depth=1
	s_or_b64 exec, exec, s[8:9]
	s_waitcnt lgkmcnt(0)
	s_barrier
	ds_read_b32 v10, v6
	s_waitcnt lgkmcnt(0)
	s_barrier
	ds_bpermute_b32 v1, v1, v10
	v_cmp_ne_u32_e32 vcc, 0, v10
	s_waitcnt lgkmcnt(0)
	v_cmp_ne_u32_e64 s[2:3], 0, v1
	s_and_b64 s[2:3], vcc, s[2:3]
	v_cndmask_b32_e64 v1, 0, 1, s[2:3]
	ds_bpermute_b32 v1, v3, v1
	s_waitcnt lgkmcnt(0)
	v_cmp_ne_u32_e32 vcc, 0, v1
	s_and_b64 s[2:3], vcc, s[2:3]
	v_cndmask_b32_e64 v1, 0, 1, s[2:3]
	ds_bpermute_b32 v1, v4, v1
	s_waitcnt lgkmcnt(0)
	v_cmp_ne_u32_e32 vcc, 0, v1
	;; [unrolled: 5-line block ×3, first 2 shown]
	s_and_b64 s[2:3], vcc, s[2:3]
	v_cndmask_b32_e64 v1, 0, 1, s[2:3]
	ds_bpermute_b32 v1, v9, v1
	s_xor_b64 s[2:3], s[2:3], -1
	s_waitcnt lgkmcnt(0)
	v_cmp_eq_u32_e32 vcc, 0, v1
	s_or_b64 s[2:3], vcc, s[2:3]
.LBB53_4:                               ;   in Loop: Header=BB53_5 Depth=1
	s_and_b64 s[8:9], exec, s[2:3]
	s_or_b64 s[4:5], s[8:9], s[4:5]
	v_mov_b32_e32 v1, s12
	s_mov_b32 s12, s93
	s_andn2_b64 exec, exec, s[4:5]
	s_cbranch_execz .LBB53_260
.LBB53_5:                               ; =>This Inner Loop Header: Depth=1
	s_add_i32 s93, s12, 0xffffff00
	s_or_b64 s[2:3], s[2:3], exec
	s_cmp_lt_i32 s93, 0
	s_cbranch_scc1 .LBB53_4
; %bb.6:                                ;   in Loop: Header=BB53_5 Depth=1
	s_lshr_b32 s2, s93, 1
	v_add_u32_e32 v1, s2, v0
	v_lshlrev_b64 v[3:4], 2, v[1:2]
	v_mov_b32_e32 v8, s95
	v_add_co_u32_e32 v3, vcc, s94, v3
	v_addc_co_u32_e32 v4, vcc, v8, v4, vcc
	global_load_dword v3, v[3:4], off
	v_mov_b32_e32 v4, 0
	s_waitcnt vmcnt(0)
	v_cmp_class_f16_e64 s[2:3], v3, s92
	v_cmp_class_f16_sdwa s[8:9], v3, s92 src0_sel:WORD_1 src1_sel:DWORD
	s_and_b64 s[8:9], s[2:3], s[8:9]
	s_and_saveexec_b64 s[2:3], s[8:9]
	s_cbranch_execz .LBB53_258
; %bb.7:                                ;   in Loop: Header=BB53_5 Depth=1
	v_add_u32_e32 v3, s13, v1
	v_ashrrev_i32_e32 v4, 31, v3
	v_lshlrev_b64 v[8:9], 2, v[3:4]
	v_mov_b32_e32 v1, s95
	v_add_co_u32_e32 v8, vcc, s94, v8
	v_addc_co_u32_e32 v9, vcc, v1, v9, vcc
	global_load_dword v1, v[8:9], off
	v_mov_b32_e32 v4, 0
	s_waitcnt vmcnt(0)
	v_cmp_class_f16_e64 s[14:15], v1, s92
	s_and_saveexec_b64 s[8:9], s[14:15]
	s_cbranch_execz .LBB53_257
; %bb.8:                                ;   in Loop: Header=BB53_5 Depth=1
	v_cmp_class_f16_sdwa s[16:17], v1, s92 src0_sel:WORD_1 src1_sel:DWORD
	v_mov_b32_e32 v4, 0
	s_and_saveexec_b64 s[14:15], s[16:17]
	s_cbranch_execz .LBB53_256
; %bb.9:                                ;   in Loop: Header=BB53_5 Depth=1
	v_add_u32_e32 v3, s13, v3
	v_ashrrev_i32_e32 v4, 31, v3
	v_lshlrev_b64 v[8:9], 2, v[3:4]
	v_mov_b32_e32 v1, s95
	v_add_co_u32_e32 v8, vcc, s94, v8
	v_addc_co_u32_e32 v9, vcc, v1, v9, vcc
	global_load_dword v1, v[8:9], off
	v_mov_b32_e32 v4, 0
	s_waitcnt vmcnt(0)
	v_cmp_class_f16_e64 s[18:19], v1, s92
	s_and_saveexec_b64 s[16:17], s[18:19]
	s_cbranch_execz .LBB53_255
; %bb.10:                               ;   in Loop: Header=BB53_5 Depth=1
	v_cmp_class_f16_sdwa s[20:21], v1, s92 src0_sel:WORD_1 src1_sel:DWORD
	v_mov_b32_e32 v4, 0
	s_and_saveexec_b64 s[18:19], s[20:21]
	s_cbranch_execz .LBB53_254
; %bb.11:                               ;   in Loop: Header=BB53_5 Depth=1
	v_add_u32_e32 v3, s13, v3
	v_ashrrev_i32_e32 v4, 31, v3
	v_lshlrev_b64 v[8:9], 2, v[3:4]
	v_mov_b32_e32 v1, s95
	v_add_co_u32_e32 v8, vcc, s94, v8
	v_addc_co_u32_e32 v9, vcc, v1, v9, vcc
	global_load_dword v1, v[8:9], off
	v_mov_b32_e32 v4, 0
	s_waitcnt vmcnt(0)
	v_cmp_class_f16_e64 s[22:23], v1, s92
	s_and_saveexec_b64 s[20:21], s[22:23]
	s_cbranch_execz .LBB53_253
; %bb.12:                               ;   in Loop: Header=BB53_5 Depth=1
	v_cmp_class_f16_sdwa s[24:25], v1, s92 src0_sel:WORD_1 src1_sel:DWORD
	v_mov_b32_e32 v4, 0
	s_and_saveexec_b64 s[22:23], s[24:25]
	s_cbranch_execz .LBB53_252
; %bb.13:                               ;   in Loop: Header=BB53_5 Depth=1
	v_add_u32_e32 v3, s13, v3
	v_ashrrev_i32_e32 v4, 31, v3
	v_lshlrev_b64 v[8:9], 2, v[3:4]
	v_mov_b32_e32 v1, s95
	v_add_co_u32_e32 v8, vcc, s94, v8
	v_addc_co_u32_e32 v9, vcc, v1, v9, vcc
	global_load_dword v1, v[8:9], off
	v_mov_b32_e32 v4, 0
	s_waitcnt vmcnt(0)
	v_cmp_class_f16_e64 s[26:27], v1, s92
	s_and_saveexec_b64 s[24:25], s[26:27]
	s_cbranch_execz .LBB53_251
; %bb.14:                               ;   in Loop: Header=BB53_5 Depth=1
	v_cmp_class_f16_sdwa s[28:29], v1, s92 src0_sel:WORD_1 src1_sel:DWORD
	v_mov_b32_e32 v4, 0
	s_and_saveexec_b64 s[26:27], s[28:29]
	s_cbranch_execz .LBB53_250
; %bb.15:                               ;   in Loop: Header=BB53_5 Depth=1
	v_add_u32_e32 v3, s13, v3
	v_ashrrev_i32_e32 v4, 31, v3
	v_lshlrev_b64 v[8:9], 2, v[3:4]
	v_mov_b32_e32 v1, s95
	v_add_co_u32_e32 v8, vcc, s94, v8
	v_addc_co_u32_e32 v9, vcc, v1, v9, vcc
	global_load_dword v1, v[8:9], off
	v_mov_b32_e32 v4, 0
	s_waitcnt vmcnt(0)
	v_cmp_class_f16_e64 s[30:31], v1, s92
	s_and_saveexec_b64 s[28:29], s[30:31]
	s_cbranch_execz .LBB53_249
; %bb.16:                               ;   in Loop: Header=BB53_5 Depth=1
	v_cmp_class_f16_sdwa s[34:35], v1, s92 src0_sel:WORD_1 src1_sel:DWORD
	v_mov_b32_e32 v4, 0
	s_and_saveexec_b64 s[30:31], s[34:35]
	s_cbranch_execz .LBB53_248
; %bb.17:                               ;   in Loop: Header=BB53_5 Depth=1
	v_add_u32_e32 v3, s13, v3
	v_ashrrev_i32_e32 v4, 31, v3
	v_lshlrev_b64 v[8:9], 2, v[3:4]
	v_mov_b32_e32 v1, s95
	v_add_co_u32_e32 v8, vcc, s94, v8
	v_addc_co_u32_e32 v9, vcc, v1, v9, vcc
	global_load_dword v1, v[8:9], off
	v_mov_b32_e32 v4, 0
	s_waitcnt vmcnt(0)
	v_cmp_class_f16_e64 s[36:37], v1, s92
	s_and_saveexec_b64 s[34:35], s[36:37]
	s_cbranch_execz .LBB53_247
; %bb.18:                               ;   in Loop: Header=BB53_5 Depth=1
	v_cmp_class_f16_sdwa s[38:39], v1, s92 src0_sel:WORD_1 src1_sel:DWORD
	v_mov_b32_e32 v4, 0
	s_and_saveexec_b64 s[36:37], s[38:39]
	s_cbranch_execz .LBB53_246
; %bb.19:                               ;   in Loop: Header=BB53_5 Depth=1
	v_add_u32_e32 v3, s13, v3
	v_ashrrev_i32_e32 v4, 31, v3
	v_lshlrev_b64 v[8:9], 2, v[3:4]
	v_mov_b32_e32 v1, s95
	v_add_co_u32_e32 v8, vcc, s94, v8
	v_addc_co_u32_e32 v9, vcc, v1, v9, vcc
	global_load_dword v1, v[8:9], off
	v_mov_b32_e32 v4, 0
	s_waitcnt vmcnt(0)
	v_cmp_class_f16_e64 s[40:41], v1, s92
	s_and_saveexec_b64 s[38:39], s[40:41]
	s_cbranch_execz .LBB53_245
; %bb.20:                               ;   in Loop: Header=BB53_5 Depth=1
	v_cmp_class_f16_sdwa s[42:43], v1, s92 src0_sel:WORD_1 src1_sel:DWORD
	v_mov_b32_e32 v4, 0
	s_and_saveexec_b64 s[40:41], s[42:43]
	s_cbranch_execz .LBB53_244
; %bb.21:                               ;   in Loop: Header=BB53_5 Depth=1
	v_add_u32_e32 v3, s13, v3
	v_ashrrev_i32_e32 v4, 31, v3
	v_lshlrev_b64 v[8:9], 2, v[3:4]
	v_mov_b32_e32 v1, s95
	v_add_co_u32_e32 v8, vcc, s94, v8
	v_addc_co_u32_e32 v9, vcc, v1, v9, vcc
	global_load_dword v1, v[8:9], off
	v_mov_b32_e32 v4, 0
	s_waitcnt vmcnt(0)
	v_cmp_class_f16_e64 s[44:45], v1, s92
	s_and_saveexec_b64 s[42:43], s[44:45]
	s_cbranch_execz .LBB53_243
; %bb.22:                               ;   in Loop: Header=BB53_5 Depth=1
	v_cmp_class_f16_sdwa s[46:47], v1, s92 src0_sel:WORD_1 src1_sel:DWORD
	v_mov_b32_e32 v4, 0
	s_and_saveexec_b64 s[44:45], s[46:47]
	s_cbranch_execz .LBB53_242
; %bb.23:                               ;   in Loop: Header=BB53_5 Depth=1
	v_add_u32_e32 v3, s13, v3
	v_ashrrev_i32_e32 v4, 31, v3
	v_lshlrev_b64 v[8:9], 2, v[3:4]
	v_mov_b32_e32 v1, s95
	v_add_co_u32_e32 v8, vcc, s94, v8
	v_addc_co_u32_e32 v9, vcc, v1, v9, vcc
	global_load_dword v1, v[8:9], off
	v_mov_b32_e32 v4, 0
	s_waitcnt vmcnt(0)
	v_cmp_class_f16_e64 s[48:49], v1, s92
	s_and_saveexec_b64 s[46:47], s[48:49]
	s_cbranch_execz .LBB53_241
; %bb.24:                               ;   in Loop: Header=BB53_5 Depth=1
	v_cmp_class_f16_sdwa s[50:51], v1, s92 src0_sel:WORD_1 src1_sel:DWORD
	v_mov_b32_e32 v4, 0
	s_and_saveexec_b64 s[48:49], s[50:51]
	s_cbranch_execz .LBB53_240
; %bb.25:                               ;   in Loop: Header=BB53_5 Depth=1
	v_add_u32_e32 v3, s13, v3
	v_ashrrev_i32_e32 v4, 31, v3
	v_lshlrev_b64 v[8:9], 2, v[3:4]
	v_mov_b32_e32 v1, s95
	v_add_co_u32_e32 v8, vcc, s94, v8
	v_addc_co_u32_e32 v9, vcc, v1, v9, vcc
	global_load_dword v1, v[8:9], off
	v_mov_b32_e32 v4, 0
	s_waitcnt vmcnt(0)
	v_cmp_class_f16_e64 s[52:53], v1, s92
	s_and_saveexec_b64 s[50:51], s[52:53]
	s_cbranch_execz .LBB53_239
; %bb.26:                               ;   in Loop: Header=BB53_5 Depth=1
	v_cmp_class_f16_sdwa s[54:55], v1, s92 src0_sel:WORD_1 src1_sel:DWORD
	v_mov_b32_e32 v4, 0
	s_and_saveexec_b64 s[52:53], s[54:55]
	s_cbranch_execz .LBB53_238
; %bb.27:                               ;   in Loop: Header=BB53_5 Depth=1
	v_add_u32_e32 v3, s13, v3
	v_ashrrev_i32_e32 v4, 31, v3
	v_lshlrev_b64 v[8:9], 2, v[3:4]
	v_mov_b32_e32 v1, s95
	v_add_co_u32_e32 v8, vcc, s94, v8
	v_addc_co_u32_e32 v9, vcc, v1, v9, vcc
	global_load_dword v1, v[8:9], off
	v_mov_b32_e32 v4, 0
	s_waitcnt vmcnt(0)
	v_cmp_class_f16_e64 s[56:57], v1, s92
	s_and_saveexec_b64 s[54:55], s[56:57]
	s_cbranch_execz .LBB53_237
; %bb.28:                               ;   in Loop: Header=BB53_5 Depth=1
	v_cmp_class_f16_sdwa s[58:59], v1, s92 src0_sel:WORD_1 src1_sel:DWORD
	v_mov_b32_e32 v4, 0
	s_and_saveexec_b64 s[56:57], s[58:59]
	s_cbranch_execz .LBB53_236
; %bb.29:                               ;   in Loop: Header=BB53_5 Depth=1
	v_add_u32_e32 v3, s13, v3
	v_ashrrev_i32_e32 v4, 31, v3
	v_lshlrev_b64 v[8:9], 2, v[3:4]
	v_mov_b32_e32 v1, s95
	v_add_co_u32_e32 v8, vcc, s94, v8
	v_addc_co_u32_e32 v9, vcc, v1, v9, vcc
	global_load_dword v1, v[8:9], off
	v_mov_b32_e32 v4, 0
	s_waitcnt vmcnt(0)
	v_cmp_class_f16_e64 s[60:61], v1, s92
	s_and_saveexec_b64 s[58:59], s[60:61]
	s_cbranch_execz .LBB53_235
; %bb.30:                               ;   in Loop: Header=BB53_5 Depth=1
	v_cmp_class_f16_sdwa s[62:63], v1, s92 src0_sel:WORD_1 src1_sel:DWORD
	v_mov_b32_e32 v4, 0
	s_and_saveexec_b64 s[60:61], s[62:63]
	s_cbranch_execz .LBB53_234
; %bb.31:                               ;   in Loop: Header=BB53_5 Depth=1
	v_add_u32_e32 v3, s13, v3
	v_ashrrev_i32_e32 v4, 31, v3
	v_lshlrev_b64 v[8:9], 2, v[3:4]
	v_mov_b32_e32 v1, s95
	v_add_co_u32_e32 v8, vcc, s94, v8
	v_addc_co_u32_e32 v9, vcc, v1, v9, vcc
	global_load_dword v1, v[8:9], off
	v_mov_b32_e32 v4, 0
	s_waitcnt vmcnt(0)
	v_cmp_class_f16_e64 s[64:65], v1, s92
	s_and_saveexec_b64 s[62:63], s[64:65]
	s_cbranch_execz .LBB53_233
; %bb.32:                               ;   in Loop: Header=BB53_5 Depth=1
	v_cmp_class_f16_sdwa s[66:67], v1, s92 src0_sel:WORD_1 src1_sel:DWORD
	v_mov_b32_e32 v4, 0
	s_and_saveexec_b64 s[64:65], s[66:67]
	s_cbranch_execz .LBB53_232
; %bb.33:                               ;   in Loop: Header=BB53_5 Depth=1
	v_add_u32_e32 v3, s13, v3
	v_ashrrev_i32_e32 v4, 31, v3
	v_lshlrev_b64 v[8:9], 2, v[3:4]
	v_mov_b32_e32 v1, s95
	v_add_co_u32_e32 v8, vcc, s94, v8
	v_addc_co_u32_e32 v9, vcc, v1, v9, vcc
	global_load_dword v1, v[8:9], off
	v_mov_b32_e32 v4, 0
	s_waitcnt vmcnt(0)
	v_cmp_class_f16_e64 s[68:69], v1, s92
	s_and_saveexec_b64 s[66:67], s[68:69]
	s_cbranch_execz .LBB53_231
; %bb.34:                               ;   in Loop: Header=BB53_5 Depth=1
	v_cmp_class_f16_sdwa s[70:71], v1, s92 src0_sel:WORD_1 src1_sel:DWORD
	v_mov_b32_e32 v4, 0
	s_and_saveexec_b64 s[68:69], s[70:71]
	s_cbranch_execz .LBB53_230
; %bb.35:                               ;   in Loop: Header=BB53_5 Depth=1
	v_add_u32_e32 v3, s13, v3
	v_ashrrev_i32_e32 v4, 31, v3
	v_lshlrev_b64 v[8:9], 2, v[3:4]
	v_mov_b32_e32 v1, s95
	v_add_co_u32_e32 v8, vcc, s94, v8
	v_addc_co_u32_e32 v9, vcc, v1, v9, vcc
	global_load_dword v1, v[8:9], off
	v_mov_b32_e32 v4, 0
	s_waitcnt vmcnt(0)
	v_cmp_class_f16_e64 s[72:73], v1, s92
	s_and_saveexec_b64 s[70:71], s[72:73]
	s_cbranch_execz .LBB53_229
; %bb.36:                               ;   in Loop: Header=BB53_5 Depth=1
	v_cmp_class_f16_sdwa s[74:75], v1, s92 src0_sel:WORD_1 src1_sel:DWORD
	v_mov_b32_e32 v4, 0
	s_and_saveexec_b64 s[72:73], s[74:75]
	s_cbranch_execz .LBB53_228
; %bb.37:                               ;   in Loop: Header=BB53_5 Depth=1
	v_add_u32_e32 v3, s13, v3
	v_ashrrev_i32_e32 v4, 31, v3
	v_lshlrev_b64 v[8:9], 2, v[3:4]
	v_mov_b32_e32 v1, s95
	v_add_co_u32_e32 v8, vcc, s94, v8
	v_addc_co_u32_e32 v9, vcc, v1, v9, vcc
	global_load_dword v1, v[8:9], off
	v_mov_b32_e32 v4, 0
	s_waitcnt vmcnt(0)
	v_cmp_class_f16_e64 s[76:77], v1, s92
	s_and_saveexec_b64 s[74:75], s[76:77]
	s_cbranch_execz .LBB53_227
; %bb.38:                               ;   in Loop: Header=BB53_5 Depth=1
	v_cmp_class_f16_sdwa s[78:79], v1, s92 src0_sel:WORD_1 src1_sel:DWORD
	v_mov_b32_e32 v4, 0
	s_and_saveexec_b64 s[76:77], s[78:79]
	s_cbranch_execz .LBB53_226
; %bb.39:                               ;   in Loop: Header=BB53_5 Depth=1
	v_add_u32_e32 v3, s13, v3
	v_ashrrev_i32_e32 v4, 31, v3
	v_lshlrev_b64 v[8:9], 2, v[3:4]
	v_mov_b32_e32 v1, s95
	v_add_co_u32_e32 v8, vcc, s94, v8
	v_addc_co_u32_e32 v9, vcc, v1, v9, vcc
	global_load_dword v1, v[8:9], off
	v_mov_b32_e32 v4, 0
	s_waitcnt vmcnt(0)
	v_cmp_class_f16_e64 s[80:81], v1, s92
	s_and_saveexec_b64 s[78:79], s[80:81]
	s_cbranch_execz .LBB53_225
; %bb.40:                               ;   in Loop: Header=BB53_5 Depth=1
	v_cmp_class_f16_sdwa s[82:83], v1, s92 src0_sel:WORD_1 src1_sel:DWORD
	v_mov_b32_e32 v4, 0
	s_and_saveexec_b64 s[80:81], s[82:83]
	s_cbranch_execz .LBB53_224
; %bb.41:                               ;   in Loop: Header=BB53_5 Depth=1
	v_add_u32_e32 v3, s13, v3
	v_ashrrev_i32_e32 v4, 31, v3
	v_lshlrev_b64 v[8:9], 2, v[3:4]
	v_mov_b32_e32 v1, s95
	v_add_co_u32_e32 v8, vcc, s94, v8
	v_addc_co_u32_e32 v9, vcc, v1, v9, vcc
	global_load_dword v1, v[8:9], off
	v_mov_b32_e32 v4, 0
	s_waitcnt vmcnt(0)
	v_cmp_class_f16_e64 s[84:85], v1, s92
	s_and_saveexec_b64 s[82:83], s[84:85]
	s_cbranch_execz .LBB53_223
; %bb.42:                               ;   in Loop: Header=BB53_5 Depth=1
	v_cmp_class_f16_sdwa s[86:87], v1, s92 src0_sel:WORD_1 src1_sel:DWORD
	v_mov_b32_e32 v4, 0
	s_and_saveexec_b64 s[84:85], s[86:87]
	s_cbranch_execz .LBB53_222
; %bb.43:                               ;   in Loop: Header=BB53_5 Depth=1
	v_add_u32_e32 v3, s13, v3
	v_ashrrev_i32_e32 v4, 31, v3
	v_lshlrev_b64 v[8:9], 2, v[3:4]
	v_mov_b32_e32 v1, s95
	v_add_co_u32_e32 v8, vcc, s94, v8
	v_addc_co_u32_e32 v9, vcc, v1, v9, vcc
	global_load_dword v1, v[8:9], off
	v_mov_b32_e32 v4, 0
	s_waitcnt vmcnt(0)
	v_cmp_class_f16_e64 s[88:89], v1, s92
	s_and_saveexec_b64 s[86:87], s[88:89]
	s_cbranch_execz .LBB53_221
; %bb.44:                               ;   in Loop: Header=BB53_5 Depth=1
	v_cmp_class_f16_sdwa s[90:91], v1, s92 src0_sel:WORD_1 src1_sel:DWORD
	v_mov_b32_e32 v4, 0
	s_and_saveexec_b64 s[88:89], s[90:91]
	s_cbranch_execz .LBB53_220
; %bb.45:                               ;   in Loop: Header=BB53_5 Depth=1
	v_add_u32_e32 v3, s13, v3
	v_ashrrev_i32_e32 v4, 31, v3
	v_lshlrev_b64 v[8:9], 2, v[3:4]
	v_mov_b32_e32 v1, s95
	v_add_co_u32_e32 v8, vcc, s94, v8
	v_addc_co_u32_e32 v9, vcc, v1, v9, vcc
	global_load_dword v1, v[8:9], off
	v_mov_b32_e32 v4, 0
	s_waitcnt vmcnt(0)
	v_cmp_class_f16_e64 vcc, v1, s92
	s_mov_b64 s[90:91], exec
                                        ; implicit-def: $vgpr14 : SGPR spill to VGPR lane
	v_writelane_b32 v14, s90, 0
	s_and_b64 vcc, s[90:91], vcc
	v_writelane_b32 v14, s91, 1
	s_mov_b64 exec, vcc
	s_cbranch_execz .LBB53_219
; %bb.46:                               ;   in Loop: Header=BB53_5 Depth=1
	v_mov_b32_e32 v4, 0
	v_cmp_class_f16_sdwa s[90:91], v1, s92 src0_sel:WORD_1 src1_sel:DWORD
	s_mov_b64 vcc, exec
	v_writelane_b32 v14, vcc_lo, 2
	s_and_b64 s[90:91], vcc, s[90:91]
	v_writelane_b32 v14, vcc_hi, 3
	s_mov_b64 exec, s[90:91]
	s_cbranch_execz .LBB53_218
; %bb.47:                               ;   in Loop: Header=BB53_5 Depth=1
	v_add_u32_e32 v3, s13, v3
	v_ashrrev_i32_e32 v4, 31, v3
	v_lshlrev_b64 v[8:9], 2, v[3:4]
	v_mov_b32_e32 v1, s95
	v_add_co_u32_e32 v8, vcc, s94, v8
	v_addc_co_u32_e32 v9, vcc, v1, v9, vcc
	global_load_dword v1, v[8:9], off
	v_mov_b32_e32 v4, 0
	s_waitcnt vmcnt(0)
	v_cmp_class_f16_e64 s[90:91], v1, s92
	s_mov_b64 vcc, exec
	v_writelane_b32 v14, vcc_lo, 4
	s_and_b64 s[90:91], vcc, s[90:91]
	v_writelane_b32 v14, vcc_hi, 5
	s_mov_b64 exec, s[90:91]
	s_cbranch_execz .LBB53_217
; %bb.48:                               ;   in Loop: Header=BB53_5 Depth=1
	v_mov_b32_e32 v4, 0
	v_cmp_class_f16_sdwa s[90:91], v1, s92 src0_sel:WORD_1 src1_sel:DWORD
	s_mov_b64 vcc, exec
	v_writelane_b32 v14, vcc_lo, 6
	s_and_b64 s[90:91], vcc, s[90:91]
	v_writelane_b32 v14, vcc_hi, 7
	s_mov_b64 exec, s[90:91]
	s_cbranch_execz .LBB53_216
; %bb.49:                               ;   in Loop: Header=BB53_5 Depth=1
	v_add_u32_e32 v3, s13, v3
	v_ashrrev_i32_e32 v4, 31, v3
	v_lshlrev_b64 v[8:9], 2, v[3:4]
	v_mov_b32_e32 v1, s95
	v_add_co_u32_e32 v8, vcc, s94, v8
	v_addc_co_u32_e32 v9, vcc, v1, v9, vcc
	global_load_dword v1, v[8:9], off
	v_mov_b32_e32 v4, 0
	s_waitcnt vmcnt(0)
	v_cmp_class_f16_e64 s[90:91], v1, s92
	s_mov_b64 vcc, exec
	v_writelane_b32 v14, vcc_lo, 8
	s_and_b64 s[90:91], vcc, s[90:91]
	v_writelane_b32 v14, vcc_hi, 9
	s_mov_b64 exec, s[90:91]
	;; [unrolled: 26-line block ×15, first 2 shown]
	s_cbranch_execz .LBB53_189
; %bb.76:                               ;   in Loop: Header=BB53_5 Depth=1
	v_mov_b32_e32 v4, 0
	v_cmp_class_f16_sdwa s[90:91], v1, s92 src0_sel:WORD_1 src1_sel:DWORD
	s_mov_b64 vcc, exec
	v_writelane_b32 v14, vcc_lo, 62
	s_and_b64 s[90:91], vcc, s[90:91]
	v_writelane_b32 v14, vcc_hi, 63
	s_mov_b64 exec, s[90:91]
	s_cbranch_execz .LBB53_188
; %bb.77:                               ;   in Loop: Header=BB53_5 Depth=1
	v_add_u32_e32 v3, s13, v3
	v_ashrrev_i32_e32 v4, 31, v3
	v_lshlrev_b64 v[8:9], 2, v[3:4]
	v_mov_b32_e32 v1, s95
	v_add_co_u32_e32 v8, vcc, s94, v8
	v_addc_co_u32_e32 v9, vcc, v1, v9, vcc
	global_load_dword v1, v[8:9], off
	v_mov_b32_e32 v4, 0
	s_waitcnt vmcnt(0)
	v_cmp_class_f16_e64 s[90:91], v1, s92
	s_mov_b64 vcc, exec
                                        ; implicit-def: $vgpr13 : SGPR spill to VGPR lane
	v_writelane_b32 v13, vcc_lo, 0
	s_and_b64 s[90:91], vcc, s[90:91]
	v_writelane_b32 v13, vcc_hi, 1
	s_mov_b64 exec, s[90:91]
	s_cbranch_execz .LBB53_187
; %bb.78:                               ;   in Loop: Header=BB53_5 Depth=1
	v_mov_b32_e32 v4, 0
	v_cmp_class_f16_sdwa s[90:91], v1, s92 src0_sel:WORD_1 src1_sel:DWORD
	s_mov_b64 vcc, exec
	v_writelane_b32 v13, vcc_lo, 2
	s_and_b64 s[90:91], vcc, s[90:91]
	v_writelane_b32 v13, vcc_hi, 3
	s_mov_b64 exec, s[90:91]
	s_cbranch_execz .LBB53_186
; %bb.79:                               ;   in Loop: Header=BB53_5 Depth=1
	v_add_u32_e32 v3, s13, v3
	v_ashrrev_i32_e32 v4, 31, v3
	v_lshlrev_b64 v[8:9], 2, v[3:4]
	v_mov_b32_e32 v1, s95
	v_add_co_u32_e32 v8, vcc, s94, v8
	v_addc_co_u32_e32 v9, vcc, v1, v9, vcc
	global_load_dword v1, v[8:9], off
	v_mov_b32_e32 v4, 0
	s_waitcnt vmcnt(0)
	v_cmp_class_f16_e64 s[90:91], v1, s92
	s_mov_b64 vcc, exec
	v_writelane_b32 v13, vcc_lo, 4
	s_and_b64 s[90:91], vcc, s[90:91]
	v_writelane_b32 v13, vcc_hi, 5
	s_mov_b64 exec, s[90:91]
	s_cbranch_execz .LBB53_185
; %bb.80:                               ;   in Loop: Header=BB53_5 Depth=1
	v_mov_b32_e32 v4, 0
	v_cmp_class_f16_sdwa s[90:91], v1, s92 src0_sel:WORD_1 src1_sel:DWORD
	s_mov_b64 vcc, exec
	v_writelane_b32 v13, vcc_lo, 6
	s_and_b64 s[90:91], vcc, s[90:91]
	v_writelane_b32 v13, vcc_hi, 7
	s_mov_b64 exec, s[90:91]
	s_cbranch_execz .LBB53_184
; %bb.81:                               ;   in Loop: Header=BB53_5 Depth=1
	v_add_u32_e32 v3, s13, v3
	v_ashrrev_i32_e32 v4, 31, v3
	v_lshlrev_b64 v[8:9], 2, v[3:4]
	v_mov_b32_e32 v1, s95
	v_add_co_u32_e32 v8, vcc, s94, v8
	v_addc_co_u32_e32 v9, vcc, v1, v9, vcc
	global_load_dword v1, v[8:9], off
	v_mov_b32_e32 v4, 0
	s_waitcnt vmcnt(0)
	v_cmp_class_f16_e64 s[90:91], v1, s92
	s_mov_b64 vcc, exec
	;; [unrolled: 26-line block ×11, first 2 shown]
	v_writelane_b32 v13, vcc_lo, 44
	s_and_b64 s[90:91], vcc, s[90:91]
	v_writelane_b32 v13, vcc_hi, 45
	s_mov_b64 exec, s[90:91]
	s_cbranch_execz .LBB53_165
; %bb.100:                              ;   in Loop: Header=BB53_5 Depth=1
	v_mov_b32_e32 v4, 0
	v_cmp_class_f16_sdwa s[90:91], v1, s92 src0_sel:WORD_1 src1_sel:DWORD
	s_mov_b64 vcc, exec
	v_writelane_b32 v13, vcc_lo, 46
	s_and_b64 s[90:91], vcc, s[90:91]
	v_writelane_b32 v13, vcc_hi, 47
	s_mov_b64 exec, s[90:91]
	s_cbranch_execz .LBB53_164
; %bb.101:                              ;   in Loop: Header=BB53_5 Depth=1
	v_add_u32_e32 v3, s13, v3
	v_ashrrev_i32_e32 v4, 31, v3
	v_lshlrev_b64 v[8:9], 2, v[3:4]
	v_mov_b32_e32 v1, s95
	v_add_co_u32_e32 v8, vcc, s94, v8
	v_addc_co_u32_e32 v9, vcc, v1, v9, vcc
	global_load_dword v1, v[8:9], off
	v_mov_b32_e32 v4, 0
	s_waitcnt vmcnt(0)
	v_cmp_class_f16_e64 s[90:91], v1, s92
	s_mov_b64 vcc, exec
	v_writelane_b32 v13, vcc_lo, 48
	s_and_b64 s[90:91], vcc, s[90:91]
	v_writelane_b32 v13, vcc_hi, 49
	s_mov_b64 exec, s[90:91]
	s_cbranch_execz .LBB53_163
; %bb.102:                              ;   in Loop: Header=BB53_5 Depth=1
	v_mov_b32_e32 v4, 0
	v_cmp_class_f16_sdwa s[90:91], v1, s92 src0_sel:WORD_1 src1_sel:DWORD
	s_mov_b64 vcc, exec
	v_writelane_b32 v13, vcc_lo, 50
	s_and_b64 s[90:91], vcc, s[90:91]
	v_writelane_b32 v13, vcc_hi, 51
	s_mov_b64 exec, s[90:91]
	s_cbranch_execz .LBB53_162
; %bb.103:                              ;   in Loop: Header=BB53_5 Depth=1
	v_add_u32_e32 v3, s13, v3
	v_ashrrev_i32_e32 v4, 31, v3
	v_lshlrev_b64 v[8:9], 2, v[3:4]
	v_mov_b32_e32 v1, s95
	v_add_co_u32_e32 v8, vcc, s94, v8
	v_addc_co_u32_e32 v9, vcc, v1, v9, vcc
	global_load_dword v1, v[8:9], off
	v_mov_b32_e32 v4, 0
	s_waitcnt vmcnt(0)
	v_cmp_class_f16_e64 s[90:91], v1, s92
	s_mov_b64 vcc, exec
	;; [unrolled: 26-line block ×5, first 2 shown]
                                        ; implicit-def: $vgpr12 : SGPR spill to VGPR lane
	v_writelane_b32 v12, vcc_lo, 0
	s_and_b64 s[90:91], vcc, s[90:91]
	v_writelane_b32 v12, vcc_hi, 1
	s_mov_b64 exec, s[90:91]
	s_cbranch_execz .LBB53_155
; %bb.110:                              ;   in Loop: Header=BB53_5 Depth=1
	v_mov_b32_e32 v4, 0
	v_cmp_class_f16_sdwa s[90:91], v1, s92 src0_sel:WORD_1 src1_sel:DWORD
	s_mov_b64 vcc, exec
	v_writelane_b32 v12, vcc_lo, 2
	s_and_b64 s[90:91], vcc, s[90:91]
	v_writelane_b32 v12, vcc_hi, 3
	s_mov_b64 exec, s[90:91]
	s_cbranch_execz .LBB53_154
; %bb.111:                              ;   in Loop: Header=BB53_5 Depth=1
	v_add_u32_e32 v3, s13, v3
	v_ashrrev_i32_e32 v4, 31, v3
	v_lshlrev_b64 v[8:9], 2, v[3:4]
	v_mov_b32_e32 v1, s95
	v_add_co_u32_e32 v8, vcc, s94, v8
	v_addc_co_u32_e32 v9, vcc, v1, v9, vcc
	global_load_dword v1, v[8:9], off
	v_mov_b32_e32 v4, 0
	s_waitcnt vmcnt(0)
	v_cmp_class_f16_e64 s[90:91], v1, s92
	s_mov_b64 vcc, exec
	v_writelane_b32 v12, vcc_lo, 4
	s_and_b64 s[90:91], vcc, s[90:91]
	v_writelane_b32 v12, vcc_hi, 5
	s_mov_b64 exec, s[90:91]
	s_cbranch_execz .LBB53_153
; %bb.112:                              ;   in Loop: Header=BB53_5 Depth=1
	v_mov_b32_e32 v4, 0
	v_cmp_class_f16_sdwa s[90:91], v1, s92 src0_sel:WORD_1 src1_sel:DWORD
	s_mov_b64 vcc, exec
	v_writelane_b32 v12, vcc_lo, 6
	s_and_b64 s[90:91], vcc, s[90:91]
	v_writelane_b32 v12, vcc_hi, 7
	s_mov_b64 exec, s[90:91]
	s_cbranch_execz .LBB53_152
; %bb.113:                              ;   in Loop: Header=BB53_5 Depth=1
	v_add_u32_e32 v3, s13, v3
	v_ashrrev_i32_e32 v4, 31, v3
	v_lshlrev_b64 v[8:9], 2, v[3:4]
	v_mov_b32_e32 v1, s95
	v_add_co_u32_e32 v8, vcc, s94, v8
	v_addc_co_u32_e32 v9, vcc, v1, v9, vcc
	global_load_dword v1, v[8:9], off
	v_mov_b32_e32 v4, 0
	s_waitcnt vmcnt(0)
	v_cmp_class_f16_e64 s[90:91], v1, s92
	s_mov_b64 vcc, exec
	;; [unrolled: 26-line block ×11, first 2 shown]
	v_writelane_b32 v12, vcc_lo, 44
	s_and_b64 s[90:91], vcc, s[90:91]
	v_writelane_b32 v12, vcc_hi, 45
	s_mov_b64 exec, s[90:91]
; %bb.132:                              ;   in Loop: Header=BB53_5 Depth=1
	v_cmp_class_f16_sdwa s[90:91], v1, s92 src0_sel:WORD_1 src1_sel:DWORD
	v_cndmask_b32_e64 v4, 0, 1, s[90:91]
; %bb.133:                              ;   in Loop: Header=BB53_5 Depth=1
	v_readlane_b32 s90, v12, 44
	v_readlane_b32 s91, v12, 45
	s_or_b64 exec, exec, s[90:91]
.LBB53_134:                             ;   in Loop: Header=BB53_5 Depth=1
	v_readlane_b32 s90, v12, 42
	v_readlane_b32 s91, v12, 43
	s_or_b64 exec, exec, s[90:91]
.LBB53_135:                             ;   in Loop: Header=BB53_5 Depth=1
	v_readlane_b32 s90, v12, 40
	v_readlane_b32 s91, v12, 41
	s_or_b64 exec, exec, s[90:91]
.LBB53_136:                             ;   in Loop: Header=BB53_5 Depth=1
	v_readlane_b32 s90, v12, 38
	v_readlane_b32 s91, v12, 39
	s_or_b64 exec, exec, s[90:91]
.LBB53_137:                             ;   in Loop: Header=BB53_5 Depth=1
	v_readlane_b32 s90, v12, 36
	v_readlane_b32 s91, v12, 37
	s_or_b64 exec, exec, s[90:91]
.LBB53_138:                             ;   in Loop: Header=BB53_5 Depth=1
	v_readlane_b32 s90, v12, 34
	v_readlane_b32 s91, v12, 35
	s_or_b64 exec, exec, s[90:91]
.LBB53_139:                             ;   in Loop: Header=BB53_5 Depth=1
	v_readlane_b32 s90, v12, 32
	v_readlane_b32 s91, v12, 33
	s_or_b64 exec, exec, s[90:91]
.LBB53_140:                             ;   in Loop: Header=BB53_5 Depth=1
	v_readlane_b32 s90, v12, 30
	v_readlane_b32 s91, v12, 31
	s_or_b64 exec, exec, s[90:91]
.LBB53_141:                             ;   in Loop: Header=BB53_5 Depth=1
	v_readlane_b32 s90, v12, 28
	v_readlane_b32 s91, v12, 29
	s_or_b64 exec, exec, s[90:91]
.LBB53_142:                             ;   in Loop: Header=BB53_5 Depth=1
	v_readlane_b32 s90, v12, 26
	v_readlane_b32 s91, v12, 27
	s_or_b64 exec, exec, s[90:91]
.LBB53_143:                             ;   in Loop: Header=BB53_5 Depth=1
	v_readlane_b32 s90, v12, 24
	v_readlane_b32 s91, v12, 25
	s_or_b64 exec, exec, s[90:91]
.LBB53_144:                             ;   in Loop: Header=BB53_5 Depth=1
	v_readlane_b32 s90, v12, 22
	v_readlane_b32 s91, v12, 23
	s_or_b64 exec, exec, s[90:91]
.LBB53_145:                             ;   in Loop: Header=BB53_5 Depth=1
	v_readlane_b32 s90, v12, 20
	v_readlane_b32 s91, v12, 21
	s_or_b64 exec, exec, s[90:91]
.LBB53_146:                             ;   in Loop: Header=BB53_5 Depth=1
	v_readlane_b32 s90, v12, 18
	v_readlane_b32 s91, v12, 19
	s_or_b64 exec, exec, s[90:91]
.LBB53_147:                             ;   in Loop: Header=BB53_5 Depth=1
	v_readlane_b32 s90, v12, 16
	v_readlane_b32 s91, v12, 17
	s_or_b64 exec, exec, s[90:91]
.LBB53_148:                             ;   in Loop: Header=BB53_5 Depth=1
	v_readlane_b32 s90, v12, 14
	v_readlane_b32 s91, v12, 15
	s_or_b64 exec, exec, s[90:91]
.LBB53_149:                             ;   in Loop: Header=BB53_5 Depth=1
	v_readlane_b32 s90, v12, 12
	v_readlane_b32 s91, v12, 13
	s_or_b64 exec, exec, s[90:91]
.LBB53_150:                             ;   in Loop: Header=BB53_5 Depth=1
	v_readlane_b32 s90, v12, 10
	v_readlane_b32 s91, v12, 11
	s_or_b64 exec, exec, s[90:91]
.LBB53_151:                             ;   in Loop: Header=BB53_5 Depth=1
	v_readlane_b32 s90, v12, 8
	v_readlane_b32 s91, v12, 9
	s_or_b64 exec, exec, s[90:91]
.LBB53_152:                             ;   in Loop: Header=BB53_5 Depth=1
	v_readlane_b32 s90, v12, 6
	v_readlane_b32 s91, v12, 7
	s_or_b64 exec, exec, s[90:91]
.LBB53_153:                             ;   in Loop: Header=BB53_5 Depth=1
	v_readlane_b32 s90, v12, 4
	v_readlane_b32 s91, v12, 5
	s_or_b64 exec, exec, s[90:91]
.LBB53_154:                             ;   in Loop: Header=BB53_5 Depth=1
	v_readlane_b32 s90, v12, 2
	v_readlane_b32 s91, v12, 3
	s_or_b64 exec, exec, s[90:91]
.LBB53_155:                             ;   in Loop: Header=BB53_5 Depth=1
	v_readlane_b32 s90, v12, 0
	v_readlane_b32 s91, v12, 1
	s_or_b64 exec, exec, s[90:91]
.LBB53_156:                             ;   in Loop: Header=BB53_5 Depth=1
	v_readlane_b32 s90, v13, 62
	v_readlane_b32 s91, v13, 63
	s_or_b64 exec, exec, s[90:91]
.LBB53_157:                             ;   in Loop: Header=BB53_5 Depth=1
	v_readlane_b32 s90, v13, 60
	v_readlane_b32 s91, v13, 61
	s_or_b64 exec, exec, s[90:91]
.LBB53_158:                             ;   in Loop: Header=BB53_5 Depth=1
	v_readlane_b32 s90, v13, 58
	v_readlane_b32 s91, v13, 59
	s_or_b64 exec, exec, s[90:91]
.LBB53_159:                             ;   in Loop: Header=BB53_5 Depth=1
	v_readlane_b32 s90, v13, 56
	v_readlane_b32 s91, v13, 57
	s_or_b64 exec, exec, s[90:91]
.LBB53_160:                             ;   in Loop: Header=BB53_5 Depth=1
	v_readlane_b32 s90, v13, 54
	v_readlane_b32 s91, v13, 55
	s_or_b64 exec, exec, s[90:91]
.LBB53_161:                             ;   in Loop: Header=BB53_5 Depth=1
	v_readlane_b32 s90, v13, 52
	v_readlane_b32 s91, v13, 53
	s_or_b64 exec, exec, s[90:91]
.LBB53_162:                             ;   in Loop: Header=BB53_5 Depth=1
	v_readlane_b32 s90, v13, 50
	v_readlane_b32 s91, v13, 51
	s_or_b64 exec, exec, s[90:91]
.LBB53_163:                             ;   in Loop: Header=BB53_5 Depth=1
	v_readlane_b32 s90, v13, 48
	v_readlane_b32 s91, v13, 49
	s_or_b64 exec, exec, s[90:91]
.LBB53_164:                             ;   in Loop: Header=BB53_5 Depth=1
	v_readlane_b32 s90, v13, 46
	v_readlane_b32 s91, v13, 47
	s_or_b64 exec, exec, s[90:91]
.LBB53_165:                             ;   in Loop: Header=BB53_5 Depth=1
	v_readlane_b32 s90, v13, 44
	v_readlane_b32 s91, v13, 45
	s_or_b64 exec, exec, s[90:91]
.LBB53_166:                             ;   in Loop: Header=BB53_5 Depth=1
	v_readlane_b32 s90, v13, 42
	v_readlane_b32 s91, v13, 43
	s_or_b64 exec, exec, s[90:91]
.LBB53_167:                             ;   in Loop: Header=BB53_5 Depth=1
	v_readlane_b32 s90, v13, 40
	v_readlane_b32 s91, v13, 41
	s_or_b64 exec, exec, s[90:91]
.LBB53_168:                             ;   in Loop: Header=BB53_5 Depth=1
	v_readlane_b32 s90, v13, 38
	v_readlane_b32 s91, v13, 39
	s_or_b64 exec, exec, s[90:91]
.LBB53_169:                             ;   in Loop: Header=BB53_5 Depth=1
	v_readlane_b32 s90, v13, 36
	v_readlane_b32 s91, v13, 37
	s_or_b64 exec, exec, s[90:91]
.LBB53_170:                             ;   in Loop: Header=BB53_5 Depth=1
	v_readlane_b32 s90, v13, 34
	v_readlane_b32 s91, v13, 35
	s_or_b64 exec, exec, s[90:91]
.LBB53_171:                             ;   in Loop: Header=BB53_5 Depth=1
	v_readlane_b32 s90, v13, 32
	v_readlane_b32 s91, v13, 33
	s_or_b64 exec, exec, s[90:91]
.LBB53_172:                             ;   in Loop: Header=BB53_5 Depth=1
	v_readlane_b32 s90, v13, 30
	v_readlane_b32 s91, v13, 31
	s_or_b64 exec, exec, s[90:91]
.LBB53_173:                             ;   in Loop: Header=BB53_5 Depth=1
	v_readlane_b32 s90, v13, 28
	v_readlane_b32 s91, v13, 29
	s_or_b64 exec, exec, s[90:91]
.LBB53_174:                             ;   in Loop: Header=BB53_5 Depth=1
	v_readlane_b32 s90, v13, 26
	v_readlane_b32 s91, v13, 27
	s_or_b64 exec, exec, s[90:91]
.LBB53_175:                             ;   in Loop: Header=BB53_5 Depth=1
	v_readlane_b32 s90, v13, 24
	v_readlane_b32 s91, v13, 25
	s_or_b64 exec, exec, s[90:91]
.LBB53_176:                             ;   in Loop: Header=BB53_5 Depth=1
	v_readlane_b32 s90, v13, 22
	v_readlane_b32 s91, v13, 23
	s_or_b64 exec, exec, s[90:91]
.LBB53_177:                             ;   in Loop: Header=BB53_5 Depth=1
	v_readlane_b32 s90, v13, 20
	v_readlane_b32 s91, v13, 21
	s_or_b64 exec, exec, s[90:91]
.LBB53_178:                             ;   in Loop: Header=BB53_5 Depth=1
	v_readlane_b32 s90, v13, 18
	v_readlane_b32 s91, v13, 19
	s_or_b64 exec, exec, s[90:91]
.LBB53_179:                             ;   in Loop: Header=BB53_5 Depth=1
	v_readlane_b32 s90, v13, 16
	v_readlane_b32 s91, v13, 17
	s_or_b64 exec, exec, s[90:91]
.LBB53_180:                             ;   in Loop: Header=BB53_5 Depth=1
	v_readlane_b32 s90, v13, 14
	v_readlane_b32 s91, v13, 15
	s_or_b64 exec, exec, s[90:91]
.LBB53_181:                             ;   in Loop: Header=BB53_5 Depth=1
	v_readlane_b32 s90, v13, 12
	v_readlane_b32 s91, v13, 13
	s_or_b64 exec, exec, s[90:91]
.LBB53_182:                             ;   in Loop: Header=BB53_5 Depth=1
	v_readlane_b32 s90, v13, 10
	v_readlane_b32 s91, v13, 11
	s_or_b64 exec, exec, s[90:91]
.LBB53_183:                             ;   in Loop: Header=BB53_5 Depth=1
	v_readlane_b32 s90, v13, 8
	v_readlane_b32 s91, v13, 9
	s_or_b64 exec, exec, s[90:91]
.LBB53_184:                             ;   in Loop: Header=BB53_5 Depth=1
	v_readlane_b32 s90, v13, 6
	v_readlane_b32 s91, v13, 7
	s_or_b64 exec, exec, s[90:91]
.LBB53_185:                             ;   in Loop: Header=BB53_5 Depth=1
	v_readlane_b32 s90, v13, 4
	v_readlane_b32 s91, v13, 5
	s_or_b64 exec, exec, s[90:91]
.LBB53_186:                             ;   in Loop: Header=BB53_5 Depth=1
	v_readlane_b32 s90, v13, 2
	v_readlane_b32 s91, v13, 3
	s_or_b64 exec, exec, s[90:91]
.LBB53_187:                             ;   in Loop: Header=BB53_5 Depth=1
	v_readlane_b32 s90, v13, 0
	v_readlane_b32 s91, v13, 1
	s_or_b64 exec, exec, s[90:91]
.LBB53_188:                             ;   in Loop: Header=BB53_5 Depth=1
	v_readlane_b32 s90, v14, 62
	v_readlane_b32 s91, v14, 63
	s_or_b64 exec, exec, s[90:91]
.LBB53_189:                             ;   in Loop: Header=BB53_5 Depth=1
	v_readlane_b32 s90, v14, 60
	v_readlane_b32 s91, v14, 61
	s_or_b64 exec, exec, s[90:91]
.LBB53_190:                             ;   in Loop: Header=BB53_5 Depth=1
	v_readlane_b32 s90, v14, 58
	v_readlane_b32 s91, v14, 59
	s_or_b64 exec, exec, s[90:91]
.LBB53_191:                             ;   in Loop: Header=BB53_5 Depth=1
	v_readlane_b32 s90, v14, 56
	v_readlane_b32 s91, v14, 57
	s_or_b64 exec, exec, s[90:91]
.LBB53_192:                             ;   in Loop: Header=BB53_5 Depth=1
	v_readlane_b32 s90, v14, 54
	v_readlane_b32 s91, v14, 55
	s_or_b64 exec, exec, s[90:91]
.LBB53_193:                             ;   in Loop: Header=BB53_5 Depth=1
	v_readlane_b32 s90, v14, 52
	v_readlane_b32 s91, v14, 53
	s_or_b64 exec, exec, s[90:91]
.LBB53_194:                             ;   in Loop: Header=BB53_5 Depth=1
	v_readlane_b32 s90, v14, 50
	v_readlane_b32 s91, v14, 51
	s_or_b64 exec, exec, s[90:91]
.LBB53_195:                             ;   in Loop: Header=BB53_5 Depth=1
	v_readlane_b32 s90, v14, 48
	v_readlane_b32 s91, v14, 49
	s_or_b64 exec, exec, s[90:91]
.LBB53_196:                             ;   in Loop: Header=BB53_5 Depth=1
	v_readlane_b32 s90, v14, 46
	v_readlane_b32 s91, v14, 47
	s_or_b64 exec, exec, s[90:91]
.LBB53_197:                             ;   in Loop: Header=BB53_5 Depth=1
	v_readlane_b32 s90, v14, 44
	v_readlane_b32 s91, v14, 45
	s_or_b64 exec, exec, s[90:91]
.LBB53_198:                             ;   in Loop: Header=BB53_5 Depth=1
	v_readlane_b32 s90, v14, 42
	v_readlane_b32 s91, v14, 43
	s_or_b64 exec, exec, s[90:91]
.LBB53_199:                             ;   in Loop: Header=BB53_5 Depth=1
	v_readlane_b32 s90, v14, 40
	v_readlane_b32 s91, v14, 41
	s_or_b64 exec, exec, s[90:91]
.LBB53_200:                             ;   in Loop: Header=BB53_5 Depth=1
	v_readlane_b32 s90, v14, 38
	v_readlane_b32 s91, v14, 39
	s_or_b64 exec, exec, s[90:91]
.LBB53_201:                             ;   in Loop: Header=BB53_5 Depth=1
	v_readlane_b32 s90, v14, 36
	v_readlane_b32 s91, v14, 37
	s_or_b64 exec, exec, s[90:91]
.LBB53_202:                             ;   in Loop: Header=BB53_5 Depth=1
	v_readlane_b32 s90, v14, 34
	v_readlane_b32 s91, v14, 35
	s_or_b64 exec, exec, s[90:91]
.LBB53_203:                             ;   in Loop: Header=BB53_5 Depth=1
	v_readlane_b32 s90, v14, 32
	v_readlane_b32 s91, v14, 33
	s_or_b64 exec, exec, s[90:91]
.LBB53_204:                             ;   in Loop: Header=BB53_5 Depth=1
	v_readlane_b32 s90, v14, 30
	v_readlane_b32 s91, v14, 31
	s_or_b64 exec, exec, s[90:91]
.LBB53_205:                             ;   in Loop: Header=BB53_5 Depth=1
	v_readlane_b32 s90, v14, 28
	v_readlane_b32 s91, v14, 29
	s_or_b64 exec, exec, s[90:91]
.LBB53_206:                             ;   in Loop: Header=BB53_5 Depth=1
	v_readlane_b32 s90, v14, 26
	v_readlane_b32 s91, v14, 27
	s_or_b64 exec, exec, s[90:91]
.LBB53_207:                             ;   in Loop: Header=BB53_5 Depth=1
	v_readlane_b32 s90, v14, 24
	v_readlane_b32 s91, v14, 25
	s_or_b64 exec, exec, s[90:91]
.LBB53_208:                             ;   in Loop: Header=BB53_5 Depth=1
	v_readlane_b32 s90, v14, 22
	v_readlane_b32 s91, v14, 23
	s_or_b64 exec, exec, s[90:91]
.LBB53_209:                             ;   in Loop: Header=BB53_5 Depth=1
	v_readlane_b32 s90, v14, 20
	v_readlane_b32 s91, v14, 21
	s_or_b64 exec, exec, s[90:91]
.LBB53_210:                             ;   in Loop: Header=BB53_5 Depth=1
	v_readlane_b32 s90, v14, 18
	v_readlane_b32 s91, v14, 19
	s_or_b64 exec, exec, s[90:91]
.LBB53_211:                             ;   in Loop: Header=BB53_5 Depth=1
	v_readlane_b32 s90, v14, 16
	v_readlane_b32 s91, v14, 17
	s_or_b64 exec, exec, s[90:91]
.LBB53_212:                             ;   in Loop: Header=BB53_5 Depth=1
	v_readlane_b32 s90, v14, 14
	v_readlane_b32 s91, v14, 15
	s_or_b64 exec, exec, s[90:91]
.LBB53_213:                             ;   in Loop: Header=BB53_5 Depth=1
	v_readlane_b32 s90, v14, 12
	v_readlane_b32 s91, v14, 13
	s_or_b64 exec, exec, s[90:91]
.LBB53_214:                             ;   in Loop: Header=BB53_5 Depth=1
	v_readlane_b32 s90, v14, 10
	v_readlane_b32 s91, v14, 11
	s_or_b64 exec, exec, s[90:91]
.LBB53_215:                             ;   in Loop: Header=BB53_5 Depth=1
	v_readlane_b32 s90, v14, 8
	v_readlane_b32 s91, v14, 9
	s_or_b64 exec, exec, s[90:91]
.LBB53_216:                             ;   in Loop: Header=BB53_5 Depth=1
	v_readlane_b32 s90, v14, 6
	v_readlane_b32 s91, v14, 7
	s_or_b64 exec, exec, s[90:91]
.LBB53_217:                             ;   in Loop: Header=BB53_5 Depth=1
	v_readlane_b32 s90, v14, 4
	v_readlane_b32 s91, v14, 5
	s_or_b64 exec, exec, s[90:91]
.LBB53_218:                             ;   in Loop: Header=BB53_5 Depth=1
	v_readlane_b32 s90, v14, 2
	v_readlane_b32 s91, v14, 3
	s_or_b64 exec, exec, s[90:91]
.LBB53_219:                             ;   in Loop: Header=BB53_5 Depth=1
	v_readlane_b32 s90, v14, 0
	v_readlane_b32 s91, v14, 1
	s_or_b64 exec, exec, s[90:91]
.LBB53_220:                             ;   in Loop: Header=BB53_5 Depth=1
	s_or_b64 exec, exec, s[88:89]
.LBB53_221:                             ;   in Loop: Header=BB53_5 Depth=1
	s_or_b64 exec, exec, s[86:87]
.LBB53_222:                             ;   in Loop: Header=BB53_5 Depth=1
	s_or_b64 exec, exec, s[84:85]
.LBB53_223:                             ;   in Loop: Header=BB53_5 Depth=1
	s_or_b64 exec, exec, s[82:83]
.LBB53_224:                             ;   in Loop: Header=BB53_5 Depth=1
	s_or_b64 exec, exec, s[80:81]
.LBB53_225:                             ;   in Loop: Header=BB53_5 Depth=1
	s_or_b64 exec, exec, s[78:79]
.LBB53_226:                             ;   in Loop: Header=BB53_5 Depth=1
	s_or_b64 exec, exec, s[76:77]
.LBB53_227:                             ;   in Loop: Header=BB53_5 Depth=1
	s_or_b64 exec, exec, s[74:75]
.LBB53_228:                             ;   in Loop: Header=BB53_5 Depth=1
	s_or_b64 exec, exec, s[72:73]
.LBB53_229:                             ;   in Loop: Header=BB53_5 Depth=1
	s_or_b64 exec, exec, s[70:71]
.LBB53_230:                             ;   in Loop: Header=BB53_5 Depth=1
	s_or_b64 exec, exec, s[68:69]
.LBB53_231:                             ;   in Loop: Header=BB53_5 Depth=1
	s_or_b64 exec, exec, s[66:67]
.LBB53_232:                             ;   in Loop: Header=BB53_5 Depth=1
	s_or_b64 exec, exec, s[64:65]
.LBB53_233:                             ;   in Loop: Header=BB53_5 Depth=1
	s_or_b64 exec, exec, s[62:63]
.LBB53_234:                             ;   in Loop: Header=BB53_5 Depth=1
	s_or_b64 exec, exec, s[60:61]
.LBB53_235:                             ;   in Loop: Header=BB53_5 Depth=1
	s_or_b64 exec, exec, s[58:59]
.LBB53_236:                             ;   in Loop: Header=BB53_5 Depth=1
	s_or_b64 exec, exec, s[56:57]
.LBB53_237:                             ;   in Loop: Header=BB53_5 Depth=1
	s_or_b64 exec, exec, s[54:55]
.LBB53_238:                             ;   in Loop: Header=BB53_5 Depth=1
	s_or_b64 exec, exec, s[52:53]
.LBB53_239:                             ;   in Loop: Header=BB53_5 Depth=1
	s_or_b64 exec, exec, s[50:51]
.LBB53_240:                             ;   in Loop: Header=BB53_5 Depth=1
	s_or_b64 exec, exec, s[48:49]
.LBB53_241:                             ;   in Loop: Header=BB53_5 Depth=1
	s_or_b64 exec, exec, s[46:47]
.LBB53_242:                             ;   in Loop: Header=BB53_5 Depth=1
	s_or_b64 exec, exec, s[44:45]
.LBB53_243:                             ;   in Loop: Header=BB53_5 Depth=1
	s_or_b64 exec, exec, s[42:43]
.LBB53_244:                             ;   in Loop: Header=BB53_5 Depth=1
	s_or_b64 exec, exec, s[40:41]
.LBB53_245:                             ;   in Loop: Header=BB53_5 Depth=1
	s_or_b64 exec, exec, s[38:39]
.LBB53_246:                             ;   in Loop: Header=BB53_5 Depth=1
	s_or_b64 exec, exec, s[36:37]
.LBB53_247:                             ;   in Loop: Header=BB53_5 Depth=1
	s_or_b64 exec, exec, s[34:35]
.LBB53_248:                             ;   in Loop: Header=BB53_5 Depth=1
	s_or_b64 exec, exec, s[30:31]
.LBB53_249:                             ;   in Loop: Header=BB53_5 Depth=1
	s_or_b64 exec, exec, s[28:29]
.LBB53_250:                             ;   in Loop: Header=BB53_5 Depth=1
	s_or_b64 exec, exec, s[26:27]
.LBB53_251:                             ;   in Loop: Header=BB53_5 Depth=1
	s_or_b64 exec, exec, s[24:25]
.LBB53_252:                             ;   in Loop: Header=BB53_5 Depth=1
	s_or_b64 exec, exec, s[22:23]
.LBB53_253:                             ;   in Loop: Header=BB53_5 Depth=1
	s_or_b64 exec, exec, s[20:21]
.LBB53_254:                             ;   in Loop: Header=BB53_5 Depth=1
	s_or_b64 exec, exec, s[18:19]
.LBB53_255:                             ;   in Loop: Header=BB53_5 Depth=1
	s_or_b64 exec, exec, s[16:17]
.LBB53_256:                             ;   in Loop: Header=BB53_5 Depth=1
	s_or_b64 exec, exec, s[14:15]
.LBB53_257:                             ;   in Loop: Header=BB53_5 Depth=1
	s_or_b64 exec, exec, s[8:9]
.LBB53_258:                             ;   in Loop: Header=BB53_5 Depth=1
	s_or_b64 exec, exec, s[2:3]
	v_and_b32_e32 v1, 0x60, v7
	v_add_u32_e32 v9, 32, v1
	v_xor_b32_e32 v1, 16, v7
	v_cmp_lt_i32_e32 vcc, v1, v9
	v_cndmask_b32_e32 v1, v7, v1, vcc
	v_lshlrev_b32_e32 v1, 2, v1
	ds_bpermute_b32 v3, v1, v4
	v_cmp_ne_u32_e32 vcc, 0, v4
	v_xor_b32_e32 v11, 1, v7
	s_waitcnt lgkmcnt(0)
	v_cmp_ne_u32_e64 s[2:3], 0, v3
	v_xor_b32_e32 v3, 8, v7
	s_and_b64 s[2:3], vcc, s[2:3]
	v_cmp_lt_i32_e32 vcc, v3, v9
	v_cndmask_b32_e32 v3, v7, v3, vcc
	v_cndmask_b32_e64 v4, 0, 1, s[2:3]
	v_lshlrev_b32_e32 v3, 2, v3
	ds_bpermute_b32 v4, v3, v4
	s_waitcnt lgkmcnt(0)
	v_cmp_ne_u32_e32 vcc, 0, v4
	v_xor_b32_e32 v4, 4, v7
	s_and_b64 s[2:3], vcc, s[2:3]
	v_cmp_lt_i32_e32 vcc, v4, v9
	v_cndmask_b32_e32 v4, v7, v4, vcc
	v_cndmask_b32_e64 v8, 0, 1, s[2:3]
	v_lshlrev_b32_e32 v4, 2, v4
	ds_bpermute_b32 v8, v4, v8
	s_waitcnt lgkmcnt(0)
	v_cmp_ne_u32_e32 vcc, 0, v8
	;; [unrolled: 9-line block ×3, first 2 shown]
	s_and_b64 s[2:3], vcc, s[2:3]
	v_cmp_lt_i32_e32 vcc, v11, v9
	v_cndmask_b32_e32 v9, v7, v11, vcc
	v_cndmask_b32_e64 v10, 0, 1, s[2:3]
	v_lshlrev_b32_e32 v9, 2, v9
	ds_bpermute_b32 v10, v9, v10
	s_and_saveexec_b64 s[8:9], s[0:1]
	s_cbranch_execz .LBB53_3
; %bb.259:                              ;   in Loop: Header=BB53_5 Depth=1
	s_waitcnt lgkmcnt(0)
	v_cmp_ne_u32_e32 vcc, 0, v10
	s_and_b64 s[2:3], vcc, s[2:3]
	v_cndmask_b32_e64 v10, 0, 1, s[2:3]
	ds_write_b32 v5, v10
	s_branch .LBB53_3
.LBB53_260:
	s_or_b64 exec, exec, s[4:5]
	v_cmp_eq_u32_e32 vcc, 0, v0
	s_and_saveexec_b64 s[0:1], vcc
	s_cbranch_execz .LBB53_262
; %bb.261:
	s_mul_i32 s0, s33, s7
	s_add_i32 s0, s0, s6
	s_ashr_i32 s1, s0, 31
	s_lshl_b64 s[0:1], s[0:1], 2
	s_add_u32 s0, s10, s0
	s_addc_u32 s1, s11, s1
	v_mov_b32_e32 v0, 0
	global_store_dword v0, v1, s[0:1]
.LBB53_262:
	s_endpgm
	.section	.rodata,"a",@progbits
	.p2align	6, 0x0
	.amdhsa_kernel _ZL25flash_attn_mask_to_KV_maxILi64EEvPK7__half2Piiii
		.amdhsa_group_segment_fixed_size 128
		.amdhsa_private_segment_fixed_size 0
		.amdhsa_kernarg_size 288
		.amdhsa_user_sgpr_count 6
		.amdhsa_user_sgpr_private_segment_buffer 1
		.amdhsa_user_sgpr_dispatch_ptr 0
		.amdhsa_user_sgpr_queue_ptr 0
		.amdhsa_user_sgpr_kernarg_segment_ptr 1
		.amdhsa_user_sgpr_dispatch_id 0
		.amdhsa_user_sgpr_flat_scratch_init 0
		.amdhsa_user_sgpr_private_segment_size 0
		.amdhsa_uses_dynamic_stack 0
		.amdhsa_system_sgpr_private_segment_wavefront_offset 0
		.amdhsa_system_sgpr_workgroup_id_x 1
		.amdhsa_system_sgpr_workgroup_id_y 1
		.amdhsa_system_sgpr_workgroup_id_z 0
		.amdhsa_system_sgpr_workgroup_info 0
		.amdhsa_system_vgpr_workitem_id 0
		.amdhsa_next_free_vgpr 15
		.amdhsa_next_free_sgpr 96
		.amdhsa_reserve_vcc 1
		.amdhsa_reserve_flat_scratch 0
		.amdhsa_float_round_mode_32 0
		.amdhsa_float_round_mode_16_64 0
		.amdhsa_float_denorm_mode_32 3
		.amdhsa_float_denorm_mode_16_64 3
		.amdhsa_dx10_clamp 1
		.amdhsa_ieee_mode 1
		.amdhsa_fp16_overflow 0
		.amdhsa_exception_fp_ieee_invalid_op 0
		.amdhsa_exception_fp_denorm_src 0
		.amdhsa_exception_fp_ieee_div_zero 0
		.amdhsa_exception_fp_ieee_overflow 0
		.amdhsa_exception_fp_ieee_underflow 0
		.amdhsa_exception_fp_ieee_inexact 0
		.amdhsa_exception_int_div_zero 0
	.end_amdhsa_kernel
	.section	.text._ZL25flash_attn_mask_to_KV_maxILi64EEvPK7__half2Piiii,"axG",@progbits,_ZL25flash_attn_mask_to_KV_maxILi64EEvPK7__half2Piiii,comdat
.Lfunc_end53:
	.size	_ZL25flash_attn_mask_to_KV_maxILi64EEvPK7__half2Piiii, .Lfunc_end53-_ZL25flash_attn_mask_to_KV_maxILi64EEvPK7__half2Piiii
                                        ; -- End function
	.set _ZL25flash_attn_mask_to_KV_maxILi64EEvPK7__half2Piiii.num_vgpr, 15
	.set _ZL25flash_attn_mask_to_KV_maxILi64EEvPK7__half2Piiii.num_agpr, 0
	.set _ZL25flash_attn_mask_to_KV_maxILi64EEvPK7__half2Piiii.numbered_sgpr, 96
	.set _ZL25flash_attn_mask_to_KV_maxILi64EEvPK7__half2Piiii.num_named_barrier, 0
	.set _ZL25flash_attn_mask_to_KV_maxILi64EEvPK7__half2Piiii.private_seg_size, 0
	.set _ZL25flash_attn_mask_to_KV_maxILi64EEvPK7__half2Piiii.uses_vcc, 1
	.set _ZL25flash_attn_mask_to_KV_maxILi64EEvPK7__half2Piiii.uses_flat_scratch, 0
	.set _ZL25flash_attn_mask_to_KV_maxILi64EEvPK7__half2Piiii.has_dyn_sized_stack, 0
	.set _ZL25flash_attn_mask_to_KV_maxILi64EEvPK7__half2Piiii.has_recursion, 0
	.set _ZL25flash_attn_mask_to_KV_maxILi64EEvPK7__half2Piiii.has_indirect_call, 0
	.section	.AMDGPU.csdata,"",@progbits
; Kernel info:
; codeLenInByte = 9768
; TotalNumSgprs: 100
; NumVgprs: 15
; ScratchSize: 0
; MemoryBound: 0
; FloatMode: 240
; IeeeMode: 1
; LDSByteSize: 128 bytes/workgroup (compile time only)
; SGPRBlocks: 12
; VGPRBlocks: 3
; NumSGPRsForWavesPerEU: 100
; NumVGPRsForWavesPerEU: 15
; Occupancy: 8
; WaveLimiterHint : 0
; COMPUTE_PGM_RSRC2:SCRATCH_EN: 0
; COMPUTE_PGM_RSRC2:USER_SGPR: 6
; COMPUTE_PGM_RSRC2:TRAP_HANDLER: 0
; COMPUTE_PGM_RSRC2:TGID_X_EN: 1
; COMPUTE_PGM_RSRC2:TGID_Y_EN: 1
; COMPUTE_PGM_RSRC2:TGID_Z_EN: 0
; COMPUTE_PGM_RSRC2:TIDIG_COMP_CNT: 0
	.section	.text._ZL33flash_attn_stream_k_fixup_uniformILi64ELi64ELi1EEvPfPK15HIP_vector_typeIfLj2EEiiiiiiS1_IjLj3EES5_S5_,"axG",@progbits,_ZL33flash_attn_stream_k_fixup_uniformILi64ELi64ELi1EEvPfPK15HIP_vector_typeIfLj2EEiiiiiiS1_IjLj3EES5_S5_,comdat
	.globl	_ZL33flash_attn_stream_k_fixup_uniformILi64ELi64ELi1EEvPfPK15HIP_vector_typeIfLj2EEiiiiiiS1_IjLj3EES5_S5_ ; -- Begin function _ZL33flash_attn_stream_k_fixup_uniformILi64ELi64ELi1EEvPfPK15HIP_vector_typeIfLj2EEiiiiiiS1_IjLj3EES5_S5_
	.p2align	8
	.type	_ZL33flash_attn_stream_k_fixup_uniformILi64ELi64ELi1EEvPfPK15HIP_vector_typeIfLj2EEiiiiiiS1_IjLj3EES5_S5_,@function
_ZL33flash_attn_stream_k_fixup_uniformILi64ELi64ELi1EEvPfPK15HIP_vector_typeIfLj2EEiiiiiiS1_IjLj3EES5_S5_: ; @_ZL33flash_attn_stream_k_fixup_uniformILi64ELi64ELi1EEvPfPK15HIP_vector_typeIfLj2EEiiiiiiS1_IjLj3EES5_S5_
; %bb.0:
	s_load_dwordx8 s[12:19], s[4:5], 0x1c
	s_load_dwordx2 s[10:11], s[4:5], 0x10
	s_load_dwordx4 s[0:3], s[4:5], 0x3c
	s_waitcnt lgkmcnt(0)
	s_mul_hi_u32 s9, s15, s6
	s_add_i32 s9, s6, s9
	s_lshr_b32 s9, s9, s16
	s_mul_i32 s15, s9, s17
	s_sub_i32 s15, s6, s15
	s_mul_hi_u32 s16, s15, s18
	s_add_i32 s16, s15, s16
	s_lshr_b32 s16, s16, s19
	s_mul_i32 s0, s16, s0
	s_sub_i32 s0, s15, s0
	;; [unrolled: 5-line block ×3, first 2 shown]
	s_lshl_b32 s0, s17, 6
	s_add_i32 s0, s0, s7
	s_cmp_lt_i32 s0, s10
	s_cselect_b64 s[0:1], -1, 0
	s_add_i32 s2, s15, s8
	s_cmp_lt_i32 s2, s13
	s_cselect_b64 s[2:3], -1, 0
	s_and_b64 s[0:1], s[0:1], s[2:3]
	s_andn2_b64 vcc, exec, s[0:1]
	s_cbranch_vccnz .LBB54_6
; %bb.1:
	s_load_dwordx4 s[0:3], s[4:5], 0x0
	s_mul_i32 s4, s9, s10
	s_add_i32 s4, s4, s7
	s_mul_i32 s4, s4, s11
	s_mul_i32 s16, s16, s13
	s_add_i32 s4, s4, s8
	s_add_i32 s4, s4, s16
	s_mul_i32 s5, s11, s17
	s_add_i32 s4, s4, s15
	s_lshl_b32 s5, s5, 12
	s_lshl_b32 s4, s4, 6
	s_add_i32 s5, s5, s4
	v_or_b32_e32 v1, s5, v0
	v_ashrrev_i32_e32 v2, 31, v1
	v_lshlrev_b64 v[1:2], 2, v[1:2]
	s_waitcnt lgkmcnt(0)
	v_mov_b32_e32 v3, s1
	v_add_co_u32_e32 v1, vcc, s0, v1
	v_addc_co_u32_e32 v2, vcc, v3, v2, vcc
	global_load_dword v8, v[1:2], off
	s_add_i32 s4, s7, s8
	s_mul_i32 s7, s14, s6
	s_add_i32 s5, s7, s14
	s_lshl_b32 s0, s5, 6
	s_add_i32 s0, s4, s0
	s_sub_i32 s0, s0, 64
	s_ashr_i32 s1, s0, 31
	s_lshl_b64 s[0:1], s[0:1], 3
	s_add_u32 s0, s2, s0
	s_addc_u32 s1, s3, s1
	s_load_dword s10, s[0:1], 0x4
	s_add_i32 s8, s5, -2
	s_cmp_lt_i32 s8, s7
	s_cbranch_scc1 .LBB54_4
; %bb.2:
	s_lshl_b32 s8, s12, 8
	s_ashr_i32 s9, s8, 31
	s_lshl_b64 s[8:9], s[8:9], 2
	s_add_u32 s8, s2, s8
	s_addc_u32 s11, s3, s9
	s_add_i32 s6, s6, 1
	s_add_i32 s9, s5, -1
	s_mul_i32 s5, s14, s6
	s_load_dword s0, s[0:1], 0x0
	s_lshl_b32 s1, s4, 6
	s_lshl_b32 s6, s5, 12
	s_add_i32 s1, s1, s6
	v_or_b32_e32 v0, s1, v0
	s_lshl_b32 s1, s5, 6
	s_add_i32 s1, s4, s1
	s_lshl_b32 s4, s12, 6
	s_add_i32 s1, s1, s4
	v_add_u32_e32 v3, 0xffffe000, v0
	s_add_i32 s4, s1, 0xffffff80
	s_waitcnt lgkmcnt(0)
	v_mov_b32_e32 v7, s10
	v_mov_b32_e32 v6, s0
	;; [unrolled: 1-line block ×3, first 2 shown]
	s_mov_b32 s6, 0x3fb8aa3b
	s_mov_b32 s10, 0xc2ce8ed0
	;; [unrolled: 1-line block ×3, first 2 shown]
	v_mov_b32_e32 v5, 0x7f800000
	s_mov_b32 s12, 0xc1a00000
.LBB54_3:                               ; =>This Inner Loop Header: Depth=1
	v_ashrrev_i32_e32 v4, 31, v3
	v_lshlrev_b64 v[9:10], 2, v[3:4]
	s_ashr_i32 s5, s4, 31
	v_add_co_u32_e32 v9, vcc, s8, v9
	v_addc_co_u32_e32 v10, vcc, v0, v10, vcc
	global_load_dword v4, v[9:10], off
	s_lshl_b64 s[0:1], s[4:5], 3
	s_add_u32 s0, s2, s0
	s_addc_u32 s1, s3, s1
	s_load_dwordx2 s[14:15], s[0:1], 0x0
	s_waitcnt vmcnt(1)
	v_mov_b32_e32 v9, v8
	v_max_f32_e32 v8, v6, v6
	v_mov_b32_e32 v10, v7
	s_add_i32 s9, s9, -1
	s_waitcnt lgkmcnt(0)
	v_max_f32_e64 v7, s14, s14
	v_max_f32_e32 v7, v8, v7
	v_sub_f32_e32 v11, s14, v7
	v_sub_f32_e32 v8, v6, v7
	v_mul_f32_e32 v12, 0x3fb8aa3b, v11
	v_mov_b32_e32 v6, v7
	v_mul_f32_e32 v7, 0x3fb8aa3b, v8
	v_fma_f32 v15, v11, s6, -v12
	v_rndne_f32_e32 v16, v12
	v_fma_f32 v13, v8, s6, -v7
	v_rndne_f32_e32 v14, v7
	v_fmac_f32_e32 v15, 0x32a5705f, v11
	v_sub_f32_e32 v12, v12, v16
	v_fmac_f32_e32 v13, 0x32a5705f, v8
	v_sub_f32_e32 v7, v7, v14
	v_add_f32_e32 v12, v12, v15
	v_cvt_i32_f32_e32 v16, v16
	v_add_f32_e32 v7, v7, v13
	v_exp_f32_e32 v12, v12
	v_cvt_i32_f32_e32 v14, v14
	v_exp_f32_e32 v7, v7
	v_cmp_ngt_f32_e32 vcc, s10, v11
	v_ldexp_f32 v12, v12, v16
	v_cmp_ngt_f32_e64 s[0:1], s10, v8
	v_ldexp_f32 v7, v7, v14
	v_cndmask_b32_e32 v12, 0, v12, vcc
	v_cmp_nlt_f32_e32 vcc, s11, v11
	v_cndmask_b32_e64 v7, 0, v7, s[0:1]
	v_cmp_nlt_f32_e64 s[0:1], s11, v8
	v_cndmask_b32_e32 v12, v5, v12, vcc
	v_cmp_le_f32_e32 vcc, s12, v11
	v_cndmask_b32_e64 v7, v5, v7, s[0:1]
	v_cmp_le_f32_e64 s[0:1], s12, v8
	v_cndmask_b32_e32 v8, 0, v12, vcc
	s_sub_i32 s4, s4, 64
	v_cndmask_b32_e64 v11, 0, v7, s[0:1]
	v_mul_f32_e32 v7, s15, v8
	v_add_u32_e32 v3, 0xfffff000, v3
	s_cmp_le_i32 s9, s7
	v_fmac_f32_e32 v7, v10, v11
	s_waitcnt vmcnt(0)
	v_mul_f32_e32 v8, v4, v8
	v_fmac_f32_e32 v8, v9, v11
	s_cbranch_scc0 .LBB54_3
	s_branch .LBB54_5
.LBB54_4:
	s_waitcnt lgkmcnt(0)
	v_mov_b32_e32 v7, s10
.LBB54_5:
	s_waitcnt vmcnt(0)
	v_div_scale_f32 v0, s[0:1], v7, v7, v8
	v_div_scale_f32 v3, vcc, v8, v7, v8
	v_rcp_f32_e32 v4, v0
	v_fma_f32 v5, -v0, v4, 1.0
	v_fmac_f32_e32 v4, v5, v4
	v_mul_f32_e32 v5, v3, v4
	v_fma_f32 v6, -v0, v5, v3
	v_fmac_f32_e32 v5, v6, v4
	v_fma_f32 v0, -v0, v5, v3
	v_div_fmas_f32 v0, v0, v4, v5
	v_div_fixup_f32 v0, v0, v7, v8
	global_store_dword v[1:2], v0, off
.LBB54_6:
	s_endpgm
	.section	.rodata,"a",@progbits
	.p2align	6, 0x0
	.amdhsa_kernel _ZL33flash_attn_stream_k_fixup_uniformILi64ELi64ELi1EEvPfPK15HIP_vector_typeIfLj2EEiiiiiiS1_IjLj3EES5_S5_
		.amdhsa_group_segment_fixed_size 0
		.amdhsa_private_segment_fixed_size 0
		.amdhsa_kernarg_size 76
		.amdhsa_user_sgpr_count 6
		.amdhsa_user_sgpr_private_segment_buffer 1
		.amdhsa_user_sgpr_dispatch_ptr 0
		.amdhsa_user_sgpr_queue_ptr 0
		.amdhsa_user_sgpr_kernarg_segment_ptr 1
		.amdhsa_user_sgpr_dispatch_id 0
		.amdhsa_user_sgpr_flat_scratch_init 0
		.amdhsa_user_sgpr_private_segment_size 0
		.amdhsa_uses_dynamic_stack 0
		.amdhsa_system_sgpr_private_segment_wavefront_offset 0
		.amdhsa_system_sgpr_workgroup_id_x 1
		.amdhsa_system_sgpr_workgroup_id_y 1
		.amdhsa_system_sgpr_workgroup_id_z 1
		.amdhsa_system_sgpr_workgroup_info 0
		.amdhsa_system_vgpr_workitem_id 0
		.amdhsa_next_free_vgpr 17
		.amdhsa_next_free_sgpr 20
		.amdhsa_reserve_vcc 1
		.amdhsa_reserve_flat_scratch 0
		.amdhsa_float_round_mode_32 0
		.amdhsa_float_round_mode_16_64 0
		.amdhsa_float_denorm_mode_32 3
		.amdhsa_float_denorm_mode_16_64 3
		.amdhsa_dx10_clamp 1
		.amdhsa_ieee_mode 1
		.amdhsa_fp16_overflow 0
		.amdhsa_exception_fp_ieee_invalid_op 0
		.amdhsa_exception_fp_denorm_src 0
		.amdhsa_exception_fp_ieee_div_zero 0
		.amdhsa_exception_fp_ieee_overflow 0
		.amdhsa_exception_fp_ieee_underflow 0
		.amdhsa_exception_fp_ieee_inexact 0
		.amdhsa_exception_int_div_zero 0
	.end_amdhsa_kernel
	.section	.text._ZL33flash_attn_stream_k_fixup_uniformILi64ELi64ELi1EEvPfPK15HIP_vector_typeIfLj2EEiiiiiiS1_IjLj3EES5_S5_,"axG",@progbits,_ZL33flash_attn_stream_k_fixup_uniformILi64ELi64ELi1EEvPfPK15HIP_vector_typeIfLj2EEiiiiiiS1_IjLj3EES5_S5_,comdat
.Lfunc_end54:
	.size	_ZL33flash_attn_stream_k_fixup_uniformILi64ELi64ELi1EEvPfPK15HIP_vector_typeIfLj2EEiiiiiiS1_IjLj3EES5_S5_, .Lfunc_end54-_ZL33flash_attn_stream_k_fixup_uniformILi64ELi64ELi1EEvPfPK15HIP_vector_typeIfLj2EEiiiiiiS1_IjLj3EES5_S5_
                                        ; -- End function
	.set _ZL33flash_attn_stream_k_fixup_uniformILi64ELi64ELi1EEvPfPK15HIP_vector_typeIfLj2EEiiiiiiS1_IjLj3EES5_S5_.num_vgpr, 17
	.set _ZL33flash_attn_stream_k_fixup_uniformILi64ELi64ELi1EEvPfPK15HIP_vector_typeIfLj2EEiiiiiiS1_IjLj3EES5_S5_.num_agpr, 0
	.set _ZL33flash_attn_stream_k_fixup_uniformILi64ELi64ELi1EEvPfPK15HIP_vector_typeIfLj2EEiiiiiiS1_IjLj3EES5_S5_.numbered_sgpr, 20
	.set _ZL33flash_attn_stream_k_fixup_uniformILi64ELi64ELi1EEvPfPK15HIP_vector_typeIfLj2EEiiiiiiS1_IjLj3EES5_S5_.num_named_barrier, 0
	.set _ZL33flash_attn_stream_k_fixup_uniformILi64ELi64ELi1EEvPfPK15HIP_vector_typeIfLj2EEiiiiiiS1_IjLj3EES5_S5_.private_seg_size, 0
	.set _ZL33flash_attn_stream_k_fixup_uniformILi64ELi64ELi1EEvPfPK15HIP_vector_typeIfLj2EEiiiiiiS1_IjLj3EES5_S5_.uses_vcc, 1
	.set _ZL33flash_attn_stream_k_fixup_uniformILi64ELi64ELi1EEvPfPK15HIP_vector_typeIfLj2EEiiiiiiS1_IjLj3EES5_S5_.uses_flat_scratch, 0
	.set _ZL33flash_attn_stream_k_fixup_uniformILi64ELi64ELi1EEvPfPK15HIP_vector_typeIfLj2EEiiiiiiS1_IjLj3EES5_S5_.has_dyn_sized_stack, 0
	.set _ZL33flash_attn_stream_k_fixup_uniformILi64ELi64ELi1EEvPfPK15HIP_vector_typeIfLj2EEiiiiiiS1_IjLj3EES5_S5_.has_recursion, 0
	.set _ZL33flash_attn_stream_k_fixup_uniformILi64ELi64ELi1EEvPfPK15HIP_vector_typeIfLj2EEiiiiiiS1_IjLj3EES5_S5_.has_indirect_call, 0
	.section	.AMDGPU.csdata,"",@progbits
; Kernel info:
; codeLenInByte = 840
; TotalNumSgprs: 24
; NumVgprs: 17
; ScratchSize: 0
; MemoryBound: 0
; FloatMode: 240
; IeeeMode: 1
; LDSByteSize: 0 bytes/workgroup (compile time only)
; SGPRBlocks: 2
; VGPRBlocks: 4
; NumSGPRsForWavesPerEU: 24
; NumVGPRsForWavesPerEU: 17
; Occupancy: 10
; WaveLimiterHint : 0
; COMPUTE_PGM_RSRC2:SCRATCH_EN: 0
; COMPUTE_PGM_RSRC2:USER_SGPR: 6
; COMPUTE_PGM_RSRC2:TRAP_HANDLER: 0
; COMPUTE_PGM_RSRC2:TGID_X_EN: 1
; COMPUTE_PGM_RSRC2:TGID_Y_EN: 1
; COMPUTE_PGM_RSRC2:TGID_Z_EN: 1
; COMPUTE_PGM_RSRC2:TIDIG_COMP_CNT: 0
	.section	.text._ZL33flash_attn_stream_k_fixup_generalILi64ELi64ELi1EEvPfPK15HIP_vector_typeIfLj2EEiiiiS1_IjLj3EES5_S5_S5_,"axG",@progbits,_ZL33flash_attn_stream_k_fixup_generalILi64ELi64ELi1EEvPfPK15HIP_vector_typeIfLj2EEiiiiS1_IjLj3EES5_S5_S5_,comdat
	.globl	_ZL33flash_attn_stream_k_fixup_generalILi64ELi64ELi1EEvPfPK15HIP_vector_typeIfLj2EEiiiiS1_IjLj3EES5_S5_S5_ ; -- Begin function _ZL33flash_attn_stream_k_fixup_generalILi64ELi64ELi1EEvPfPK15HIP_vector_typeIfLj2EEiiiiS1_IjLj3EES5_S5_S5_
	.p2align	8
	.type	_ZL33flash_attn_stream_k_fixup_generalILi64ELi64ELi1EEvPfPK15HIP_vector_typeIfLj2EEiiiiS1_IjLj3EES5_S5_S5_,@function
_ZL33flash_attn_stream_k_fixup_generalILi64ELi64ELi1EEvPfPK15HIP_vector_typeIfLj2EEiiiiS1_IjLj3EES5_S5_S5_: ; @_ZL33flash_attn_stream_k_fixup_generalILi64ELi64ELi1EEvPfPK15HIP_vector_typeIfLj2EEiiiiS1_IjLj3EES5_S5_S5_
; %bb.0:
	s_load_dwordx4 s[0:3], s[4:5], 0x10
	s_load_dword s22, s[4:5], 0x50
	s_mov_b32 s12, 0
	s_waitcnt lgkmcnt(0)
	s_mul_hi_i32 s13, s3, s6
	s_cmp_lg_u64 s[12:13], 0
	s_mul_i32 s9, s3, s6
	s_cbranch_scc0 .LBB55_20
; %bb.1:
	s_add_u32 s10, s22, 0
	s_addc_u32 s11, 0, 0
	s_xor_b64 s[10:11], s[10:11], 0
	v_cvt_f32_u32_e32 v1, s10
	v_cvt_f32_u32_e32 v2, s11
	s_sub_u32 s12, 0, s10
	s_subb_u32 s18, 0, s11
	v_madmk_f32 v1, v2, 0x4f800000, v1
	v_rcp_f32_e32 v1, v1
	v_mul_f32_e32 v1, 0x5f7ffffc, v1
	v_mul_f32_e32 v2, 0x2f800000, v1
	v_trunc_f32_e32 v2, v2
	v_madmk_f32 v1, v2, 0xcf800000, v1
	v_cvt_u32_f32_e32 v2, v2
	v_cvt_u32_f32_e32 v1, v1
	v_readfirstlane_b32 s19, v2
	v_readfirstlane_b32 s14, v1
	s_mul_i32 s15, s12, s19
	s_mul_hi_u32 s21, s12, s14
	s_mul_i32 s20, s18, s14
	s_add_i32 s15, s21, s15
	s_add_i32 s15, s15, s20
	s_mul_i32 s23, s12, s14
	s_mul_i32 s21, s14, s15
	s_mul_hi_u32 s24, s14, s23
	s_mul_hi_u32 s20, s14, s15
	s_add_u32 s21, s24, s21
	s_addc_u32 s20, 0, s20
	s_mul_hi_u32 s25, s19, s23
	s_mul_i32 s23, s19, s23
	s_add_u32 s21, s21, s23
	s_mul_hi_u32 s24, s19, s15
	s_addc_u32 s20, s20, s25
	s_addc_u32 s21, s24, 0
	s_mul_i32 s15, s19, s15
	s_add_u32 s15, s20, s15
	s_addc_u32 s20, 0, s21
	s_add_u32 s21, s14, s15
	s_cselect_b64 s[14:15], -1, 0
	s_cmp_lg_u64 s[14:15], 0
	s_addc_u32 s19, s19, s20
	s_mul_i32 s14, s12, s19
	s_mul_hi_u32 s15, s12, s21
	s_add_i32 s14, s15, s14
	s_mul_i32 s18, s18, s21
	s_add_i32 s14, s14, s18
	s_mul_i32 s12, s12, s21
	s_mul_hi_u32 s18, s19, s12
	s_mul_i32 s20, s19, s12
	s_mul_i32 s24, s21, s14
	s_mul_hi_u32 s12, s21, s12
	s_mul_hi_u32 s23, s21, s14
	s_add_u32 s12, s12, s24
	s_addc_u32 s23, 0, s23
	s_add_u32 s12, s12, s20
	s_mul_hi_u32 s15, s19, s14
	s_addc_u32 s12, s23, s18
	s_addc_u32 s15, s15, 0
	s_mul_i32 s14, s19, s14
	s_add_u32 s12, s12, s14
	s_addc_u32 s18, 0, s15
	s_add_u32 s20, s21, s12
	s_cselect_b64 s[14:15], -1, 0
	s_cmp_lg_u64 s[14:15], 0
	s_addc_u32 s18, s19, s18
	s_ashr_i32 s14, s13, 31
	s_add_u32 s12, s9, s14
	s_mov_b32 s15, s14
	s_addc_u32 s13, s13, s14
	s_xor_b64 s[12:13], s[12:13], s[14:15]
	s_mul_i32 s21, s12, s18
	s_mul_hi_u32 s23, s12, s20
	s_mul_hi_u32 s19, s12, s18
	s_add_u32 s21, s23, s21
	s_addc_u32 s19, 0, s19
	s_mul_hi_u32 s24, s13, s20
	s_mul_i32 s20, s13, s20
	s_add_u32 s20, s21, s20
	s_mul_hi_u32 s23, s13, s18
	s_addc_u32 s19, s19, s24
	s_addc_u32 s20, s23, 0
	s_mul_i32 s18, s13, s18
	s_add_u32 s23, s19, s18
	s_addc_u32 s24, 0, s20
	s_mul_i32 s18, s10, s24
	s_mul_hi_u32 s19, s10, s23
	s_add_i32 s18, s19, s18
	s_mul_i32 s19, s11, s23
	s_add_i32 s25, s18, s19
	s_sub_i32 s20, s13, s25
	s_mul_i32 s18, s10, s23
	s_sub_u32 s12, s12, s18
	s_cselect_b64 s[18:19], -1, 0
	s_cmp_lg_u64 s[18:19], 0
	s_subb_u32 s26, s20, s11
	s_sub_u32 s27, s12, s10
	s_cselect_b64 s[20:21], -1, 0
	s_cmp_lg_u64 s[20:21], 0
	s_subb_u32 s20, s26, 0
	s_cmp_ge_u32 s20, s11
	s_cselect_b32 s21, -1, 0
	s_cmp_ge_u32 s27, s10
	s_cselect_b32 s26, -1, 0
	s_cmp_eq_u32 s20, s11
	s_cselect_b32 s20, s26, s21
	s_add_u32 s21, s23, 1
	s_addc_u32 s26, s24, 0
	s_add_u32 s27, s23, 2
	s_addc_u32 s28, s24, 0
	s_cmp_lg_u32 s20, 0
	s_cselect_b32 s20, s27, s21
	s_cselect_b32 s21, s28, s26
	s_cmp_lg_u64 s[18:19], 0
	s_subb_u32 s13, s13, s25
	s_cmp_ge_u32 s13, s11
	s_cselect_b32 s18, -1, 0
	s_cmp_ge_u32 s12, s10
	s_cselect_b32 s10, -1, 0
	s_cmp_eq_u32 s13, s11
	s_cselect_b32 s10, s10, s18
	s_cmp_lg_u32 s10, 0
	s_cselect_b32 s11, s21, s24
	s_cselect_b32 s10, s20, s23
	s_xor_b64 s[12:13], s[14:15], 0
	s_xor_b64 s[10:11], s[10:11], s[12:13]
	s_sub_u32 s10, s10, s12
	s_load_dwordx4 s[12:15], s[4:5], 0x44
	s_cbranch_execnz .LBB55_3
.LBB55_2:
	v_cvt_f32_u32_e32 v1, s22
	s_sub_i32 s10, 0, s22
	v_rcp_iflag_f32_e32 v1, v1
	v_mul_f32_e32 v1, 0x4f7ffffe, v1
	v_cvt_u32_f32_e32 v1, v1
	v_readfirstlane_b32 s11, v1
	s_mul_i32 s10, s10, s11
	s_mul_hi_u32 s10, s11, s10
	s_add_i32 s11, s11, s10
	s_mul_hi_u32 s10, s9, s11
	s_waitcnt lgkmcnt(0)
	s_mul_i32 s15, s10, s22
	s_sub_i32 s9, s9, s15
	s_add_i32 s11, s10, 1
	s_sub_i32 s15, s9, s22
	s_cmp_ge_u32 s9, s22
	s_cselect_b32 s10, s11, s10
	s_cselect_b32 s9, s15, s9
	s_add_i32 s11, s10, 1
	s_cmp_ge_u32 s9, s22
	s_cselect_b32 s10, s11, s10
.LBB55_3:
	s_add_i32 s9, s6, 1
	s_mul_hi_i32 s21, s3, s9
	s_mov_b32 s20, 0
	s_cmp_lg_u64 s[20:21], 0
	s_mul_i32 s9, s3, s9
	s_cbranch_scc0 .LBB55_21
; %bb.4:
	s_add_u32 s16, s22, 0
	s_addc_u32 s17, 0, 0
	s_xor_b64 s[18:19], s[16:17], 0
	v_cvt_f32_u32_e32 v1, s18
	v_cvt_f32_u32_e32 v2, s19
	s_sub_u32 s11, 0, s18
	s_waitcnt lgkmcnt(0)
	s_subb_u32 s15, 0, s19
	v_madmk_f32 v1, v2, 0x4f800000, v1
	v_rcp_f32_e32 v1, v1
	v_mul_f32_e32 v1, 0x5f7ffffc, v1
	v_mul_f32_e32 v2, 0x2f800000, v1
	v_trunc_f32_e32 v2, v2
	v_madmk_f32 v1, v2, 0xcf800000, v1
	v_cvt_u32_f32_e32 v2, v2
	v_cvt_u32_f32_e32 v1, v1
	v_readfirstlane_b32 s20, v2
	v_readfirstlane_b32 s23, v1
	s_mul_i32 s24, s11, s20
	s_mul_hi_u32 s26, s11, s23
	s_mul_i32 s25, s15, s23
	s_add_i32 s24, s26, s24
	s_add_i32 s24, s24, s25
	s_mul_i32 s27, s11, s23
	s_mul_i32 s26, s23, s24
	s_mul_hi_u32 s28, s23, s27
	s_mul_hi_u32 s25, s23, s24
	s_add_u32 s26, s28, s26
	s_addc_u32 s25, 0, s25
	s_mul_hi_u32 s29, s20, s27
	s_mul_i32 s27, s20, s27
	s_add_u32 s26, s26, s27
	s_mul_hi_u32 s28, s20, s24
	s_addc_u32 s25, s25, s29
	s_addc_u32 s26, s28, 0
	s_mul_i32 s24, s20, s24
	s_add_u32 s24, s25, s24
	s_addc_u32 s26, 0, s26
	s_add_u32 s23, s23, s24
	s_cselect_b64 s[24:25], -1, 0
	s_cmp_lg_u64 s[24:25], 0
	s_addc_u32 s20, s20, s26
	s_mul_i32 s24, s11, s20
	s_mul_hi_u32 s25, s11, s23
	s_add_i32 s24, s25, s24
	s_mul_i32 s15, s15, s23
	s_add_i32 s24, s24, s15
	s_mul_i32 s11, s11, s23
	s_mul_hi_u32 s25, s20, s11
	s_mul_i32 s26, s20, s11
	s_mul_i32 s28, s23, s24
	s_mul_hi_u32 s11, s23, s11
	s_mul_hi_u32 s27, s23, s24
	s_add_u32 s11, s11, s28
	s_addc_u32 s27, 0, s27
	s_add_u32 s11, s11, s26
	s_mul_hi_u32 s15, s20, s24
	s_addc_u32 s11, s27, s25
	s_addc_u32 s15, s15, 0
	s_mul_i32 s24, s20, s24
	s_add_u32 s11, s11, s24
	s_addc_u32 s15, 0, s15
	s_add_u32 s11, s23, s11
	s_cselect_b64 s[24:25], -1, 0
	s_cmp_lg_u64 s[24:25], 0
	s_addc_u32 s15, s20, s15
	s_ashr_i32 s24, s21, 31
	s_add_u32 s20, s9, s24
	s_mov_b32 s25, s24
	s_addc_u32 s21, s21, s24
	s_xor_b64 s[20:21], s[20:21], s[24:25]
	s_mul_i32 s26, s20, s15
	s_mul_hi_u32 s27, s20, s11
	s_mul_hi_u32 s23, s20, s15
	s_add_u32 s26, s27, s26
	s_addc_u32 s23, 0, s23
	s_mul_hi_u32 s28, s21, s11
	s_mul_i32 s11, s21, s11
	s_add_u32 s11, s26, s11
	s_mul_hi_u32 s27, s21, s15
	s_addc_u32 s11, s23, s28
	s_addc_u32 s23, s27, 0
	s_mul_i32 s15, s21, s15
	s_add_u32 s11, s11, s15
	s_addc_u32 s15, 0, s23
	s_mul_i32 s23, s18, s15
	s_mul_hi_u32 s26, s18, s11
	s_add_i32 s23, s26, s23
	s_mul_i32 s26, s19, s11
	s_add_i32 s23, s23, s26
	s_sub_i32 s28, s21, s23
	s_mul_i32 s26, s18, s11
	s_sub_u32 s20, s20, s26
	s_cselect_b64 s[26:27], -1, 0
	s_cmp_lg_u64 s[26:27], 0
	s_subb_u32 s30, s28, s19
	s_sub_u32 s31, s20, s18
	s_cselect_b64 s[28:29], -1, 0
	s_cmp_lg_u64 s[28:29], 0
	s_subb_u32 s28, s30, 0
	s_cmp_ge_u32 s28, s19
	s_cselect_b32 s29, -1, 0
	s_cmp_ge_u32 s31, s18
	s_cselect_b32 s30, -1, 0
	s_cmp_eq_u32 s28, s19
	s_cselect_b32 s28, s30, s29
	s_add_u32 s29, s11, 1
	s_addc_u32 s30, s15, 0
	s_add_u32 s31, s11, 2
	s_addc_u32 s33, s15, 0
	s_cmp_lg_u32 s28, 0
	s_cselect_b32 s28, s31, s29
	s_cselect_b32 s29, s33, s30
	s_cmp_lg_u64 s[26:27], 0
	s_subb_u32 s21, s21, s23
	s_cmp_ge_u32 s21, s19
	s_cselect_b32 s23, -1, 0
	s_cmp_ge_u32 s20, s18
	s_cselect_b32 s18, -1, 0
	s_cmp_eq_u32 s21, s19
	s_cselect_b32 s18, s18, s23
	s_cmp_lg_u32 s18, 0
	s_cselect_b32 s19, s29, s15
	s_cselect_b32 s18, s28, s11
	s_xor_b64 s[20:21], s[24:25], 0
	s_xor_b64 s[18:19], s[18:19], s[20:21]
	s_sub_u32 s18, s18, s20
	s_cbranch_execnz .LBB55_6
.LBB55_5:
	v_cvt_f32_u32_e32 v1, s22
	s_sub_i32 s11, 0, s22
	v_rcp_iflag_f32_e32 v1, v1
	v_mul_f32_e32 v1, 0x4f7ffffe, v1
	v_cvt_u32_f32_e32 v1, v1
	s_waitcnt lgkmcnt(0)
	v_readfirstlane_b32 s15, v1
	s_mul_i32 s11, s11, s15
	s_mul_hi_u32 s11, s15, s11
	s_add_i32 s15, s15, s11
	s_mul_hi_u32 s11, s9, s15
	s_mul_i32 s16, s11, s22
	s_sub_i32 s9, s9, s16
	s_add_i32 s15, s11, 1
	s_sub_i32 s16, s9, s22
	s_cmp_ge_u32 s9, s22
	s_cselect_b32 s11, s15, s11
	s_cselect_b32 s9, s16, s9
	s_add_i32 s15, s11, 1
	s_cmp_ge_u32 s9, s22
	s_cselect_b32 s18, s15, s11
.LBB55_6:
	s_cmp_eq_u32 s10, s18
	s_waitcnt lgkmcnt(0)
	s_mul_hi_u32 s9, s10, s12
	s_cselect_b64 s[16:17], -1, 0
	s_add_i32 s9, s9, s10
	s_lshr_b32 s11, s9, s13
	s_mul_i32 s9, s11, s14
	s_cmp_eq_u32 s9, s10
	s_mul_hi_u32 s9, s18, s12
	s_cselect_b64 s[20:21], -1, 0
	s_add_i32 s9, s9, s18
	s_lshr_b32 s9, s9, s13
	s_cmp_eq_u32 s11, s9
	s_mul_i32 s9, s9, s14
	s_cselect_b64 s[24:25], -1, 0
	s_cmp_lg_u32 s9, s18
	s_cselect_b64 s[18:19], -1, 0
	s_and_b64 s[18:19], s[24:25], s[18:19]
	s_or_b64 s[16:17], s[16:17], s[20:21]
	s_or_b64 s[16:17], s[16:17], s[18:19]
	s_and_b64 vcc, exec, s[16:17]
	s_cbranch_vccnz .LBB55_23
; %bb.7:
	s_load_dwordx8 s[24:31], s[4:5], 0x20
	s_load_dword s15, s[4:5], 0x40
	s_waitcnt lgkmcnt(0)
	s_mul_hi_u32 s9, s10, s24
	s_add_i32 s9, s9, s10
	s_lshr_b32 s9, s9, s25
	s_mul_i32 s16, s9, s26
	s_sub_i32 s16, s10, s16
	s_mul_hi_u32 s17, s16, s27
	s_add_i32 s17, s16, s17
	s_lshr_b32 s24, s17, s28
	s_mul_i32 s17, s24, s29
	s_sub_i32 s16, s16, s17
	;; [unrolled: 5-line block ×3, first 2 shown]
	s_mul_hi_u32 s16, s15, s12
	s_add_i32 s15, s15, s16
	s_lshr_b32 s25, s15, s13
	s_lshl_b32 s15, s25, 6
	s_add_i32 s15, s15, s7
	s_cmp_lt_i32 s15, s0
	s_cselect_b64 s[16:17], -1, 0
	s_add_i32 s15, s23, s8
	s_cmp_lt_i32 s15, s2
	s_cselect_b64 s[18:19], -1, 0
	s_and_b64 s[16:17], s[16:17], s[18:19]
	s_andn2_b64 vcc, exec, s[16:17]
	s_cbranch_vccnz .LBB55_23
; %bb.8:
	s_load_dwordx4 s[16:19], s[4:5], 0x0
	s_mov_b32 s4, 0
	s_lshl_b32 s20, s22, 8
	s_mov_b32 s21, s4
	s_add_i32 s15, s7, s8
	s_lshl_b64 s[20:21], s[20:21], 2
	s_waitcnt lgkmcnt(0)
	s_add_u32 s20, s18, s20
	s_mul_i32 s0, s9, s0
	s_addc_u32 s21, s19, s21
	s_add_i32 s0, s0, s7
	s_mul_i32 s0, s0, s1
	s_mul_i32 s24, s24, s2
	s_add_i32 s0, s0, s8
	s_add_i32 s0, s0, s24
	s_mul_i32 s2, s1, s25
	s_add_i32 s0, s0, s23
	s_lshl_b32 s2, s2, 12
	s_lshl_b32 s0, s0, 6
	s_add_i32 s2, s2, s0
	v_or_b32_e32 v1, s2, v0
	v_ashrrev_i32_e32 v2, 31, v1
	v_lshlrev_b64 v[1:2], 2, v[1:2]
	v_mov_b32_e32 v3, s17
	v_add_co_u32_e32 v1, vcc, s16, v1
	v_addc_co_u32_e32 v2, vcc, v3, v2, vcc
	global_load_dword v3, v[1:2], off
	v_cvt_f32_u32_e32 v4, s22
	s_lshl_b32 s0, s6, 6
	s_add_i32 s0, s0, s15
	s_ashr_i32 s1, s0, 31
	s_lshl_b64 s[0:1], s[0:1], 3
	v_rcp_iflag_f32_e32 v4, v4
	s_add_u32 s0, s18, s0
	s_addc_u32 s1, s19, s1
	s_load_dwordx2 s[0:1], s[0:1], 0x0
	v_mul_f32_e32 v4, 0x4f7ffffe, v4
	v_cvt_u32_f32_e32 v4, v4
	s_add_i32 s24, s6, -1
	v_lshl_or_b32 v0, s15, 6, v0
	s_waitcnt lgkmcnt(0)
	v_mov_b32_e32 v6, s1
	v_mov_b32_e32 v7, s0
	s_mov_b32 s2, 0x3fb8aa3b
	s_mov_b32 s16, 0xc2ce8ed0
	;; [unrolled: 1-line block ×4, first 2 shown]
	v_mov_b32_e32 v5, 0x7f800000
	s_mul_hi_i32 s5, s24, s3
	s_cmp_lg_u64 s[4:5], 0
	s_mul_i32 s8, s24, s3
	s_cbranch_scc0 .LBB55_19
.LBB55_9:
	s_add_u32 s0, s22, 0
	s_addc_u32 s1, 0, 0
	s_xor_b64 s[0:1], s[0:1], 0
	v_cvt_f32_u32_e32 v8, s0
	v_cvt_f32_u32_e32 v9, s1
	s_sub_u32 s9, 0, s0
	s_subb_u32 s25, 0, s1
	v_mac_f32_e32 v8, 0x4f800000, v9
	v_rcp_f32_e32 v8, v8
	v_mul_f32_e32 v8, 0x5f7ffffc, v8
	v_mul_f32_e32 v9, 0x2f800000, v8
	v_trunc_f32_e32 v9, v9
	v_mac_f32_e32 v8, 0xcf800000, v9
	v_cvt_u32_f32_e32 v9, v9
	v_cvt_u32_f32_e32 v8, v8
	v_readfirstlane_b32 s26, v9
	v_readfirstlane_b32 s6, v8
	s_mul_i32 s7, s9, s26
	s_mul_hi_u32 s28, s9, s6
	s_mul_i32 s27, s25, s6
	s_add_i32 s7, s28, s7
	s_mul_i32 s29, s9, s6
	s_add_i32 s7, s7, s27
	s_mul_i32 s28, s6, s7
	s_mul_hi_u32 s30, s6, s29
	s_mul_hi_u32 s27, s6, s7
	s_add_u32 s28, s30, s28
	s_addc_u32 s27, 0, s27
	s_mul_hi_u32 s31, s26, s29
	s_mul_i32 s29, s26, s29
	s_add_u32 s28, s28, s29
	s_mul_hi_u32 s30, s26, s7
	s_addc_u32 s27, s27, s31
	s_addc_u32 s28, s30, 0
	s_mul_i32 s7, s26, s7
	s_add_u32 s7, s27, s7
	s_addc_u32 s27, 0, s28
	s_add_u32 s28, s6, s7
	s_cselect_b64 s[6:7], -1, 0
	s_cmp_lg_u64 s[6:7], 0
	s_addc_u32 s26, s26, s27
	s_mul_i32 s6, s9, s26
	s_mul_hi_u32 s7, s9, s28
	s_add_i32 s6, s7, s6
	s_mul_i32 s25, s25, s28
	s_add_i32 s6, s6, s25
	s_mul_i32 s9, s9, s28
	s_mul_hi_u32 s25, s26, s9
	s_mul_i32 s27, s26, s9
	s_mul_i32 s30, s28, s6
	s_mul_hi_u32 s9, s28, s9
	s_mul_hi_u32 s29, s28, s6
	s_add_u32 s9, s9, s30
	s_addc_u32 s29, 0, s29
	s_add_u32 s9, s9, s27
	s_mul_hi_u32 s7, s26, s6
	s_addc_u32 s9, s29, s25
	s_addc_u32 s7, s7, 0
	s_mul_i32 s6, s26, s6
	s_add_u32 s6, s9, s6
	s_addc_u32 s9, 0, s7
	s_add_u32 s25, s28, s6
	s_cselect_b64 s[6:7], -1, 0
	s_cmp_lg_u64 s[6:7], 0
	s_addc_u32 s9, s26, s9
	s_ashr_i32 s6, s5, 31
	s_add_u32 s26, s8, s6
	s_mov_b32 s7, s6
	s_addc_u32 s27, s5, s6
	s_xor_b64 s[26:27], s[26:27], s[6:7]
	s_mul_i32 s28, s26, s9
	s_mul_hi_u32 s29, s26, s25
	s_mul_hi_u32 s5, s26, s9
	s_add_u32 s28, s29, s28
	s_addc_u32 s5, 0, s5
	s_mul_hi_u32 s30, s27, s25
	s_mul_i32 s25, s27, s25
	s_add_u32 s25, s28, s25
	s_mul_hi_u32 s29, s27, s9
	s_addc_u32 s5, s5, s30
	s_addc_u32 s25, s29, 0
	s_mul_i32 s9, s27, s9
	s_add_u32 s5, s5, s9
	s_addc_u32 s9, 0, s25
	s_mul_i32 s25, s0, s9
	s_mul_hi_u32 s28, s0, s5
	s_add_i32 s25, s28, s25
	s_mul_i32 s28, s1, s5
	s_add_i32 s25, s25, s28
	s_sub_i32 s30, s27, s25
	s_mul_i32 s28, s0, s5
	s_sub_u32 s26, s26, s28
	s_cselect_b64 s[28:29], -1, 0
	s_cmp_lg_u64 s[28:29], 0
	s_subb_u32 s33, s30, s1
	s_sub_u32 s34, s26, s0
	s_cselect_b64 s[30:31], -1, 0
	s_cmp_lg_u64 s[30:31], 0
	s_subb_u32 s30, s33, 0
	s_cmp_ge_u32 s30, s1
	s_cselect_b32 s31, -1, 0
	s_cmp_ge_u32 s34, s0
	s_cselect_b32 s33, -1, 0
	s_cmp_eq_u32 s30, s1
	s_cselect_b32 s30, s33, s31
	s_add_u32 s31, s5, 1
	s_addc_u32 s33, s9, 0
	s_add_u32 s34, s5, 2
	s_addc_u32 s35, s9, 0
	s_cmp_lg_u32 s30, 0
	s_cselect_b32 s30, s34, s31
	s_cselect_b32 s31, s35, s33
	s_cmp_lg_u64 s[28:29], 0
	s_subb_u32 s25, s27, s25
	s_cmp_ge_u32 s25, s1
	s_cselect_b32 s27, -1, 0
	s_cmp_ge_u32 s26, s0
	s_cselect_b32 s0, -1, 0
	s_cmp_eq_u32 s25, s1
	s_cselect_b32 s0, s0, s27
	s_cmp_lg_u32 s0, 0
	s_cselect_b32 s1, s31, s9
	s_cselect_b32 s0, s30, s5
	s_xor_b64 s[6:7], s[6:7], 0
	s_xor_b64 s[0:1], s[0:1], s[6:7]
	s_sub_u32 s6, s0, s6
	s_cbranch_execnz .LBB55_11
.LBB55_10:
	s_sub_i32 s0, 0, s22
	v_readfirstlane_b32 s1, v4
	s_mul_i32 s0, s0, s1
	s_mul_hi_u32 s0, s1, s0
	s_add_i32 s1, s1, s0
	s_mul_hi_u32 s0, s8, s1
	s_mul_i32 s5, s0, s22
	s_sub_i32 s5, s8, s5
	s_add_i32 s1, s0, 1
	s_sub_i32 s6, s5, s22
	s_cmp_ge_u32 s5, s22
	s_cselect_b32 s0, s1, s0
	s_cselect_b32 s5, s6, s5
	s_add_i32 s1, s0, 1
	s_cmp_ge_u32 s5, s22
	s_cselect_b32 s6, s1, s0
.LBB55_11:
	s_cmp_lg_u32 s10, s6
	s_mov_b64 s[8:9], -1
                                        ; implicit-def: $sgpr0_sgpr1
                                        ; implicit-def: $vgpr10
                                        ; implicit-def: $vgpr8
                                        ; implicit-def: $vgpr9
                                        ; implicit-def: $sgpr5
                                        ; implicit-def: $sgpr7
	s_cbranch_scc1 .LBB55_14
; %bb.12:
	s_andn2_b64 vcc, exec, s[8:9]
	s_cbranch_vccz .LBB55_17
.LBB55_13:
	s_andn2_b64 vcc, exec, s[0:1]
	s_cbranch_vccnz .LBB55_18
	s_branch .LBB55_22
.LBB55_14:
	s_add_i32 s0, s24, s22
	s_lshl_b32 s0, s0, 6
	s_add_i32 s0, s0, s15
	s_mov_b32 s1, s4
	s_lshl_b64 s[0:1], s[0:1], 3
	s_add_u32 s8, s18, s0
	s_mul_hi_u32 s0, s6, s12
	s_addc_u32 s9, s19, s1
	s_add_i32 s0, s0, s6
	s_lshr_b32 s5, s0, s13
	s_mul_i32 s0, s5, s14
	s_cmp_eq_u32 s0, s6
	s_cselect_b64 s[0:1], -1, 0
	s_cmp_lt_u32 s5, s11
	s_cselect_b64 s[26:27], -1, 0
	s_or_b64 s[26:27], s[26:27], s[0:1]
	s_mov_b64 s[0:1], -1
	s_and_b64 vcc, exec, s[26:27]
	s_mov_b32 s5, s24
	s_mov_b32 s7, s10
	s_cbranch_vccnz .LBB55_16
; %bb.15:
	s_add_i32 s5, s24, -1
	s_mov_b64 s[0:1], 0
	s_mov_b32 s7, s6
.LBB55_16:
	v_lshl_add_u32 v8, s24, 12, v0
	v_ashrrev_i32_e32 v9, 31, v8
	v_lshlrev_b64 v[8:9], 2, v[8:9]
	v_mov_b32_e32 v10, s21
	v_add_co_u32_e32 v8, vcc, s20, v8
	v_addc_co_u32_e32 v9, vcc, v10, v9, vcc
	global_load_dword v10, v[8:9], off
	s_load_dwordx2 s[8:9], s[8:9], 0x0
	v_max_f32_e32 v8, v7, v7
	s_waitcnt lgkmcnt(0)
	v_max_f32_e64 v9, s8, s8
	v_max_f32_e32 v8, v8, v9
	v_sub_f32_e32 v9, v7, v8
	v_sub_f32_e32 v11, s8, v8
	v_mul_f32_e32 v12, 0x3fb8aa3b, v9
	v_mul_f32_e32 v13, 0x3fb8aa3b, v11
	v_fma_f32 v14, v9, s2, -v12
	v_rndne_f32_e32 v15, v12
	v_fma_f32 v16, v11, s2, -v13
	v_rndne_f32_e32 v17, v13
	v_fmac_f32_e32 v14, 0x32a5705f, v9
	v_sub_f32_e32 v12, v12, v15
	v_fmac_f32_e32 v16, 0x32a5705f, v11
	v_sub_f32_e32 v13, v13, v17
	v_add_f32_e32 v12, v12, v14
	v_cvt_i32_f32_e32 v15, v15
	v_add_f32_e32 v13, v13, v16
	v_exp_f32_e32 v12, v12
	v_cvt_i32_f32_e32 v17, v17
	v_exp_f32_e32 v13, v13
	v_cmp_ngt_f32_e32 vcc, s16, v9
	v_ldexp_f32 v12, v12, v15
	v_cndmask_b32_e32 v12, 0, v12, vcc
	v_ldexp_f32 v13, v13, v17
	v_cmp_ngt_f32_e32 vcc, s16, v11
	v_cndmask_b32_e32 v13, 0, v13, vcc
	v_cmp_nlt_f32_e32 vcc, s17, v9
	v_cndmask_b32_e32 v12, v5, v12, vcc
	v_cmp_nlt_f32_e32 vcc, s17, v11
	v_cndmask_b32_e32 v13, v5, v13, vcc
	v_cmp_le_f32_e32 vcc, s23, v9
	v_cndmask_b32_e32 v12, 0, v12, vcc
	v_cmp_le_f32_e32 vcc, s23, v11
	v_cndmask_b32_e32 v11, 0, v13, vcc
	v_mul_f32_e32 v9, s9, v11
	v_fmac_f32_e32 v9, v6, v12
	s_waitcnt vmcnt(0)
	v_mul_f32_e32 v10, v10, v11
	v_fmac_f32_e32 v10, v3, v12
	s_cbranch_execnz .LBB55_13
.LBB55_17:
	s_add_i32 s5, s24, -1
	s_mov_b32 s7, s10
	v_mov_b32_e32 v9, v6
	v_mov_b32_e32 v8, v7
	s_waitcnt vmcnt(0)
	v_mov_b32_e32 v10, v3
	s_cbranch_execz .LBB55_22
.LBB55_18:
	s_mov_b32 s10, s7
	s_mov_b32 s24, s5
	v_mov_b32_e32 v6, v9
	v_mov_b32_e32 v7, v8
	s_waitcnt vmcnt(0)
	v_mov_b32_e32 v3, v10
	s_mul_hi_i32 s5, s24, s3
	s_cmp_lg_u64 s[4:5], 0
	s_mul_i32 s8, s24, s3
	s_cbranch_scc1 .LBB55_9
.LBB55_19:
                                        ; implicit-def: $sgpr6_sgpr7
	s_branch .LBB55_10
.LBB55_20:
                                        ; implicit-def: $sgpr10_sgpr11
	s_load_dwordx4 s[12:15], s[4:5], 0x44
	s_branch .LBB55_2
.LBB55_21:
                                        ; implicit-def: $sgpr18_sgpr19
	s_branch .LBB55_5
.LBB55_22:
	v_div_scale_f32 v0, s[0:1], v9, v9, v10
	s_waitcnt vmcnt(0)
	v_div_scale_f32 v3, vcc, v10, v9, v10
	v_rcp_f32_e32 v4, v0
	v_fma_f32 v5, -v0, v4, 1.0
	v_fmac_f32_e32 v4, v5, v4
	v_mul_f32_e32 v5, v3, v4
	v_fma_f32 v6, -v0, v5, v3
	v_fmac_f32_e32 v5, v6, v4
	v_fma_f32 v0, -v0, v5, v3
	v_div_fmas_f32 v0, v0, v4, v5
	v_div_fixup_f32 v0, v0, v9, v10
	global_store_dword v[1:2], v0, off
.LBB55_23:
	s_endpgm
	.section	.rodata,"a",@progbits
	.p2align	6, 0x0
	.amdhsa_kernel _ZL33flash_attn_stream_k_fixup_generalILi64ELi64ELi1EEvPfPK15HIP_vector_typeIfLj2EEiiiiS1_IjLj3EES5_S5_S5_
		.amdhsa_group_segment_fixed_size 0
		.amdhsa_private_segment_fixed_size 0
		.amdhsa_kernarg_size 336
		.amdhsa_user_sgpr_count 6
		.amdhsa_user_sgpr_private_segment_buffer 1
		.amdhsa_user_sgpr_dispatch_ptr 0
		.amdhsa_user_sgpr_queue_ptr 0
		.amdhsa_user_sgpr_kernarg_segment_ptr 1
		.amdhsa_user_sgpr_dispatch_id 0
		.amdhsa_user_sgpr_flat_scratch_init 0
		.amdhsa_user_sgpr_private_segment_size 0
		.amdhsa_uses_dynamic_stack 0
		.amdhsa_system_sgpr_private_segment_wavefront_offset 0
		.amdhsa_system_sgpr_workgroup_id_x 1
		.amdhsa_system_sgpr_workgroup_id_y 1
		.amdhsa_system_sgpr_workgroup_id_z 1
		.amdhsa_system_sgpr_workgroup_info 0
		.amdhsa_system_vgpr_workitem_id 0
		.amdhsa_next_free_vgpr 18
		.amdhsa_next_free_sgpr 36
		.amdhsa_reserve_vcc 1
		.amdhsa_reserve_flat_scratch 0
		.amdhsa_float_round_mode_32 0
		.amdhsa_float_round_mode_16_64 0
		.amdhsa_float_denorm_mode_32 3
		.amdhsa_float_denorm_mode_16_64 3
		.amdhsa_dx10_clamp 1
		.amdhsa_ieee_mode 1
		.amdhsa_fp16_overflow 0
		.amdhsa_exception_fp_ieee_invalid_op 0
		.amdhsa_exception_fp_denorm_src 0
		.amdhsa_exception_fp_ieee_div_zero 0
		.amdhsa_exception_fp_ieee_overflow 0
		.amdhsa_exception_fp_ieee_underflow 0
		.amdhsa_exception_fp_ieee_inexact 0
		.amdhsa_exception_int_div_zero 0
	.end_amdhsa_kernel
	.section	.text._ZL33flash_attn_stream_k_fixup_generalILi64ELi64ELi1EEvPfPK15HIP_vector_typeIfLj2EEiiiiS1_IjLj3EES5_S5_S5_,"axG",@progbits,_ZL33flash_attn_stream_k_fixup_generalILi64ELi64ELi1EEvPfPK15HIP_vector_typeIfLj2EEiiiiS1_IjLj3EES5_S5_S5_,comdat
.Lfunc_end55:
	.size	_ZL33flash_attn_stream_k_fixup_generalILi64ELi64ELi1EEvPfPK15HIP_vector_typeIfLj2EEiiiiS1_IjLj3EES5_S5_S5_, .Lfunc_end55-_ZL33flash_attn_stream_k_fixup_generalILi64ELi64ELi1EEvPfPK15HIP_vector_typeIfLj2EEiiiiS1_IjLj3EES5_S5_S5_
                                        ; -- End function
	.set _ZL33flash_attn_stream_k_fixup_generalILi64ELi64ELi1EEvPfPK15HIP_vector_typeIfLj2EEiiiiS1_IjLj3EES5_S5_S5_.num_vgpr, 18
	.set _ZL33flash_attn_stream_k_fixup_generalILi64ELi64ELi1EEvPfPK15HIP_vector_typeIfLj2EEiiiiS1_IjLj3EES5_S5_S5_.num_agpr, 0
	.set _ZL33flash_attn_stream_k_fixup_generalILi64ELi64ELi1EEvPfPK15HIP_vector_typeIfLj2EEiiiiS1_IjLj3EES5_S5_S5_.numbered_sgpr, 36
	.set _ZL33flash_attn_stream_k_fixup_generalILi64ELi64ELi1EEvPfPK15HIP_vector_typeIfLj2EEiiiiS1_IjLj3EES5_S5_S5_.num_named_barrier, 0
	.set _ZL33flash_attn_stream_k_fixup_generalILi64ELi64ELi1EEvPfPK15HIP_vector_typeIfLj2EEiiiiS1_IjLj3EES5_S5_S5_.private_seg_size, 0
	.set _ZL33flash_attn_stream_k_fixup_generalILi64ELi64ELi1EEvPfPK15HIP_vector_typeIfLj2EEiiiiS1_IjLj3EES5_S5_S5_.uses_vcc, 1
	.set _ZL33flash_attn_stream_k_fixup_generalILi64ELi64ELi1EEvPfPK15HIP_vector_typeIfLj2EEiiiiS1_IjLj3EES5_S5_S5_.uses_flat_scratch, 0
	.set _ZL33flash_attn_stream_k_fixup_generalILi64ELi64ELi1EEvPfPK15HIP_vector_typeIfLj2EEiiiiS1_IjLj3EES5_S5_S5_.has_dyn_sized_stack, 0
	.set _ZL33flash_attn_stream_k_fixup_generalILi64ELi64ELi1EEvPfPK15HIP_vector_typeIfLj2EEiiiiS1_IjLj3EES5_S5_S5_.has_recursion, 0
	.set _ZL33flash_attn_stream_k_fixup_generalILi64ELi64ELi1EEvPfPK15HIP_vector_typeIfLj2EEiiiiS1_IjLj3EES5_S5_S5_.has_indirect_call, 0
	.section	.AMDGPU.csdata,"",@progbits
; Kernel info:
; codeLenInByte = 2932
; TotalNumSgprs: 40
; NumVgprs: 18
; ScratchSize: 0
; MemoryBound: 0
; FloatMode: 240
; IeeeMode: 1
; LDSByteSize: 0 bytes/workgroup (compile time only)
; SGPRBlocks: 4
; VGPRBlocks: 4
; NumSGPRsForWavesPerEU: 40
; NumVGPRsForWavesPerEU: 18
; Occupancy: 10
; WaveLimiterHint : 0
; COMPUTE_PGM_RSRC2:SCRATCH_EN: 0
; COMPUTE_PGM_RSRC2:USER_SGPR: 6
; COMPUTE_PGM_RSRC2:TRAP_HANDLER: 0
; COMPUTE_PGM_RSRC2:TGID_X_EN: 1
; COMPUTE_PGM_RSRC2:TGID_Y_EN: 1
; COMPUTE_PGM_RSRC2:TGID_Z_EN: 1
; COMPUTE_PGM_RSRC2:TIDIG_COMP_CNT: 0
	.section	.text._ZL15flash_attn_tileILi64ELi64ELi32ELi1ELb0EEvPKcS1_S1_S1_S1_PKiPfP15HIP_vector_typeIfLj2EEffffjfiS5_IjLj3EEiiiiiiiiiiiliiliiiiil,"axG",@progbits,_ZL15flash_attn_tileILi64ELi64ELi32ELi1ELb0EEvPKcS1_S1_S1_S1_PKiPfP15HIP_vector_typeIfLj2EEffffjfiS5_IjLj3EEiiiiiiiiiiiliiliiiiil,comdat
	.globl	_ZL15flash_attn_tileILi64ELi64ELi32ELi1ELb0EEvPKcS1_S1_S1_S1_PKiPfP15HIP_vector_typeIfLj2EEffffjfiS5_IjLj3EEiiiiiiiiiiiliiliiiiil ; -- Begin function _ZL15flash_attn_tileILi64ELi64ELi32ELi1ELb0EEvPKcS1_S1_S1_S1_PKiPfP15HIP_vector_typeIfLj2EEffffjfiS5_IjLj3EEiiiiiiiiiiiliiliiiiil
	.p2align	8
	.type	_ZL15flash_attn_tileILi64ELi64ELi32ELi1ELb0EEvPKcS1_S1_S1_S1_PKiPfP15HIP_vector_typeIfLj2EEffffjfiS5_IjLj3EEiiiiiiiiiiiliiliiiiil,@function
_ZL15flash_attn_tileILi64ELi64ELi32ELi1ELb0EEvPKcS1_S1_S1_S1_PKiPfP15HIP_vector_typeIfLj2EEffffjfiS5_IjLj3EEiiiiiiiiiiiliiliiiiil: ; @_ZL15flash_attn_tileILi64ELi64ELi32ELi1ELb0EEvPKcS1_S1_S1_S1_PKiPfP15HIP_vector_typeIfLj2EEffffjfiS5_IjLj3EEiiiiiiiiiiiliiliiiiil
; %bb.0:
	s_load_dwordx4 s[28:31], s[4:5], 0x5c
	s_load_dwordx2 s[46:47], s[4:5], 0x80
	s_add_u32 flat_scratch_lo, s6, s11
	s_addc_u32 flat_scratch_hi, s7, 0
	s_add_u32 s0, s0, s11
	s_waitcnt lgkmcnt(0)
	v_cvt_f32_u32_e32 v2, s31
	s_addc_u32 s1, s1, 0
	s_sub_i32 s6, 0, s31
	s_load_dwordx2 s[48:49], s[4:5], 0xb8
	v_rcp_iflag_f32_e32 v2, v2
	s_mov_b64 s[44:45], 0
	v_mul_f32_e32 v2, 0x4f7ffffe, v2
	v_cvt_u32_f32_e32 v2, v2
	v_readfirstlane_b32 s7, v2
	s_mul_i32 s6, s6, s7
	s_mul_hi_u32 s6, s7, s6
	s_add_i32 s7, s7, s6
	s_mul_hi_u32 s6, s10, s7
	s_mul_i32 s7, s6, s31
	s_sub_i32 s7, s10, s7
	s_add_i32 s11, s6, 1
	s_sub_i32 s12, s7, s31
	s_cmp_ge_u32 s7, s31
	s_cselect_b32 s6, s11, s6
	s_cselect_b32 s7, s12, s7
	s_add_i32 s11, s6, 1
	s_cmp_ge_u32 s7, s31
	s_cselect_b32 s33, s11, s6
	s_abs_i32 s6, s47
	v_cvt_f32_u32_e32 v2, s6
	s_mul_i32 s12, s33, s31
	s_sub_i32 s13, 0, s6
	s_sub_i32 s34, s10, s12
	v_rcp_iflag_f32_e32 v2, v2
	s_abs_i32 s11, s31
	s_xor_b32 s7, s31, s47
	s_ashr_i32 s7, s7, 31
	v_mul_f32_e32 v2, 0x4f7ffffe, v2
	v_cvt_u32_f32_e32 v2, v2
	v_readfirstlane_b32 s10, v2
	s_mul_i32 s13, s13, s10
	s_mul_hi_u32 s12, s10, s13
	s_add_i32 s10, s10, s12
	s_mul_hi_u32 s10, s11, s10
	s_mul_i32 s12, s10, s6
	s_sub_i32 s11, s11, s12
	s_add_i32 s13, s10, 1
	s_sub_i32 s12, s11, s6
	s_cmp_ge_u32 s11, s6
	s_cselect_b32 s10, s13, s10
	s_cselect_b32 s11, s12, s11
	s_add_i32 s12, s10, 1
	s_cmp_ge_u32 s11, s6
	s_cselect_b32 s6, s12, s10
	s_xor_b32 s6, s6, s7
	s_sub_i32 s51, s6, s7
	s_abs_i32 s47, s51
	v_cvt_f32_u32_e32 v2, s47
	s_load_dwordx16 s[12:27], s[4:5], 0x0
	s_sub_i32 s6, 0, s47
	s_abs_i32 s50, s34
	v_rcp_iflag_f32_e32 v2, v2
	v_mul_f32_e32 v2, 0x4f7ffffe, v2
	v_cvt_u32_f32_e32 v2, v2
	v_readfirstlane_b32 s7, v2
	s_mul_i32 s6, s6, s7
	s_mul_hi_u32 s6, s7, s6
	s_add_i32 s6, s7, s6
	s_waitcnt lgkmcnt(0)
	s_cmp_eq_u64 s[18:19], 0
	s_cbranch_scc1 .LBB56_2
; %bb.1:
	s_abs_i32 s7, s48
	v_cvt_f32_u32_e32 v2, s7
	s_sub_i32 s37, 0, s7
	s_abs_i32 s36, s33
	s_ashr_i32 s35, s33, 31
	v_rcp_iflag_f32_e32 v2, v2
	s_load_dwordx2 s[10:11], s[4:5], 0xc8
	v_mul_f32_e32 v2, 0x4f7ffffe, v2
	v_cvt_u32_f32_e32 v2, v2
	v_readfirstlane_b32 s38, v2
	s_mul_i32 s37, s37, s38
	s_mul_hi_u32 s37, s38, s37
	s_add_i32 s38, s38, s37
	s_mul_hi_u32 s37, s36, s38
	s_mul_i32 s37, s37, s7
	s_sub_i32 s36, s36, s37
	s_sub_i32 s37, s36, s7
	s_cmp_ge_u32 s36, s7
	s_cselect_b32 s36, s37, s36
	s_sub_i32 s37, s36, s7
	s_cmp_ge_u32 s36, s7
	s_cselect_b32 s7, s37, s36
	s_xor_b32 s7, s7, s35
	s_sub_i32 s7, s7, s35
	s_ashr_i32 s35, s7, 31
	s_waitcnt lgkmcnt(0)
	s_mul_hi_u32 s36, s10, s7
	s_mul_i32 s35, s10, s35
	s_mul_i32 s11, s11, s7
	s_add_i32 s35, s36, s35
	s_add_i32 s35, s35, s11
	s_mul_i32 s7, s10, s7
	s_add_u32 s44, s18, s7
	s_addc_u32 s45, s19, s35
.LBB56_2:
	s_load_dwordx4 s[36:39], s[4:5], 0x40
	s_mul_hi_u32 s18, s50, s6
	s_load_dword s6, s[4:5], 0x50
	v_mov_b32_e32 v24, 1.0
	s_waitcnt lgkmcnt(0)
	v_cmp_le_f32_e64 s[10:11], s37, 0
	s_and_b64 vcc, exec, s[10:11]
	s_cbranch_vccnz .LBB56_4
; %bb.3:
	v_mov_b32_e32 v2, s6
	v_sub_co_u32_e32 v2, vcc, s34, v2
	v_mov_b32_e32 v3, s39
	v_mov_b32_e32 v4, s38
	s_add_i32 s6, s34, 1
	v_lshlrev_b32_e32 v2, 1, v2
	v_cndmask_b32_e32 v3, v3, v4, vcc
	v_or_b32_e32 v2, 1, v2
	v_mov_b32_e32 v4, s6
	v_cndmask_b32_e32 v2, v2, v4, vcc
	v_cvt_f32_i32_e32 v2, v2
	v_cmp_neq_f32_e32 vcc, 1.0, v3
	s_mov_b32 s6, 0x3f2aaaab
	s_movk_i32 s10, 0x204
	v_cndmask_b32_e32 v4, 1.0, v2, vcc
	v_cmp_neq_f32_e32 vcc, 0, v4
	v_cndmask_b32_e32 v5, 1.0, v3, vcc
	v_frexp_mant_f32_e64 v2, |v5|
	v_cmp_gt_f32_e32 vcc, s6, v2
	v_cndmask_b32_e64 v3, 1.0, 2.0, vcc
	v_mul_f32_e32 v2, v2, v3
	v_add_f32_e32 v3, 1.0, v2
	v_rcp_f32_e32 v6, v3
	v_add_f32_e32 v7, -1.0, v2
	v_add_f32_e32 v8, -1.0, v3
	v_sub_f32_e32 v2, v2, v8
	v_mul_f32_e32 v8, v7, v6
	v_mul_f32_e32 v9, v3, v8
	v_fma_f32 v3, v8, v3, -v9
	v_fmac_f32_e32 v3, v8, v2
	v_add_f32_e32 v2, v9, v3
	v_sub_f32_e32 v10, v7, v2
	v_sub_f32_e32 v9, v2, v9
	;; [unrolled: 1-line block ×5, first 2 shown]
	v_add_f32_e32 v2, v3, v2
	v_add_f32_e32 v2, v10, v2
	v_mul_f32_e32 v2, v6, v2
	v_add_f32_e32 v6, v8, v2
	v_sub_f32_e32 v3, v6, v8
	v_sub_f32_e32 v7, v2, v3
	v_mul_f32_e32 v2, v6, v6
	v_fma_f32 v3, v6, v6, -v2
	v_add_f32_e32 v8, v7, v7
	v_fmac_f32_e32 v3, v6, v8
	v_add_f32_e32 v8, v2, v3
	v_mov_b32_e32 v9, 0x3e91f4c4
	v_sub_f32_e32 v2, v8, v2
	v_fmac_f32_e32 v9, 0x3e76c4e1, v8
	v_mov_b32_e32 v10, 0x3ecccdef
	v_sub_f32_e32 v2, v3, v2
	v_mul_f32_e32 v3, v6, v8
	v_fmac_f32_e32 v10, v8, v9
	v_fma_f32 v9, v8, v6, -v3
	v_fmac_f32_e32 v9, v8, v7
	v_fmac_f32_e32 v9, v2, v6
	v_add_f32_e32 v11, v3, v9
	v_sub_f32_e32 v3, v11, v3
	v_sub_f32_e32 v9, v9, v3
	v_mul_f32_e32 v3, v8, v10
	v_fma_f32 v8, v8, v10, -v3
	v_fmac_f32_e32 v8, v2, v10
	v_add_f32_e32 v10, v3, v8
	v_sub_f32_e32 v2, v10, v3
	v_sub_f32_e32 v8, v8, v2
	v_cvt_f64_f32_e64 v[2:3], |v5|
	v_add_f32_e32 v12, 0x3f2aaaaa, v10
	v_add_f32_e32 v13, 0xbf2aaaaa, v12
	;; [unrolled: 1-line block ×3, first 2 shown]
	v_frexp_exp_i32_f64_e32 v2, v[2:3]
	v_sub_f32_e32 v10, v10, v13
	v_add_f32_e32 v3, v8, v10
	v_add_f32_e32 v8, v12, v3
	v_sub_f32_e32 v10, v12, v8
	v_add_f32_e32 v3, v3, v10
	v_mul_f32_e32 v10, v11, v8
	v_fma_f32 v12, v11, v8, -v10
	v_subbrev_co_u32_e32 v2, vcc, 0, v2, vcc
	v_cvt_f32_i32_e32 v2, v2
	v_fmac_f32_e32 v12, v11, v3
	s_mov_b32 s6, 0x3f317218
	v_fmac_f32_e32 v12, v9, v8
	v_mul_f32_e32 v3, 0x3f317218, v2
	v_fma_f32 v8, v2, s6, -v3
	v_fmac_f32_e32 v8, 0xb102e308, v2
	v_ldexp_f32 v2, v7, 1
	v_add_f32_e32 v7, v3, v8
	v_sub_f32_e32 v3, v7, v3
	v_ldexp_f32 v6, v6, 1
	v_sub_f32_e32 v3, v8, v3
	v_add_f32_e32 v8, v10, v12
	v_sub_f32_e32 v9, v8, v10
	v_add_f32_e32 v10, v6, v8
	v_sub_f32_e32 v9, v12, v9
	v_sub_f32_e32 v6, v10, v6
	;; [unrolled: 1-line block ×3, first 2 shown]
	v_add_f32_e32 v2, v2, v9
	v_add_f32_e32 v2, v2, v6
	;; [unrolled: 1-line block ×3, first 2 shown]
	v_sub_f32_e32 v8, v6, v10
	v_sub_f32_e32 v2, v2, v8
	v_add_f32_e32 v8, v7, v6
	v_sub_f32_e32 v9, v8, v7
	v_sub_f32_e32 v10, v8, v9
	;; [unrolled: 1-line block ×4, first 2 shown]
	v_add_f32_e32 v6, v6, v7
	v_add_f32_e32 v7, v3, v2
	v_sub_f32_e32 v9, v7, v3
	v_sub_f32_e32 v10, v7, v9
	;; [unrolled: 1-line block ×4, first 2 shown]
	v_add_f32_e32 v2, v2, v3
	v_add_f32_e32 v3, v7, v6
	v_add_f32_e32 v6, v8, v3
	v_sub_f32_e32 v7, v6, v8
	v_sub_f32_e32 v3, v3, v7
	v_add_f32_e32 v2, v2, v3
	v_add_f32_e32 v3, v6, v2
	v_sub_f32_e32 v6, v3, v6
	v_sub_f32_e32 v2, v2, v6
	v_mul_f32_e32 v6, v4, v3
	v_fma_f32 v3, v4, v3, -v6
	v_fmac_f32_e32 v3, v4, v2
	v_add_f32_e32 v2, v6, v3
	v_cmp_class_f32_e64 vcc, v6, s10
	v_sub_f32_e32 v7, v2, v6
	v_cndmask_b32_e32 v2, v2, v6, vcc
	s_mov_b32 s7, 0x42b17218
	v_mov_b32_e32 v6, 0x37000000
	v_cmp_eq_f32_e32 vcc, s7, v2
	v_cndmask_b32_e32 v6, 0, v6, vcc
	v_sub_f32_e32 v3, v3, v7
	v_sub_f32_e32 v7, v2, v6
	s_mov_b32 s11, 0x3fb8aa3b
	v_mul_f32_e32 v8, 0x3fb8aa3b, v7
	v_fma_f32 v9, v7, s11, -v8
	v_rndne_f32_e32 v10, v8
	v_fmac_f32_e32 v9, 0x32a5705f, v7
	v_sub_f32_e32 v8, v8, v10
	v_add_f32_e32 v8, v8, v9
	v_exp_f32_e32 v8, v8
	v_cvt_i32_f32_e32 v9, v10
	s_mov_b32 s6, 0x7f800000
	v_cmp_neq_f32_e64 vcc, |v2|, s6
	s_mov_b32 s6, 0xc2ce8ed0
	v_cndmask_b32_e32 v2, 0, v3, vcc
	v_ldexp_f32 v3, v8, v9
	v_cmp_ngt_f32_e32 vcc, s6, v7
	v_add_f32_e32 v2, v6, v2
	v_cndmask_b32_e32 v3, 0, v3, vcc
	v_mov_b32_e32 v6, 0x7f800000
	v_cmp_nlt_f32_e32 vcc, s7, v7
	v_cndmask_b32_e32 v3, v6, v3, vcc
	v_fma_f32 v2, v3, v2, v3
	v_cmp_class_f32_e64 vcc, v3, s10
	v_cndmask_b32_e32 v2, v2, v3, vcc
	v_trunc_f32_e32 v3, v4
	v_cmp_eq_f32_e32 vcc, v3, v4
	v_mul_f32_e32 v3, 0.5, v4
	v_trunc_f32_e32 v8, v3
	v_cmp_neq_f32_e64 s[6:7], v8, v3
	s_and_b64 s[6:7], vcc, s[6:7]
	v_cndmask_b32_e64 v3, 1.0, v5, s[6:7]
	s_brev_b32 s19, -2
	v_mov_b32_e32 v7, 0x7fc00000
	v_bfi_b32 v2, s19, v2, v3
	v_cndmask_b32_e32 v3, v7, v2, vcc
	v_cmp_gt_f32_e32 vcc, 0, v5
	v_cndmask_b32_e32 v2, v2, v3, vcc
	v_cmp_class_f32_e64 s[38:39], v5, s10
	v_cmp_eq_f32_e32 vcc, 0, v5
	v_cmp_gt_f32_e64 s[10:11], 0, v4
	s_xor_b64 s[10:11], s[10:11], vcc
	v_cndmask_b32_e64 v3, v6, 0, s[10:11]
	v_cndmask_b32_e64 v4, 0, v5, s[6:7]
	v_bfi_b32 v3, s19, v3, v4
	s_or_b64 vcc, vcc, s[38:39]
	v_cndmask_b32_e32 v2, v2, v3, vcc
	v_cmp_o_f32_e32 vcc, v5, v5
	v_cndmask_b32_e32 v24, v7, v2, vcc
.LBB56_4:
	s_lshl_b32 s37, s8, 5
	v_lshlrev_b32_e32 v13, 2, v1
	s_load_dwordx4 s[40:43], s[4:5], 0x70
	v_add_u32_e32 v14, s37, v13
	v_mul_hi_u32 v2, v14, s28
	v_or_b32_e32 v19, 1, v13
	v_add_u32_e32 v20, s37, v19
	s_waitcnt lgkmcnt(0)
	s_mul_i32 s7, s33, s42
	v_add_u32_e32 v2, v14, v2
	s_ashr_i32 s35, s34, 31
	s_ashr_i32 s6, s51, 31
	;; [unrolled: 1-line block ×3, first 2 shown]
	v_lshrrev_b32_e32 v2, s29, v2
	v_mul_hi_u32 v6, v20, s28
	s_add_u32 s7, s12, s7
	s_mul_i32 s11, s34, s41
	v_mul_lo_u32 v2, v2, s30
	s_addc_u32 s10, s13, s10
	s_ashr_i32 s12, s11, 31
	s_add_u32 s7, s7, s11
	s_addc_u32 s19, s10, s12
	s_ashr_i32 s41, s40, 31
	v_add_u32_e32 v6, v20, v6
	s_lshr_b64 s[10:11], s[40:41], 2
	v_sub_u32_e32 v3, v14, v2
	v_lshrrev_b32_e32 v6, s29, v6
	v_mad_u64_u32 v[4:5], s[12:13], s10, v3, 0
	v_mul_lo_u32 v7, v6, s30
	v_mov_b32_e32 v8, s19
	s_lshr_b32 s19, s41, 2
	v_mad_u64_u32 v[5:6], s[12:13], s19, v3, v[5:6]
	v_sub_u32_e32 v9, v20, v7
	v_mad_u64_u32 v[6:7], s[12:13], s10, v9, 0
	v_lshlrev_b32_e32 v2, 3, v0
	v_add_co_u32_e32 v12, vcc, s7, v2
	v_or_b32_e32 v17, 2, v13
	v_addc_co_u32_e32 v21, vcc, 0, v8, vcc
	v_mad_u64_u32 v[7:8], s[12:13], s19, v9, v[7:8]
	v_add_u32_e32 v18, s37, v17
	v_mul_hi_u32 v8, v18, s28
	v_or_b32_e32 v15, 3, v13
	v_add_u32_e32 v16, s37, v15
	v_mul_hi_u32 v10, v16, s28
	v_add_u32_e32 v8, v18, v8
	v_lshrrev_b32_e32 v8, s29, v8
	v_mul_lo_u32 v8, v8, s30
	v_add_u32_e32 v10, v16, v10
	v_lshrrev_b32_e32 v10, s29, v10
	v_mul_lo_u32 v22, v10, s30
	v_sub_u32_e32 v11, v18, v8
	v_mad_u64_u32 v[8:9], s[12:13], s10, v11, 0
	v_lshlrev_b64 v[4:5], 2, v[4:5]
	v_sub_u32_e32 v27, v16, v22
	v_mad_u64_u32 v[9:10], s[12:13], s19, v11, v[9:10]
	v_mad_u64_u32 v[10:11], s[10:11], s10, v27, 0
	v_add_co_u32_e32 v4, vcc, v12, v4
	v_lshlrev_b64 v[6:7], 2, v[6:7]
	v_addc_co_u32_e32 v5, vcc, v21, v5, vcc
	v_add_co_u32_e32 v6, vcc, v12, v6
	v_addc_co_u32_e32 v7, vcc, v21, v7, vcc
	global_load_dwordx2 v[22:23], v[4:5], off
	global_load_dwordx2 v[25:26], v[6:7], off
	v_mov_b32_e32 v6, v11
	v_mad_u64_u32 v[6:7], s[10:11], s19, v27, v[6:7]
	v_lshlrev_b64 v[4:5], 2, v[8:9]
	v_mov_b32_e32 v8, 0x3400
	v_mov_b32_e32 v11, v6
	v_add_co_u32_e32 v4, vcc, v12, v4
	v_lshlrev_b64 v[6:7], 2, v[10:11]
	v_addc_co_u32_e32 v5, vcc, v21, v5, vcc
	global_load_dwordx2 v[4:5], v[4:5], off
	v_add_co_u32_e32 v6, vcc, v12, v6
	v_addc_co_u32_e32 v7, vcc, v21, v7, vcc
	global_load_dwordx2 v[6:7], v[6:7], off
	v_lshlrev_b32_e32 v21, 9, v1
	v_lshl_or_b32 v1, v0, 2, v8
	v_add_u32_e32 v8, v1, v21
	v_lshl_add_u32 v9, v19, 7, v1
	v_mov_b32_e32 v36, 0
	s_cmp_eq_u64 s[22:23], 0
	s_waitcnt vmcnt(3)
	v_fma_mixlo_f16 v11, s36, v23, 0
	v_fma_mixlo_f16 v10, s36, v22, 0
	v_lshlrev_b32_e32 v11, 16, v11
	s_waitcnt vmcnt(2)
	v_fma_mixlo_f16 v22, s36, v26, 0
	v_or_b32_sdwa v10, v11, v10 dst_sel:DWORD dst_unused:UNUSED_PAD src0_sel:DWORD src1_sel:WORD_0
	v_fma_mixlo_f16 v12, s36, v25, 0
	ds_write_b32 v8, v10
	v_lshlrev_b32_e32 v8, 16, v22
	v_or_b32_sdwa v8, v8, v12 dst_sel:DWORD dst_unused:UNUSED_PAD src0_sel:DWORD src1_sel:WORD_0
	ds_write_b32 v9, v8
	v_lshl_add_u32 v8, v17, 7, v1
	v_lshl_add_u32 v1, v15, 7, v1
	s_waitcnt vmcnt(1)
	v_fma_mixlo_f16 v5, s36, v5, 0
	v_fma_mixlo_f16 v4, s36, v4, 0
	v_lshlrev_b32_e32 v5, 16, v5
	v_or_b32_sdwa v4, v5, v4 dst_sel:DWORD dst_unused:UNUSED_PAD src0_sel:DWORD src1_sel:WORD_0
	ds_write_b32 v8, v4
	s_waitcnt vmcnt(0)
	v_fma_mixlo_f16 v5, s36, v7, 0
	v_fma_mixlo_f16 v4, s36, v6, 0
	v_lshlrev_b32_e32 v5, 16, v5
	v_or_b32_sdwa v4, v5, v4 dst_sel:DWORD dst_unused:UNUSED_PAD src0_sel:DWORD src1_sel:WORD_0
	ds_write_b32 v1, v4
	s_waitcnt lgkmcnt(0)
	s_barrier
	s_cbranch_scc1 .LBB56_6
; %bb.5:
	s_load_dword s7, s[4:5], 0xd0
	s_mov_b32 s11, 0
	s_waitcnt lgkmcnt(0)
	s_mul_i32 s7, s7, s33
	s_add_i32 s10, s7, s8
	s_lshl_b64 s[10:11], s[10:11], 2
	s_add_u32 s10, s22, s10
	s_addc_u32 s11, s23, s11
	s_load_dword s46, s[10:11], 0x0
.LBB56_6:
	s_nop 0
	s_load_dwordx2 s[10:11], s[4:5], 0x8c
	s_load_dwordx4 s[40:43], s[4:5], 0x98
	s_load_dwordx2 s[22:23], s[4:5], 0xa8
	s_ashr_i32 s7, s33, 31
	s_ashr_i32 s38, s49, 1
	s_waitcnt lgkmcnt(0)
	s_ashr_i32 s12, s10, 2
	s_mul_hi_u32 s10, s40, s33
	s_mul_i32 s13, s40, s7
	s_add_i32 s10, s10, s13
	s_mul_i32 s13, s41, s33
	s_ashr_i32 s8, s42, 2
	s_add_i32 s10, s10, s13
	s_mul_i32 s13, s40, s33
	s_add_u32 s13, s14, s13
	s_mul_i32 s14, s18, s47
	s_addc_u32 s10, s15, s10
	s_sub_i32 s14, s50, s14
	s_xor_b32 s6, s35, s6
	s_add_i32 s15, s18, 1
	s_sub_i32 s19, s14, s47
	s_cmp_ge_u32 s14, s47
	s_cselect_b32 s15, s15, s18
	s_cselect_b32 s14, s19, s14
	s_add_i32 s18, s15, 1
	s_cmp_ge_u32 s14, s47
	s_cselect_b32 s14, s18, s15
	s_xor_b32 s14, s14, s6
	s_sub_i32 s6, s14, s6
	s_mul_i32 s11, s6, s11
	s_ashr_i32 s14, s11, 31
	s_add_u32 s13, s13, s11
	s_addc_u32 s14, s10, s14
	s_mul_hi_u32 s10, s22, s33
	s_mul_i32 s7, s22, s7
	s_add_i32 s7, s10, s7
	s_mul_i32 s10, s23, s33
	s_add_i32 s7, s7, s10
	s_mul_i32 s10, s22, s33
	s_add_u32 s10, s16, s10
	s_mul_i32 s6, s6, s43
	s_addc_u32 s7, s17, s7
	s_ashr_i32 s11, s6, 31
	v_mul_lo_u32 v33, v3, s38
	s_add_u32 s22, s10, s6
	s_addc_u32 s23, s7, s11
	s_lshl_b32 s36, s9, 6
	s_sub_i32 s15, s46, 64
	s_cmp_ge_i32 s36, s15
	v_lshrrev_b32_e32 v38, 3, v0
	v_lshlrev_b32_e32 v22, 2, v0
	v_or_b32_e32 v30, 1, v14
	v_or_b32_e32 v29, 2, v14
	;; [unrolled: 1-line block ×3, first 2 shown]
	v_mbcnt_lo_u32_b32 v31, -1, 0
	s_cbranch_scc1 .LBB56_27
; %bb.7:
	v_mul_hi_u32 v6, s28, v30
	v_mul_hi_u32 v9, s28, v29
	;; [unrolled: 1-line block ×3, first 2 shown]
	v_add_u32_e32 v1, v38, v13
	v_add_u32_e32 v6, v30, v6
	v_lshrrev_b32_e32 v6, s29, v6
	v_add_u32_e32 v9, v29, v9
	v_mul_lo_u32 v6, v6, s30
	v_lshrrev_b32_e32 v9, s29, v9
	v_mul_lo_u32 v9, v9, s30
	v_add_u32_e32 v10, v28, v10
	v_lshrrev_b32_e32 v10, s29, v10
	v_sub_u32_e32 v6, v30, v6
	v_mul_lo_u32 v10, v10, s30
	v_mul_lo_u32 v3, s12, v1
	v_mul_lo_u32 v42, v6, s38
	v_sub_u32_e32 v6, v29, v9
	v_mul_lo_u32 v9, s8, v1
	v_and_b32_e32 v25, 28, v22
	v_mul_lo_u32 v43, v6, s38
	v_sub_u32_e32 v6, v28, v10
	v_lshlrev_b32_e32 v5, 2, v25
	s_movk_i32 s6, 0x90
	v_lshl_add_u32 v7, s12, 5, v3
	s_cmp_lg_u64 s[44:45], 0
	v_mul_lo_u32 v44, v6, s38
	v_lshl_add_u32 v11, s8, 5, v9
	v_mad_u32_u24 v32, v1, s6, v5
	v_ashrrev_i32_e32 v4, 31, v3
	v_ashrrev_i32_e32 v8, 31, v7
	s_cselect_b64 s[6:7], -1, 0
	v_ashrrev_i32_e32 v10, 31, v9
	v_ashrrev_i32_e32 v12, 31, v11
	v_add_u32_e32 v45, 0x2400, v21
	v_lshl_or_b32 v46, v1, 7, v5
	s_add_u32 s10, s4, 0xd0
	v_lshlrev_b64 v[5:6], 2, v[3:4]
	v_lshlrev_b64 v[7:8], 2, v[7:8]
	v_cndmask_b32_e64 v1, 0, 1, s[6:7]
	v_lshlrev_b64 v[9:10], 2, v[9:10]
	v_lshlrev_b64 v[11:12], 2, v[11:12]
	v_mov_b32_e32 v23, 0
	v_add_u32_e32 v39, 0x1200, v32
	v_add_u32_e32 v40, 0x3400, v21
	v_mul_u32_u24_e32 v41, 0x90, v0
	v_add_u32_e32 v47, 0x1000, v46
	s_addc_u32 s11, s5, 0
	v_mov_b32_e32 v59, 0xfeffffff
	v_lshlrev_b32_e32 v48, 2, v25
	s_mov_b32 s16, 0x3fb8aa3b
	s_mov_b32 s17, 0xc2ce8ed0
	;; [unrolled: 1-line block ×4, first 2 shown]
	v_add_u32_e32 v49, v45, v2
	v_cmp_ne_u32_e64 s[6:7], 1, v1
	v_mbcnt_hi_u32_b32 v50, -1, v31
	v_mov_b32_e32 v51, 0x7f800000
	v_mov_b32_e32 v25, 0
	;; [unrolled: 1-line block ×11, first 2 shown]
.LBB56_8:                               ; =>This Inner Loop Header: Depth=1
	s_mul_hi_i32 s41, s36, s12
	s_mul_i32 s40, s36, s12
	s_lshl_b64 s[40:41], s[40:41], 2
	s_add_u32 s39, s13, s40
	s_addc_u32 s40, s14, s41
	v_mov_b32_e32 v1, s40
	v_add_co_u32_e32 v2, vcc, s39, v5
	v_addc_co_u32_e32 v3, vcc, v1, v6, vcc
	v_add_co_u32_e32 v1, vcc, v2, v48
	v_addc_co_u32_e32 v2, vcc, 0, v3, vcc
	v_mov_b32_e32 v3, s40
	v_add_co_u32_e32 v4, vcc, s39, v7
	v_addc_co_u32_e32 v34, vcc, v3, v8, vcc
	v_add_co_u32_e32 v3, vcc, v4, v48
	v_addc_co_u32_e32 v4, vcc, 0, v34, vcc
	global_load_dwordx4 v[62:65], v[1:2], off
	global_load_dwordx4 v[66:69], v[3:4], off
	v_mov_b32_e32 v60, 0
	v_mov_b32_e32 v35, 0
	v_mov_b32_e32 v34, 0
	v_mov_b32_e32 v3, 0
	v_mov_b32_e32 v61, 0
	v_mov_b32_e32 v37, 0
	v_mov_b32_e32 v36, 0
	v_mov_b32_e32 v4, 0
	s_and_b64 vcc, exec, s[6:7]
	s_waitcnt vmcnt(1)
	ds_write_b128 v32, v[62:65]
	s_waitcnt vmcnt(0)
	ds_write_b128 v39, v[66:69]
	s_waitcnt lgkmcnt(0)
	s_barrier
	ds_read_b128 v[62:65], v40
	ds_read_b128 v[66:69], v41
	ds_read_b128 v[70:73], v41 offset:4608
	ds_read_b128 v[74:77], v40 offset:128
	;; [unrolled: 1-line block ×4, first 2 shown]
	s_waitcnt lgkmcnt(4)
	;;#ASMSTART
	v_dot2_f32_f16 v60, v66, v62, v60
	;;#ASMEND
	;;#ASMSTART
	v_dot2_f32_f16 v60, v67, v63, v60
	;;#ASMEND
	;;#ASMSTART
	v_dot2_f32_f16 v60, v68, v64, v60
	;;#ASMEND
	;;#ASMSTART
	v_dot2_f32_f16 v60, v69, v65, v60
	;;#ASMEND
	s_waitcnt lgkmcnt(2)
	;;#ASMSTART
	v_dot2_f32_f16 v35, v66, v74, v35
	;;#ASMEND
	;;#ASMSTART
	v_dot2_f32_f16 v35, v67, v75, v35
	;;#ASMEND
	;;#ASMSTART
	v_dot2_f32_f16 v35, v68, v76, v35
	;;#ASMEND
	;;#ASMSTART
	v_dot2_f32_f16 v35, v69, v77, v35
	;;#ASMEND
	;; [unrolled: 13-line block ×4, first 2 shown]
	;;#ASMSTART
	v_dot2_f32_f16 v61, v70, v62, v61
	;;#ASMEND
	;;#ASMSTART
	v_dot2_f32_f16 v61, v71, v63, v61
	;;#ASMEND
	;; [unrolled: 3-line block ×16, first 2 shown]
	ds_read_b128 v[62:65], v40 offset:16
	ds_read_b128 v[66:69], v41 offset:16
	ds_read_b128 v[70:73], v41 offset:4624
	ds_read_b128 v[74:77], v40 offset:144
	ds_read_b128 v[78:81], v40 offset:272
	ds_read_b128 v[82:85], v40 offset:400
	s_waitcnt lgkmcnt(4)
	;;#ASMSTART
	v_dot2_f32_f16 v60, v66, v62, v60
	;;#ASMEND
	;;#ASMSTART
	v_dot2_f32_f16 v60, v67, v63, v60
	;;#ASMEND
	;;#ASMSTART
	v_dot2_f32_f16 v60, v68, v64, v60
	;;#ASMEND
	;;#ASMSTART
	v_dot2_f32_f16 v60, v69, v65, v60
	;;#ASMEND
	s_waitcnt lgkmcnt(2)
	;;#ASMSTART
	v_dot2_f32_f16 v35, v66, v74, v35
	;;#ASMEND
	;;#ASMSTART
	v_dot2_f32_f16 v35, v67, v75, v35
	;;#ASMEND
	;;#ASMSTART
	v_dot2_f32_f16 v35, v68, v76, v35
	;;#ASMEND
	;;#ASMSTART
	v_dot2_f32_f16 v35, v69, v77, v35
	;;#ASMEND
	;; [unrolled: 13-line block ×4, first 2 shown]
	;;#ASMSTART
	v_dot2_f32_f16 v61, v70, v62, v61
	;;#ASMEND
	;;#ASMSTART
	v_dot2_f32_f16 v61, v71, v63, v61
	;;#ASMEND
	;; [unrolled: 3-line block ×16, first 2 shown]
	ds_read_b128 v[62:65], v40 offset:32
	ds_read_b128 v[66:69], v41 offset:32
	;; [unrolled: 1-line block ×6, first 2 shown]
	s_waitcnt lgkmcnt(4)
	;;#ASMSTART
	v_dot2_f32_f16 v60, v66, v62, v60
	;;#ASMEND
	;;#ASMSTART
	v_dot2_f32_f16 v60, v67, v63, v60
	;;#ASMEND
	;;#ASMSTART
	v_dot2_f32_f16 v60, v68, v64, v60
	;;#ASMEND
	;;#ASMSTART
	v_dot2_f32_f16 v60, v69, v65, v60
	;;#ASMEND
	s_waitcnt lgkmcnt(2)
	;;#ASMSTART
	v_dot2_f32_f16 v35, v66, v74, v35
	;;#ASMEND
	;;#ASMSTART
	v_dot2_f32_f16 v35, v67, v75, v35
	;;#ASMEND
	;;#ASMSTART
	v_dot2_f32_f16 v35, v68, v76, v35
	;;#ASMEND
	;;#ASMSTART
	v_dot2_f32_f16 v35, v69, v77, v35
	;;#ASMEND
	;; [unrolled: 13-line block ×4, first 2 shown]
	;;#ASMSTART
	v_dot2_f32_f16 v61, v70, v62, v61
	;;#ASMEND
	;;#ASMSTART
	v_dot2_f32_f16 v61, v71, v63, v61
	;;#ASMEND
	;; [unrolled: 3-line block ×16, first 2 shown]
	ds_read_b128 v[62:65], v40 offset:48
	ds_read_b128 v[66:69], v41 offset:48
	;; [unrolled: 1-line block ×6, first 2 shown]
	s_waitcnt lgkmcnt(4)
	;;#ASMSTART
	v_dot2_f32_f16 v60, v66, v62, v60
	;;#ASMEND
	;;#ASMSTART
	v_dot2_f32_f16 v60, v67, v63, v60
	;;#ASMEND
	;;#ASMSTART
	v_dot2_f32_f16 v60, v68, v64, v60
	;;#ASMEND
	;;#ASMSTART
	v_dot2_f32_f16 v60, v69, v65, v60
	;;#ASMEND
	s_waitcnt lgkmcnt(2)
	;;#ASMSTART
	v_dot2_f32_f16 v35, v66, v74, v35
	;;#ASMEND
	;;#ASMSTART
	v_dot2_f32_f16 v35, v67, v75, v35
	;;#ASMEND
	;;#ASMSTART
	v_dot2_f32_f16 v35, v68, v76, v35
	;;#ASMEND
	;;#ASMSTART
	v_dot2_f32_f16 v35, v69, v77, v35
	;;#ASMEND
	;; [unrolled: 13-line block ×4, first 2 shown]
	;;#ASMSTART
	v_dot2_f32_f16 v61, v70, v62, v61
	;;#ASMEND
	;;#ASMSTART
	v_dot2_f32_f16 v61, v71, v63, v61
	;;#ASMEND
	;; [unrolled: 3-line block ×16, first 2 shown]
	ds_read_b128 v[62:65], v40 offset:64
	ds_read_b128 v[66:69], v41 offset:64
	;; [unrolled: 1-line block ×6, first 2 shown]
	s_waitcnt lgkmcnt(4)
	;;#ASMSTART
	v_dot2_f32_f16 v60, v66, v62, v60
	;;#ASMEND
	;;#ASMSTART
	v_dot2_f32_f16 v60, v67, v63, v60
	;;#ASMEND
	;;#ASMSTART
	v_dot2_f32_f16 v60, v68, v64, v60
	;;#ASMEND
	;;#ASMSTART
	v_dot2_f32_f16 v60, v69, v65, v60
	;;#ASMEND
	s_waitcnt lgkmcnt(2)
	;;#ASMSTART
	v_dot2_f32_f16 v35, v66, v74, v35
	;;#ASMEND
	;;#ASMSTART
	v_dot2_f32_f16 v35, v67, v75, v35
	;;#ASMEND
	;;#ASMSTART
	v_dot2_f32_f16 v35, v68, v76, v35
	;;#ASMEND
	;;#ASMSTART
	v_dot2_f32_f16 v35, v69, v77, v35
	;;#ASMEND
	;; [unrolled: 13-line block ×4, first 2 shown]
	;;#ASMSTART
	v_dot2_f32_f16 v61, v70, v62, v61
	;;#ASMEND
	;;#ASMSTART
	v_dot2_f32_f16 v61, v71, v63, v61
	;;#ASMEND
	;; [unrolled: 3-line block ×16, first 2 shown]
	ds_read_b128 v[62:65], v40 offset:80
	ds_read_b128 v[66:69], v41 offset:80
	;; [unrolled: 1-line block ×6, first 2 shown]
	s_waitcnt lgkmcnt(4)
	;;#ASMSTART
	v_dot2_f32_f16 v60, v66, v62, v60
	;;#ASMEND
	;;#ASMSTART
	v_dot2_f32_f16 v60, v67, v63, v60
	;;#ASMEND
	;;#ASMSTART
	v_dot2_f32_f16 v60, v68, v64, v60
	;;#ASMEND
	;;#ASMSTART
	v_dot2_f32_f16 v60, v69, v65, v60
	;;#ASMEND
	s_waitcnt lgkmcnt(2)
	;;#ASMSTART
	v_dot2_f32_f16 v35, v66, v74, v35
	;;#ASMEND
	;;#ASMSTART
	v_dot2_f32_f16 v35, v67, v75, v35
	;;#ASMEND
	;;#ASMSTART
	v_dot2_f32_f16 v35, v68, v76, v35
	;;#ASMEND
	;;#ASMSTART
	v_dot2_f32_f16 v35, v69, v77, v35
	;;#ASMEND
	;; [unrolled: 13-line block ×4, first 2 shown]
	;;#ASMSTART
	v_dot2_f32_f16 v61, v70, v62, v61
	;;#ASMEND
	;;#ASMSTART
	v_dot2_f32_f16 v61, v71, v63, v61
	;;#ASMEND
	;; [unrolled: 3-line block ×16, first 2 shown]
	ds_read_b128 v[62:65], v40 offset:96
	ds_read_b128 v[66:69], v41 offset:96
	;; [unrolled: 1-line block ×6, first 2 shown]
	s_waitcnt lgkmcnt(4)
	;;#ASMSTART
	v_dot2_f32_f16 v60, v66, v62, v60
	;;#ASMEND
	;;#ASMSTART
	v_dot2_f32_f16 v60, v67, v63, v60
	;;#ASMEND
	;;#ASMSTART
	v_dot2_f32_f16 v60, v68, v64, v60
	;;#ASMEND
	;;#ASMSTART
	v_dot2_f32_f16 v60, v69, v65, v60
	;;#ASMEND
	s_waitcnt lgkmcnt(2)
	;;#ASMSTART
	v_dot2_f32_f16 v35, v66, v74, v35
	;;#ASMEND
	;;#ASMSTART
	v_dot2_f32_f16 v35, v67, v75, v35
	;;#ASMEND
	;;#ASMSTART
	v_dot2_f32_f16 v35, v68, v76, v35
	;;#ASMEND
	;;#ASMSTART
	v_dot2_f32_f16 v35, v69, v77, v35
	;;#ASMEND
	;; [unrolled: 13-line block ×4, first 2 shown]
	;;#ASMSTART
	v_dot2_f32_f16 v61, v70, v62, v61
	;;#ASMEND
	;;#ASMSTART
	v_dot2_f32_f16 v61, v71, v63, v61
	;;#ASMEND
	;; [unrolled: 3-line block ×16, first 2 shown]
	ds_read_b128 v[62:65], v40 offset:112
	ds_read_b128 v[66:69], v41 offset:112
	;; [unrolled: 1-line block ×6, first 2 shown]
	s_waitcnt lgkmcnt(4)
	;;#ASMSTART
	v_dot2_f32_f16 v60, v66, v62, v60
	;;#ASMEND
	;;#ASMSTART
	v_dot2_f32_f16 v60, v67, v63, v60
	;;#ASMEND
	;;#ASMSTART
	v_dot2_f32_f16 v60, v68, v64, v60
	;;#ASMEND
	;;#ASMSTART
	v_dot2_f32_f16 v60, v69, v65, v60
	;;#ASMEND
	s_waitcnt lgkmcnt(2)
	;;#ASMSTART
	v_dot2_f32_f16 v35, v66, v74, v35
	;;#ASMEND
	;;#ASMSTART
	v_dot2_f32_f16 v35, v67, v75, v35
	;;#ASMEND
	;;#ASMSTART
	v_dot2_f32_f16 v35, v68, v76, v35
	;;#ASMEND
	;;#ASMSTART
	v_dot2_f32_f16 v35, v69, v77, v35
	;;#ASMEND
	;; [unrolled: 13-line block ×4, first 2 shown]
	;;#ASMSTART
	v_dot2_f32_f16 v61, v70, v62, v61
	;;#ASMEND
	;;#ASMSTART
	v_dot2_f32_f16 v61, v71, v63, v61
	;;#ASMEND
	;; [unrolled: 3-line block ×13, first 2 shown]
	v_add_u32_e32 v68, s36, v0
	;;#ASMSTART
	v_dot2_f32_f16 v4, v71, v83, v4
	;;#ASMEND
	v_add_u32_e32 v1, v68, v33
	;;#ASMSTART
	v_dot2_f32_f16 v4, v72, v84, v4
	;;#ASMEND
	v_ashrrev_i32_e32 v2, 31, v1
	v_mov_b32_e32 v62, 0
	;;#ASMSTART
	v_dot2_f32_f16 v4, v73, v85, v4
	;;#ASMEND
	s_cbranch_vccnz .LBB56_10
; %bb.9:                                ;   in Loop: Header=BB56_8 Depth=1
	v_lshlrev_b64 v[62:63], 1, v[1:2]
	v_mov_b32_e32 v64, s45
	v_add_co_u32_e32 v62, vcc, s44, v62
	v_addc_co_u32_e32 v63, vcc, v64, v63, vcc
	global_load_ushort v62, v[62:63], off
	s_waitcnt vmcnt(0)
	v_cvt_f32_f16_e32 v62, v62
	v_mul_f32_e32 v62, v24, v62
.LBB56_10:                              ;   in Loop: Header=BB56_8 Depth=1
	v_mov_b32_e32 v63, 0
	s_and_b64 vcc, exec, s[6:7]
	v_mov_b32_e32 v64, 0
	s_cbranch_vccnz .LBB56_12
; %bb.11:                               ;   in Loop: Header=BB56_8 Depth=1
	v_lshlrev_b64 v[1:2], 1, v[1:2]
	v_mov_b32_e32 v64, s45
	v_add_co_u32_e32 v1, vcc, s44, v1
	v_addc_co_u32_e32 v2, vcc, v64, v2, vcc
	global_load_ushort v1, v[1:2], off offset:64
	s_waitcnt vmcnt(0)
	v_cvt_f32_f16_e32 v1, v1
	v_mul_f32_e32 v64, v24, v1
.LBB56_12:                              ;   in Loop: Header=BB56_8 Depth=1
	v_and_b32_e32 v2, 0x60, v50
	v_add_f32_e32 v62, v60, v62
	v_add_u32_e32 v2, 32, v2
	v_xor_b32_e32 v60, 16, v50
	v_cmp_lt_i32_e32 vcc, v60, v2
	v_cndmask_b32_e32 v60, v50, v60, vcc
	v_add_f32_e32 v61, v61, v64
	v_add_f32_e32 v1, 0x40051340, v62
	v_lshlrev_b32_e32 v66, 2, v60
	v_add_f32_e32 v60, 0x40051340, v61
	v_max3_f32 v1, v59, v1, v60
	ds_bpermute_b32 v60, v66, v1
	v_xor_b32_e32 v64, 8, v50
	v_cmp_lt_i32_e32 vcc, v64, v2
	v_cndmask_b32_e32 v64, v50, v64, vcc
	v_lshlrev_b32_e32 v70, 2, v64
	s_waitcnt lgkmcnt(0)
	v_max_f32_e32 v60, v60, v60
	v_max_f32_e32 v1, v1, v60
	ds_bpermute_b32 v60, v70, v1
	v_xor_b32_e32 v64, 4, v50
	v_cmp_lt_i32_e32 vcc, v64, v2
	v_cndmask_b32_e32 v64, v50, v64, vcc
	v_lshlrev_b32_e32 v71, 2, v64
	s_waitcnt lgkmcnt(0)
	v_max_f32_e32 v60, v60, v60
	v_max_f32_e32 v1, v1, v60
	;; [unrolled: 8-line block ×4, first 2 shown]
	ds_bpermute_b32 v73, v67, v72
	v_add_u32_e32 v1, v68, v42
	s_and_b64 vcc, exec, s[6:7]
	v_ashrrev_i32_e32 v2, 31, v1
	s_cbranch_vccnz .LBB56_14
; %bb.13:                               ;   in Loop: Header=BB56_8 Depth=1
	v_lshlrev_b64 v[63:64], 1, v[1:2]
	v_mov_b32_e32 v60, s45
	v_add_co_u32_e32 v63, vcc, s44, v63
	v_addc_co_u32_e32 v64, vcc, v60, v64, vcc
	global_load_ushort v60, v[63:64], off
	s_waitcnt vmcnt(0)
	v_cvt_f32_f16_e32 v60, v60
	v_mul_f32_e32 v63, v24, v60
.LBB56_14:                              ;   in Loop: Header=BB56_8 Depth=1
	v_mov_b32_e32 v64, 0
	s_and_b64 vcc, exec, s[6:7]
	v_mov_b32_e32 v60, 0
	s_cbranch_vccnz .LBB56_16
; %bb.15:                               ;   in Loop: Header=BB56_8 Depth=1
	v_lshlrev_b64 v[1:2], 1, v[1:2]
	v_mov_b32_e32 v60, s45
	v_add_co_u32_e32 v1, vcc, s44, v1
	v_addc_co_u32_e32 v2, vcc, v60, v2, vcc
	global_load_ushort v1, v[1:2], off offset:64
	s_waitcnt vmcnt(0)
	v_cvt_f32_f16_e32 v1, v1
	v_mul_f32_e32 v60, v24, v1
.LBB56_16:                              ;   in Loop: Header=BB56_8 Depth=1
	v_add_f32_e32 v65, v35, v63
	v_add_f32_e32 v63, v37, v60
	;; [unrolled: 1-line block ×4, first 2 shown]
	v_max3_f32 v1, v57, v1, v2
	ds_bpermute_b32 v2, v66, v1
	s_and_b64 vcc, exec, s[6:7]
	s_waitcnt lgkmcnt(0)
	v_max_f32_e32 v2, v2, v2
	v_max_f32_e32 v1, v1, v2
	ds_bpermute_b32 v2, v70, v1
	s_waitcnt lgkmcnt(0)
	v_max_f32_e32 v2, v2, v2
	v_max_f32_e32 v1, v1, v2
	ds_bpermute_b32 v2, v71, v1
	;; [unrolled: 4-line block ×4, first 2 shown]
	v_add_u32_e32 v1, v68, v43
	v_ashrrev_i32_e32 v2, 31, v1
	s_cbranch_vccnz .LBB56_18
; %bb.17:                               ;   in Loop: Header=BB56_8 Depth=1
	v_lshlrev_b64 v[75:76], 1, v[1:2]
	v_mov_b32_e32 v37, s45
	v_add_co_u32_e32 v75, vcc, s44, v75
	v_addc_co_u32_e32 v76, vcc, v37, v76, vcc
	global_load_ushort v37, v[75:76], off
	s_waitcnt vmcnt(0)
	v_cvt_f32_f16_e32 v37, v37
	v_mul_f32_e32 v64, v24, v37
.LBB56_18:                              ;   in Loop: Header=BB56_8 Depth=1
	v_mov_b32_e32 v60, 0
	s_and_b64 vcc, exec, s[6:7]
	v_mov_b32_e32 v37, 0
	s_cbranch_vccnz .LBB56_20
; %bb.19:                               ;   in Loop: Header=BB56_8 Depth=1
	v_lshlrev_b64 v[1:2], 1, v[1:2]
	v_mov_b32_e32 v37, s45
	v_add_co_u32_e32 v1, vcc, s44, v1
	v_addc_co_u32_e32 v2, vcc, v37, v2, vcc
	global_load_ushort v1, v[1:2], off offset:64
	s_waitcnt vmcnt(0)
	v_cvt_f32_f16_e32 v1, v1
	v_mul_f32_e32 v37, v24, v1
.LBB56_20:                              ;   in Loop: Header=BB56_8 Depth=1
	v_add_f32_e32 v64, v34, v64
	v_add_f32_e32 v37, v36, v37
	;; [unrolled: 1-line block ×4, first 2 shown]
	v_max3_f32 v1, v55, v1, v2
	ds_bpermute_b32 v2, v66, v1
	s_and_b64 vcc, exec, s[6:7]
	s_waitcnt lgkmcnt(0)
	v_max_f32_e32 v2, v2, v2
	v_max_f32_e32 v1, v1, v2
	ds_bpermute_b32 v2, v70, v1
	s_waitcnt lgkmcnt(0)
	v_max_f32_e32 v2, v2, v2
	v_max_f32_e32 v1, v1, v2
	ds_bpermute_b32 v2, v71, v1
	;; [unrolled: 4-line block ×4, first 2 shown]
	v_add_u32_e32 v1, v68, v44
	v_ashrrev_i32_e32 v2, 31, v1
	s_cbranch_vccnz .LBB56_22
; %bb.21:                               ;   in Loop: Header=BB56_8 Depth=1
	v_lshlrev_b64 v[76:77], 1, v[1:2]
	v_mov_b32_e32 v36, s45
	v_add_co_u32_e32 v76, vcc, s44, v76
	v_addc_co_u32_e32 v77, vcc, v36, v77, vcc
	global_load_ushort v36, v[76:77], off
	s_waitcnt vmcnt(0)
	v_cvt_f32_f16_e32 v36, v36
	v_mul_f32_e32 v60, v24, v36
.LBB56_22:                              ;   in Loop: Header=BB56_8 Depth=1
	s_and_b64 vcc, exec, s[6:7]
	s_cbranch_vccnz .LBB56_24
; %bb.23:                               ;   in Loop: Header=BB56_8 Depth=1
	v_lshlrev_b64 v[1:2], 1, v[1:2]
	v_mov_b32_e32 v36, s45
	v_add_co_u32_e32 v1, vcc, s44, v1
	v_addc_co_u32_e32 v2, vcc, v36, v2, vcc
	global_load_ushort v1, v[1:2], off offset:64
	s_waitcnt vmcnt(0)
	v_cvt_f32_f16_e32 v1, v1
	v_mul_f32_e32 v1, v24, v1
	s_branch .LBB56_25
.LBB56_24:                              ;   in Loop: Header=BB56_8 Depth=1
	v_mov_b32_e32 v1, 0
.LBB56_25:                              ;   in Loop: Header=BB56_8 Depth=1
	v_add_f32_e32 v60, v3, v60
	v_add_f32_e32 v36, v4, v1
	;; [unrolled: 1-line block ×4, first 2 shown]
	v_max3_f32 v1, v53, v2, v1
	ds_bpermute_b32 v2, v66, v1
	s_waitcnt lgkmcnt(1)
	v_max_f32_e32 v3, v75, v75
	v_max_f32_e32 v4, v34, v34
	;; [unrolled: 1-line block ×4, first 2 shown]
	s_waitcnt lgkmcnt(0)
	v_max_f32_e32 v2, v2, v2
	v_max_f32_e32 v1, v1, v2
	ds_bpermute_b32 v2, v70, v1
	v_max_f32_e32 v35, v35, v35
	v_max_f32_e32 v66, v73, v73
	;; [unrolled: 1-line block ×3, first 2 shown]
	v_sub_f32_e32 v37, v37, v3
	s_waitcnt lgkmcnt(0)
	v_max_f32_e32 v2, v2, v2
	v_max_f32_e32 v70, v1, v2
	ds_bpermute_b32 v71, v71, v70
	v_max_f32_e32 v2, v35, v34
	v_max_f32_e32 v1, v68, v66
	v_sub_f32_e32 v35, v62, v1
	v_mul_f32_e32 v62, 0x3fb8aa3b, v35
	s_waitcnt lgkmcnt(0)
	v_max_f32_e32 v4, v71, v71
	v_max_f32_e32 v4, v70, v4
	ds_bpermute_b32 v34, v69, v4
	v_fma_f32 v66, v35, s16, -v62
	v_rndne_f32_e32 v68, v62
	v_fmac_f32_e32 v66, 0x32a5705f, v35
	v_sub_f32_e32 v62, v62, v68
	s_waitcnt lgkmcnt(0)
	v_max_f32_e32 v34, v34, v34
	v_max_f32_e32 v4, v4, v34
	ds_bpermute_b32 v34, v67, v4
	v_add_f32_e32 v62, v62, v66
	v_exp_f32_e32 v62, v62
	v_sub_f32_e32 v61, v61, v1
	v_sub_f32_e32 v66, v59, v1
	s_waitcnt lgkmcnt(0)
	v_max_f32_e32 v34, v34, v34
	v_max_f32_e32 v4, v4, v34
	v_cvt_i32_f32_e32 v34, v68
	v_mul_f32_e32 v59, 0x3fb8aa3b, v61
	v_rndne_f32_e32 v67, v59
	v_cmp_ngt_f32_e32 vcc, s17, v35
	v_ldexp_f32 v34, v62, v34
	v_fma_f32 v62, v61, s16, -v59
	v_fmac_f32_e32 v62, 0x32a5705f, v61
	v_sub_f32_e32 v59, v59, v67
	v_add_f32_e32 v59, v59, v62
	v_exp_f32_e32 v62, v59
	v_cvt_i32_f32_e32 v67, v67
	v_cndmask_b32_e32 v34, 0, v34, vcc
	v_cmp_nlt_f32_e32 vcc, s18, v35
	v_cndmask_b32_e32 v34, v51, v34, vcc
	v_ldexp_f32 v35, v62, v67
	v_mul_f32_e32 v62, 0x3fb8aa3b, v66
	v_fma_f32 v67, v66, s16, -v62
	v_rndne_f32_e32 v68, v62
	v_fmac_f32_e32 v67, 0x32a5705f, v66
	v_sub_f32_e32 v62, v62, v68
	v_add_f32_e32 v62, v62, v67
	v_exp_f32_e32 v62, v62
	v_cvt_i32_f32_e32 v67, v68
	v_cmp_ngt_f32_e32 vcc, s17, v61
	v_cndmask_b32_e32 v35, 0, v35, vcc
	v_cmp_nlt_f32_e32 vcc, s18, v61
	v_cndmask_b32_e32 v61, v51, v35, vcc
	v_cvt_f16_f32_e32 v59, v34
	v_add_f32_e32 v35, v34, v61
	v_ldexp_f32 v34, v62, v67
	v_cmp_ngt_f32_e32 vcc, s17, v66
	v_sub_f32_e32 v65, v65, v2
	v_cndmask_b32_e32 v34, 0, v34, vcc
	v_cmp_nlt_f32_e32 vcc, s18, v66
	v_mul_f32_e32 v66, 0x3fb8aa3b, v65
	v_cndmask_b32_e32 v34, v51, v34, vcc
	v_fma_f32 v67, v65, s16, -v66
	v_rndne_f32_e32 v68, v66
	v_cvt_f16_f32_e32 v62, v34
	v_fmac_f32_e32 v67, 0x32a5705f, v65
	v_sub_f32_e32 v66, v66, v68
	v_add_f32_e32 v66, v66, v67
	v_exp_f32_e32 v66, v66
	v_cvt_i32_f32_e32 v67, v68
	v_fmac_f32_e32 v35, v58, v34
	v_mul_u32_u24_e32 v58, 0x10001, v62
	v_sub_f32_e32 v62, v63, v2
	v_mul_f32_e32 v63, 0x3fb8aa3b, v62
	v_ldexp_f32 v34, v66, v67
	v_fma_f32 v66, v62, s16, -v63
	v_rndne_f32_e32 v67, v63
	v_fmac_f32_e32 v66, 0x32a5705f, v62
	v_sub_f32_e32 v63, v63, v67
	v_add_f32_e32 v63, v63, v66
	v_exp_f32_e32 v63, v63
	v_cvt_i32_f32_e32 v66, v67
	v_sub_f32_e32 v57, v57, v2
	v_cmp_ngt_f32_e32 vcc, s17, v65
	v_cndmask_b32_e32 v34, 0, v34, vcc
	v_cmp_nlt_f32_e32 vcc, s18, v65
	v_mul_f32_e32 v65, 0x3fb8aa3b, v57
	v_ldexp_f32 v63, v63, v66
	v_fma_f32 v66, v57, s16, -v65
	v_rndne_f32_e32 v67, v65
	v_fmac_f32_e32 v66, 0x32a5705f, v57
	v_sub_f32_e32 v65, v65, v67
	v_add_f32_e32 v65, v65, v66
	v_cndmask_b32_e32 v34, v51, v34, vcc
	v_cmp_ngt_f32_e32 vcc, s17, v62
	v_exp_f32_e32 v65, v65
	v_cvt_i32_f32_e32 v66, v67
	v_cndmask_b32_e32 v63, 0, v63, vcc
	v_cmp_nlt_f32_e32 vcc, s18, v62
	v_cndmask_b32_e32 v62, v51, v63, vcc
	v_sub_f32_e32 v63, v64, v3
	v_mul_f32_e32 v64, 0x3fb8aa3b, v63
	v_cvt_f16_f32_e32 v70, v34
	v_add_f32_e32 v34, v34, v62
	v_cvt_f16_f32_e32 v71, v62
	v_ldexp_f32 v62, v65, v66
	v_fma_f32 v65, v63, s16, -v64
	v_rndne_f32_e32 v66, v64
	v_fmac_f32_e32 v65, 0x32a5705f, v63
	v_sub_f32_e32 v64, v64, v66
	v_add_f32_e32 v64, v64, v65
	v_cmp_ngt_f32_e32 vcc, s17, v57
	v_exp_f32_e32 v64, v64
	v_cvt_i32_f32_e32 v65, v66
	v_cndmask_b32_e32 v62, 0, v62, vcc
	v_cmp_nlt_f32_e32 vcc, s18, v57
	v_cndmask_b32_e32 v57, v51, v62, vcc
	v_cvt_f16_f32_e32 v62, v57
	v_fmac_f32_e32 v34, v56, v57
	v_sub_f32_e32 v57, v55, v3
	v_ldexp_f32 v55, v64, v65
	v_cmp_ngt_f32_e32 vcc, s17, v63
	v_cndmask_b32_e32 v55, 0, v55, vcc
	v_cmp_nlt_f32_e32 vcc, s18, v63
	v_cndmask_b32_e32 v73, v51, v55, vcc
	v_mul_f32_e32 v55, 0x3fb8aa3b, v37
	s_mul_hi_i32 s41, s36, s8
	s_mul_i32 s40, s36, s8
	v_mul_u32_u24_e32 v72, 0x10001, v62
	v_fma_f32 v56, v37, s16, -v55
	v_rndne_f32_e32 v62, v55
	s_lshl_b64 s[40:41], s[40:41], 2
	v_fmac_f32_e32 v56, 0x32a5705f, v37
	v_sub_f32_e32 v55, v55, v62
	s_add_u32 s39, s22, s40
	v_add_f32_e32 v55, v55, v56
	s_addc_u32 s40, s23, s41
	v_exp_f32_e32 v74, v55
	v_mov_b32_e32 v55, s40
	v_add_co_u32_e32 v56, vcc, s39, v9
	v_cvt_i32_f32_e32 v75, v62
	v_addc_co_u32_e32 v62, vcc, v55, v10, vcc
	v_add_co_u32_e32 v55, vcc, v56, v48
	v_addc_co_u32_e32 v56, vcc, 0, v62, vcc
	v_mov_b32_e32 v62, s40
	v_add_co_u32_e32 v63, vcc, s39, v11
	v_addc_co_u32_e32 v62, vcc, v62, v12, vcc
	v_add_co_u32_e32 v66, vcc, v63, v48
	v_addc_co_u32_e32 v67, vcc, 0, v62, vcc
	s_barrier
	global_load_dwordx4 v[62:65], v[55:56], off
	s_nop 0
	global_load_dwordx4 v[66:69], v[66:67], off
	v_ldexp_f32 v56, v74, v75
	v_mul_f32_e32 v74, 0x3fb8aa3b, v57
	v_fma_f32 v75, v57, s16, -v74
	v_rndne_f32_e32 v76, v74
	v_fmac_f32_e32 v75, 0x32a5705f, v57
	v_sub_f32_e32 v74, v74, v76
	v_add_f32_e32 v74, v74, v75
	v_exp_f32_e32 v74, v74
	v_cvt_i32_f32_e32 v75, v76
	v_cmp_ngt_f32_e32 vcc, s17, v37
	v_cndmask_b32_e32 v56, 0, v56, vcc
	v_cmp_nlt_f32_e32 vcc, s18, v37
	v_cndmask_b32_e32 v56, v51, v56, vcc
	v_sub_f32_e32 v60, v60, v4
	v_cvt_f16_f32_e32 v55, v73
	v_add_f32_e32 v37, v73, v56
	v_ldexp_f32 v73, v74, v75
	v_mul_f32_e32 v74, 0x3fb8aa3b, v60
	v_fma_f32 v75, v60, s16, -v74
	v_rndne_f32_e32 v76, v74
	v_fmac_f32_e32 v75, 0x32a5705f, v60
	v_sub_f32_e32 v74, v74, v76
	v_add_f32_e32 v74, v74, v75
	v_cmp_ngt_f32_e32 vcc, s17, v57
	v_exp_f32_e32 v74, v74
	v_cvt_i32_f32_e32 v75, v76
	v_cndmask_b32_e32 v73, 0, v73, vcc
	v_cmp_nlt_f32_e32 vcc, s18, v57
	v_cndmask_b32_e32 v57, v51, v73, vcc
	v_sub_f32_e32 v36, v36, v4
	v_cvt_f16_f32_e32 v73, v57
	v_fmac_f32_e32 v37, v54, v57
	v_mul_f32_e32 v57, 0x3fb8aa3b, v36
	v_ldexp_f32 v54, v74, v75
	v_fma_f32 v74, v36, s16, -v57
	v_rndne_f32_e32 v75, v57
	v_fmac_f32_e32 v74, 0x32a5705f, v36
	v_sub_f32_e32 v57, v57, v75
	v_add_f32_e32 v57, v57, v74
	v_exp_f32_e32 v57, v57
	v_cvt_i32_f32_e32 v74, v75
	v_sub_f32_e32 v53, v53, v4
	v_cmp_ngt_f32_e32 vcc, s17, v60
	v_cndmask_b32_e32 v54, 0, v54, vcc
	v_ldexp_f32 v57, v57, v74
	v_mul_f32_e32 v74, 0x3fb8aa3b, v53
	v_fma_f32 v75, v53, s16, -v74
	v_rndne_f32_e32 v76, v74
	v_fmac_f32_e32 v75, 0x32a5705f, v53
	v_sub_f32_e32 v74, v74, v76
	v_add_f32_e32 v74, v74, v75
	v_exp_f32_e32 v74, v74
	v_cvt_i32_f32_e32 v75, v76
	v_cmp_nlt_f32_e32 vcc, s18, v60
	v_cndmask_b32_e32 v54, v51, v54, vcc
	v_cmp_ngt_f32_e32 vcc, s17, v36
	v_cndmask_b32_e32 v57, 0, v57, vcc
	v_cmp_nlt_f32_e32 vcc, s18, v36
	v_cndmask_b32_e32 v57, v51, v57, vcc
	v_ldexp_f32 v36, v74, v75
	v_cmp_ngt_f32_e32 vcc, s17, v53
	v_cndmask_b32_e32 v36, 0, v36, vcc
	v_cmp_nlt_f32_e32 vcc, s18, v53
	v_cndmask_b32_e32 v53, v51, v36, vcc
	v_cvt_f16_f32_e32 v74, v53
	v_cvt_f16_f32_e32 v61, v61
	;; [unrolled: 1-line block ×4, first 2 shown]
	v_add_f32_e32 v36, v54, v57
	v_cvt_f16_f32_e32 v54, v57
	v_fmac_f32_e32 v36, v52, v53
	v_mul_u32_u24_e32 v52, 0x10001, v74
	v_pk_mul_f16 v23, v23, v52
	v_pack_b32_f16 v53, v55, v60
	v_pack_b32_f16 v52, v59, v70
	;; [unrolled: 1-line block ×4, first 2 shown]
	ds_write2_b64 v49, v[52:53], v[54:55] offset1:32
	s_waitcnt vmcnt(1)
	ds_write_b128 v46, v[62:65]
	s_waitcnt vmcnt(0)
	ds_write_b128 v47, v[66:69]
	s_waitcnt lgkmcnt(0)
	s_barrier
	ds_read_b128 v[52:55], v45
	ds_read2_b32 v[56:57], v22 offset1:32
	ds_read_b128 v[59:62], v45 offset:16
	ds_read_b128 v[63:66], v45 offset:32
	;; [unrolled: 1-line block ×3, first 2 shown]
	s_waitcnt lgkmcnt(4)
	v_mul_u32_u24_sdwa v71, v52, s19 dst_sel:DWORD dst_unused:UNUSED_PAD src0_sel:WORD_0 src1_sel:DWORD
	v_mul_u32_u24_sdwa v52, v52, s19 dst_sel:DWORD dst_unused:UNUSED_PAD src0_sel:WORD_1 src1_sel:DWORD
	v_mul_u32_u24_sdwa v74, v53, s19 dst_sel:DWORD dst_unused:UNUSED_PAD src0_sel:WORD_0 src1_sel:DWORD
	s_waitcnt lgkmcnt(3)
	v_pk_mul_f16 v52, v56, v52
	v_mul_u32_u24_e32 v73, 0x10001, v73
	v_mul_u32_u24_sdwa v53, v53, s19 dst_sel:DWORD dst_unused:UNUSED_PAD src0_sel:WORD_1 src1_sel:DWORD
	v_pk_mul_f16 v71, v56, v71
	v_pk_fma_f16 v26, v26, v72, v52
	v_pk_mul_f16 v52, v56, v74
	v_pk_fma_f16 v27, v27, v58, v71
	v_pk_fma_f16 v25, v25, v73, v52
	;; [unrolled: 1-line block ×3, first 2 shown]
	v_mul_u32_u24_sdwa v52, v54, s19 dst_sel:DWORD dst_unused:UNUSED_PAD src0_sel:WORD_0 src1_sel:DWORD
	v_mul_u32_u24_sdwa v53, v54, s19 dst_sel:DWORD dst_unused:UNUSED_PAD src0_sel:WORD_1 src1_sel:DWORD
	v_mul_u32_u24_sdwa v54, v55, s19 dst_sel:DWORD dst_unused:UNUSED_PAD src0_sel:WORD_0 src1_sel:DWORD
	v_pk_fma_f16 v27, v57, v52, v27
	v_pk_fma_f16 v52, v57, v53, v26
	;; [unrolled: 1-line block ×3, first 2 shown]
	ds_read2_b32 v[25:26], v22 offset0:64 offset1:96
	v_mul_u32_u24_sdwa v55, v55, s19 dst_sel:DWORD dst_unused:UNUSED_PAD src0_sel:WORD_1 src1_sel:DWORD
	v_pk_fma_f16 v23, v57, v55, v23
	s_waitcnt lgkmcnt(3)
	v_mul_u32_u24_sdwa v54, v59, s19 dst_sel:DWORD dst_unused:UNUSED_PAD src0_sel:WORD_0 src1_sel:DWORD
	v_mul_u32_u24_sdwa v55, v59, s19 dst_sel:DWORD dst_unused:UNUSED_PAD src0_sel:WORD_1 src1_sel:DWORD
	v_mul_u32_u24_sdwa v56, v60, s19 dst_sel:DWORD dst_unused:UNUSED_PAD src0_sel:WORD_0 src1_sel:DWORD
	v_mul_u32_u24_sdwa v57, v60, s19 dst_sel:DWORD dst_unused:UNUSED_PAD src0_sel:WORD_1 src1_sel:DWORD
	s_waitcnt lgkmcnt(0)
	v_pk_fma_f16 v27, v25, v54, v27
	v_pk_fma_f16 v52, v25, v55, v52
	;; [unrolled: 1-line block ×4, first 2 shown]
	v_mul_u32_u24_sdwa v25, v61, s19 dst_sel:DWORD dst_unused:UNUSED_PAD src0_sel:WORD_0 src1_sel:DWORD
	v_mul_u32_u24_sdwa v54, v61, s19 dst_sel:DWORD dst_unused:UNUSED_PAD src0_sel:WORD_1 src1_sel:DWORD
	v_mul_u32_u24_sdwa v55, v62, s19 dst_sel:DWORD dst_unused:UNUSED_PAD src0_sel:WORD_0 src1_sel:DWORD
	v_mul_u32_u24_sdwa v56, v62, s19 dst_sel:DWORD dst_unused:UNUSED_PAD src0_sel:WORD_1 src1_sel:DWORD
	v_pk_fma_f16 v27, v26, v25, v27
	v_pk_fma_f16 v52, v26, v54, v52
	;; [unrolled: 1-line block ×4, first 2 shown]
	ds_read2_b32 v[25:26], v22 offset0:128 offset1:160
	v_mul_u32_u24_sdwa v54, v63, s19 dst_sel:DWORD dst_unused:UNUSED_PAD src0_sel:WORD_0 src1_sel:DWORD
	v_mul_u32_u24_sdwa v55, v63, s19 dst_sel:DWORD dst_unused:UNUSED_PAD src0_sel:WORD_1 src1_sel:DWORD
	v_mul_u32_u24_sdwa v56, v64, s19 dst_sel:DWORD dst_unused:UNUSED_PAD src0_sel:WORD_0 src1_sel:DWORD
	v_mul_u32_u24_sdwa v57, v64, s19 dst_sel:DWORD dst_unused:UNUSED_PAD src0_sel:WORD_1 src1_sel:DWORD
	s_waitcnt lgkmcnt(0)
	v_pk_fma_f16 v27, v25, v54, v27
	v_pk_fma_f16 v52, v25, v55, v52
	;; [unrolled: 1-line block ×4, first 2 shown]
	v_mul_u32_u24_sdwa v25, v65, s19 dst_sel:DWORD dst_unused:UNUSED_PAD src0_sel:WORD_0 src1_sel:DWORD
	v_mul_u32_u24_sdwa v54, v65, s19 dst_sel:DWORD dst_unused:UNUSED_PAD src0_sel:WORD_1 src1_sel:DWORD
	v_mul_u32_u24_sdwa v55, v66, s19 dst_sel:DWORD dst_unused:UNUSED_PAD src0_sel:WORD_0 src1_sel:DWORD
	v_mul_u32_u24_sdwa v56, v66, s19 dst_sel:DWORD dst_unused:UNUSED_PAD src0_sel:WORD_1 src1_sel:DWORD
	v_pk_fma_f16 v27, v26, v25, v27
	v_pk_fma_f16 v52, v26, v54, v52
	;; [unrolled: 1-line block ×4, first 2 shown]
	ds_read2_b32 v[25:26], v22 offset0:192 offset1:224
	v_mul_u32_u24_sdwa v54, v67, s19 dst_sel:DWORD dst_unused:UNUSED_PAD src0_sel:WORD_0 src1_sel:DWORD
	v_mul_u32_u24_sdwa v55, v67, s19 dst_sel:DWORD dst_unused:UNUSED_PAD src0_sel:WORD_1 src1_sel:DWORD
	v_mul_u32_u24_sdwa v56, v68, s19 dst_sel:DWORD dst_unused:UNUSED_PAD src0_sel:WORD_0 src1_sel:DWORD
	v_mul_u32_u24_sdwa v57, v68, s19 dst_sel:DWORD dst_unused:UNUSED_PAD src0_sel:WORD_1 src1_sel:DWORD
	s_waitcnt lgkmcnt(0)
	v_pk_fma_f16 v27, v25, v54, v27
	v_pk_fma_f16 v52, v25, v55, v52
	;; [unrolled: 1-line block ×3, first 2 shown]
	v_mul_u32_u24_sdwa v54, v69, s19 dst_sel:DWORD dst_unused:UNUSED_PAD src0_sel:WORD_1 src1_sel:DWORD
	v_mul_u32_u24_sdwa v55, v70, s19 dst_sel:DWORD dst_unused:UNUSED_PAD src0_sel:WORD_0 src1_sel:DWORD
	v_pk_fma_f16 v60, v26, v54, v52
	v_pk_fma_f16 v61, v26, v55, v53
	ds_read_b128 v[52:55], v45 offset:64
	v_pk_fma_f16 v23, v25, v57, v23
	v_mul_u32_u24_sdwa v25, v69, s19 dst_sel:DWORD dst_unused:UNUSED_PAD src0_sel:WORD_0 src1_sel:DWORD
	v_mul_u32_u24_sdwa v56, v70, s19 dst_sel:DWORD dst_unused:UNUSED_PAD src0_sel:WORD_1 src1_sel:DWORD
	v_add_u32_e32 v62, 0x400, v22
	v_pk_fma_f16 v27, v26, v25, v27
	v_pk_fma_f16 v23, v26, v56, v23
	ds_read2_b32 v[25:26], v62 offset1:32
	ds_read_b128 v[56:59], v45 offset:80
	s_waitcnt lgkmcnt(2)
	v_mul_u32_u24_sdwa v63, v52, s19 dst_sel:DWORD dst_unused:UNUSED_PAD src0_sel:WORD_0 src1_sel:DWORD
	v_mul_u32_u24_sdwa v52, v52, s19 dst_sel:DWORD dst_unused:UNUSED_PAD src0_sel:WORD_1 src1_sel:DWORD
	v_mul_u32_u24_sdwa v64, v53, s19 dst_sel:DWORD dst_unused:UNUSED_PAD src0_sel:WORD_0 src1_sel:DWORD
	v_mul_u32_u24_sdwa v53, v53, s19 dst_sel:DWORD dst_unused:UNUSED_PAD src0_sel:WORD_1 src1_sel:DWORD
	s_waitcnt lgkmcnt(1)
	v_pk_fma_f16 v27, v25, v63, v27
	v_pk_fma_f16 v52, v25, v52, v60
	;; [unrolled: 1-line block ×4, first 2 shown]
	v_mul_u32_u24_sdwa v25, v54, s19 dst_sel:DWORD dst_unused:UNUSED_PAD src0_sel:WORD_0 src1_sel:DWORD
	v_mul_u32_u24_sdwa v53, v54, s19 dst_sel:DWORD dst_unused:UNUSED_PAD src0_sel:WORD_1 src1_sel:DWORD
	v_mul_u32_u24_sdwa v54, v55, s19 dst_sel:DWORD dst_unused:UNUSED_PAD src0_sel:WORD_0 src1_sel:DWORD
	v_mul_u32_u24_sdwa v55, v55, s19 dst_sel:DWORD dst_unused:UNUSED_PAD src0_sel:WORD_1 src1_sel:DWORD
	v_pk_fma_f16 v27, v26, v25, v27
	v_pk_fma_f16 v52, v26, v53, v52
	;; [unrolled: 1-line block ×4, first 2 shown]
	ds_read2_b32 v[25:26], v62 offset0:64 offset1:96
	s_waitcnt lgkmcnt(1)
	v_mul_u32_u24_sdwa v54, v56, s19 dst_sel:DWORD dst_unused:UNUSED_PAD src0_sel:WORD_0 src1_sel:DWORD
	v_mul_u32_u24_sdwa v55, v56, s19 dst_sel:DWORD dst_unused:UNUSED_PAD src0_sel:WORD_1 src1_sel:DWORD
	v_mul_u32_u24_sdwa v56, v57, s19 dst_sel:DWORD dst_unused:UNUSED_PAD src0_sel:WORD_0 src1_sel:DWORD
	v_mul_u32_u24_sdwa v57, v57, s19 dst_sel:DWORD dst_unused:UNUSED_PAD src0_sel:WORD_1 src1_sel:DWORD
	s_waitcnt lgkmcnt(0)
	v_pk_fma_f16 v52, v25, v55, v52
	v_pk_fma_f16 v56, v25, v56, v53
	v_mul_u32_u24_sdwa v53, v58, s19 dst_sel:DWORD dst_unused:UNUSED_PAD src0_sel:WORD_1 src1_sel:DWORD
	v_pk_fma_f16 v27, v25, v54, v27
	v_pk_fma_f16 v60, v26, v53, v52
	ds_read_b128 v[52:55], v45 offset:96
	v_pk_fma_f16 v23, v25, v57, v23
	v_mul_u32_u24_sdwa v25, v58, s19 dst_sel:DWORD dst_unused:UNUSED_PAD src0_sel:WORD_0 src1_sel:DWORD
	v_mul_u32_u24_sdwa v57, v59, s19 dst_sel:DWORD dst_unused:UNUSED_PAD src0_sel:WORD_0 src1_sel:DWORD
	v_mul_u32_u24_sdwa v58, v59, s19 dst_sel:DWORD dst_unused:UNUSED_PAD src0_sel:WORD_1 src1_sel:DWORD
	v_pk_fma_f16 v27, v26, v25, v27
	v_pk_fma_f16 v61, v26, v57, v56
	;; [unrolled: 1-line block ×3, first 2 shown]
	ds_read2_b32 v[25:26], v62 offset0:128 offset1:160
	ds_read_b128 v[56:59], v45 offset:112
	s_waitcnt lgkmcnt(2)
	v_mul_u32_u24_sdwa v63, v52, s19 dst_sel:DWORD dst_unused:UNUSED_PAD src0_sel:WORD_0 src1_sel:DWORD
	v_mul_u32_u24_sdwa v52, v52, s19 dst_sel:DWORD dst_unused:UNUSED_PAD src0_sel:WORD_1 src1_sel:DWORD
	v_mul_u32_u24_sdwa v64, v53, s19 dst_sel:DWORD dst_unused:UNUSED_PAD src0_sel:WORD_0 src1_sel:DWORD
	v_mul_u32_u24_sdwa v53, v53, s19 dst_sel:DWORD dst_unused:UNUSED_PAD src0_sel:WORD_1 src1_sel:DWORD
	s_waitcnt lgkmcnt(1)
	v_pk_fma_f16 v27, v25, v63, v27
	v_pk_fma_f16 v52, v25, v52, v60
	;; [unrolled: 1-line block ×4, first 2 shown]
	v_mul_u32_u24_sdwa v25, v54, s19 dst_sel:DWORD dst_unused:UNUSED_PAD src0_sel:WORD_0 src1_sel:DWORD
	v_mul_u32_u24_sdwa v53, v54, s19 dst_sel:DWORD dst_unused:UNUSED_PAD src0_sel:WORD_1 src1_sel:DWORD
	v_mul_u32_u24_sdwa v54, v55, s19 dst_sel:DWORD dst_unused:UNUSED_PAD src0_sel:WORD_0 src1_sel:DWORD
	v_mul_u32_u24_sdwa v55, v55, s19 dst_sel:DWORD dst_unused:UNUSED_PAD src0_sel:WORD_1 src1_sel:DWORD
	v_pk_fma_f16 v27, v26, v25, v27
	v_pk_fma_f16 v52, v26, v53, v52
	;; [unrolled: 1-line block ×4, first 2 shown]
	ds_read2_b32 v[25:26], v62 offset0:192 offset1:224
	s_waitcnt lgkmcnt(1)
	v_mul_u32_u24_sdwa v54, v56, s19 dst_sel:DWORD dst_unused:UNUSED_PAD src0_sel:WORD_0 src1_sel:DWORD
	v_mul_u32_u24_sdwa v55, v56, s19 dst_sel:DWORD dst_unused:UNUSED_PAD src0_sel:WORD_1 src1_sel:DWORD
	v_mul_u32_u24_sdwa v56, v57, s19 dst_sel:DWORD dst_unused:UNUSED_PAD src0_sel:WORD_0 src1_sel:DWORD
	v_mul_u32_u24_sdwa v57, v57, s19 dst_sel:DWORD dst_unused:UNUSED_PAD src0_sel:WORD_1 src1_sel:DWORD
	s_waitcnt lgkmcnt(0)
	v_pk_fma_f16 v27, v25, v54, v27
	v_pk_fma_f16 v52, v25, v55, v52
	;; [unrolled: 1-line block ×3, first 2 shown]
	v_mul_u32_u24_sdwa v54, v58, s19 dst_sel:DWORD dst_unused:UNUSED_PAD src0_sel:WORD_1 src1_sel:DWORD
	v_mul_u32_u24_sdwa v55, v59, s19 dst_sel:DWORD dst_unused:UNUSED_PAD src0_sel:WORD_0 src1_sel:DWORD
	v_pk_fma_f16 v60, v26, v54, v52
	v_pk_fma_f16 v61, v26, v55, v53
	ds_read_b128 v[52:55], v45 offset:128
	v_pk_fma_f16 v23, v25, v57, v23
	v_mul_u32_u24_sdwa v25, v58, s19 dst_sel:DWORD dst_unused:UNUSED_PAD src0_sel:WORD_0 src1_sel:DWORD
	v_mul_u32_u24_sdwa v56, v59, s19 dst_sel:DWORD dst_unused:UNUSED_PAD src0_sel:WORD_1 src1_sel:DWORD
	v_add_u32_e32 v62, 0x800, v22
	v_pk_fma_f16 v27, v26, v25, v27
	v_pk_fma_f16 v23, v26, v56, v23
	ds_read2_b32 v[25:26], v62 offset1:32
	ds_read_b128 v[56:59], v45 offset:144
	s_waitcnt lgkmcnt(2)
	v_mul_u32_u24_sdwa v63, v52, s19 dst_sel:DWORD dst_unused:UNUSED_PAD src0_sel:WORD_0 src1_sel:DWORD
	v_mul_u32_u24_sdwa v52, v52, s19 dst_sel:DWORD dst_unused:UNUSED_PAD src0_sel:WORD_1 src1_sel:DWORD
	v_mul_u32_u24_sdwa v64, v53, s19 dst_sel:DWORD dst_unused:UNUSED_PAD src0_sel:WORD_0 src1_sel:DWORD
	v_mul_u32_u24_sdwa v53, v53, s19 dst_sel:DWORD dst_unused:UNUSED_PAD src0_sel:WORD_1 src1_sel:DWORD
	s_waitcnt lgkmcnt(1)
	v_pk_fma_f16 v27, v25, v63, v27
	v_pk_fma_f16 v52, v25, v52, v60
	;; [unrolled: 1-line block ×4, first 2 shown]
	v_mul_u32_u24_sdwa v25, v54, s19 dst_sel:DWORD dst_unused:UNUSED_PAD src0_sel:WORD_0 src1_sel:DWORD
	v_mul_u32_u24_sdwa v53, v54, s19 dst_sel:DWORD dst_unused:UNUSED_PAD src0_sel:WORD_1 src1_sel:DWORD
	v_mul_u32_u24_sdwa v54, v55, s19 dst_sel:DWORD dst_unused:UNUSED_PAD src0_sel:WORD_0 src1_sel:DWORD
	v_mul_u32_u24_sdwa v55, v55, s19 dst_sel:DWORD dst_unused:UNUSED_PAD src0_sel:WORD_1 src1_sel:DWORD
	v_pk_fma_f16 v27, v26, v25, v27
	v_pk_fma_f16 v52, v26, v53, v52
	;; [unrolled: 1-line block ×4, first 2 shown]
	ds_read2_b32 v[25:26], v62 offset0:64 offset1:96
	s_waitcnt lgkmcnt(1)
	v_mul_u32_u24_sdwa v54, v56, s19 dst_sel:DWORD dst_unused:UNUSED_PAD src0_sel:WORD_0 src1_sel:DWORD
	v_mul_u32_u24_sdwa v55, v56, s19 dst_sel:DWORD dst_unused:UNUSED_PAD src0_sel:WORD_1 src1_sel:DWORD
	v_mul_u32_u24_sdwa v56, v57, s19 dst_sel:DWORD dst_unused:UNUSED_PAD src0_sel:WORD_0 src1_sel:DWORD
	v_mul_u32_u24_sdwa v57, v57, s19 dst_sel:DWORD dst_unused:UNUSED_PAD src0_sel:WORD_1 src1_sel:DWORD
	s_waitcnt lgkmcnt(0)
	v_pk_fma_f16 v52, v25, v55, v52
	v_pk_fma_f16 v56, v25, v56, v53
	v_mul_u32_u24_sdwa v53, v58, s19 dst_sel:DWORD dst_unused:UNUSED_PAD src0_sel:WORD_1 src1_sel:DWORD
	v_pk_fma_f16 v27, v25, v54, v27
	v_pk_fma_f16 v60, v26, v53, v52
	ds_read_b128 v[52:55], v45 offset:160
	v_pk_fma_f16 v23, v25, v57, v23
	v_mul_u32_u24_sdwa v25, v58, s19 dst_sel:DWORD dst_unused:UNUSED_PAD src0_sel:WORD_0 src1_sel:DWORD
	v_mul_u32_u24_sdwa v57, v59, s19 dst_sel:DWORD dst_unused:UNUSED_PAD src0_sel:WORD_0 src1_sel:DWORD
	v_mul_u32_u24_sdwa v58, v59, s19 dst_sel:DWORD dst_unused:UNUSED_PAD src0_sel:WORD_1 src1_sel:DWORD
	v_pk_fma_f16 v27, v26, v25, v27
	v_pk_fma_f16 v61, v26, v57, v56
	;; [unrolled: 1-line block ×3, first 2 shown]
	ds_read2_b32 v[25:26], v62 offset0:128 offset1:160
	ds_read_b128 v[56:59], v45 offset:176
	s_waitcnt lgkmcnt(2)
	v_mul_u32_u24_sdwa v63, v52, s19 dst_sel:DWORD dst_unused:UNUSED_PAD src0_sel:WORD_0 src1_sel:DWORD
	v_mul_u32_u24_sdwa v52, v52, s19 dst_sel:DWORD dst_unused:UNUSED_PAD src0_sel:WORD_1 src1_sel:DWORD
	v_mul_u32_u24_sdwa v64, v53, s19 dst_sel:DWORD dst_unused:UNUSED_PAD src0_sel:WORD_0 src1_sel:DWORD
	v_mul_u32_u24_sdwa v53, v53, s19 dst_sel:DWORD dst_unused:UNUSED_PAD src0_sel:WORD_1 src1_sel:DWORD
	s_waitcnt lgkmcnt(1)
	v_pk_fma_f16 v27, v25, v63, v27
	v_pk_fma_f16 v52, v25, v52, v60
	;; [unrolled: 1-line block ×4, first 2 shown]
	v_mul_u32_u24_sdwa v25, v54, s19 dst_sel:DWORD dst_unused:UNUSED_PAD src0_sel:WORD_0 src1_sel:DWORD
	v_mul_u32_u24_sdwa v53, v54, s19 dst_sel:DWORD dst_unused:UNUSED_PAD src0_sel:WORD_1 src1_sel:DWORD
	v_mul_u32_u24_sdwa v54, v55, s19 dst_sel:DWORD dst_unused:UNUSED_PAD src0_sel:WORD_0 src1_sel:DWORD
	v_mul_u32_u24_sdwa v55, v55, s19 dst_sel:DWORD dst_unused:UNUSED_PAD src0_sel:WORD_1 src1_sel:DWORD
	v_pk_fma_f16 v27, v26, v25, v27
	v_pk_fma_f16 v52, v26, v53, v52
	;; [unrolled: 1-line block ×4, first 2 shown]
	ds_read2_b32 v[25:26], v62 offset0:192 offset1:224
	s_waitcnt lgkmcnt(1)
	v_mul_u32_u24_sdwa v54, v56, s19 dst_sel:DWORD dst_unused:UNUSED_PAD src0_sel:WORD_0 src1_sel:DWORD
	v_mul_u32_u24_sdwa v55, v56, s19 dst_sel:DWORD dst_unused:UNUSED_PAD src0_sel:WORD_1 src1_sel:DWORD
	v_mul_u32_u24_sdwa v56, v57, s19 dst_sel:DWORD dst_unused:UNUSED_PAD src0_sel:WORD_0 src1_sel:DWORD
	v_mul_u32_u24_sdwa v57, v57, s19 dst_sel:DWORD dst_unused:UNUSED_PAD src0_sel:WORD_1 src1_sel:DWORD
	s_waitcnt lgkmcnt(0)
	v_pk_fma_f16 v27, v25, v54, v27
	v_pk_fma_f16 v52, v25, v55, v52
	;; [unrolled: 1-line block ×3, first 2 shown]
	v_mul_u32_u24_sdwa v54, v58, s19 dst_sel:DWORD dst_unused:UNUSED_PAD src0_sel:WORD_1 src1_sel:DWORD
	v_mul_u32_u24_sdwa v55, v59, s19 dst_sel:DWORD dst_unused:UNUSED_PAD src0_sel:WORD_0 src1_sel:DWORD
	v_pk_fma_f16 v60, v26, v54, v52
	v_pk_fma_f16 v61, v26, v55, v53
	ds_read_b128 v[52:55], v45 offset:192
	v_pk_fma_f16 v23, v25, v57, v23
	v_mul_u32_u24_sdwa v25, v58, s19 dst_sel:DWORD dst_unused:UNUSED_PAD src0_sel:WORD_0 src1_sel:DWORD
	v_mul_u32_u24_sdwa v56, v59, s19 dst_sel:DWORD dst_unused:UNUSED_PAD src0_sel:WORD_1 src1_sel:DWORD
	v_add_u32_e32 v62, 0xc00, v22
	v_pk_fma_f16 v27, v26, v25, v27
	v_pk_fma_f16 v23, v26, v56, v23
	ds_read2_b32 v[25:26], v62 offset1:32
	ds_read_b128 v[56:59], v45 offset:208
	s_waitcnt lgkmcnt(2)
	v_mul_u32_u24_sdwa v63, v52, s19 dst_sel:DWORD dst_unused:UNUSED_PAD src0_sel:WORD_0 src1_sel:DWORD
	v_mul_u32_u24_sdwa v52, v52, s19 dst_sel:DWORD dst_unused:UNUSED_PAD src0_sel:WORD_1 src1_sel:DWORD
	v_mul_u32_u24_sdwa v64, v53, s19 dst_sel:DWORD dst_unused:UNUSED_PAD src0_sel:WORD_0 src1_sel:DWORD
	v_mul_u32_u24_sdwa v53, v53, s19 dst_sel:DWORD dst_unused:UNUSED_PAD src0_sel:WORD_1 src1_sel:DWORD
	s_waitcnt lgkmcnt(1)
	v_pk_fma_f16 v27, v25, v63, v27
	v_pk_fma_f16 v52, v25, v52, v60
	;; [unrolled: 1-line block ×4, first 2 shown]
	v_mul_u32_u24_sdwa v25, v54, s19 dst_sel:DWORD dst_unused:UNUSED_PAD src0_sel:WORD_0 src1_sel:DWORD
	v_mul_u32_u24_sdwa v53, v54, s19 dst_sel:DWORD dst_unused:UNUSED_PAD src0_sel:WORD_1 src1_sel:DWORD
	v_mul_u32_u24_sdwa v54, v55, s19 dst_sel:DWORD dst_unused:UNUSED_PAD src0_sel:WORD_0 src1_sel:DWORD
	v_mul_u32_u24_sdwa v55, v55, s19 dst_sel:DWORD dst_unused:UNUSED_PAD src0_sel:WORD_1 src1_sel:DWORD
	v_pk_fma_f16 v27, v26, v25, v27
	v_pk_fma_f16 v52, v26, v53, v52
	;; [unrolled: 1-line block ×4, first 2 shown]
	ds_read2_b32 v[25:26], v62 offset0:64 offset1:96
	s_waitcnt lgkmcnt(1)
	v_mul_u32_u24_sdwa v54, v56, s19 dst_sel:DWORD dst_unused:UNUSED_PAD src0_sel:WORD_0 src1_sel:DWORD
	v_mul_u32_u24_sdwa v55, v56, s19 dst_sel:DWORD dst_unused:UNUSED_PAD src0_sel:WORD_1 src1_sel:DWORD
	v_mul_u32_u24_sdwa v56, v57, s19 dst_sel:DWORD dst_unused:UNUSED_PAD src0_sel:WORD_0 src1_sel:DWORD
	v_mul_u32_u24_sdwa v57, v57, s19 dst_sel:DWORD dst_unused:UNUSED_PAD src0_sel:WORD_1 src1_sel:DWORD
	s_waitcnt lgkmcnt(0)
	v_pk_fma_f16 v52, v25, v55, v52
	v_pk_fma_f16 v56, v25, v56, v53
	v_mul_u32_u24_sdwa v53, v58, s19 dst_sel:DWORD dst_unused:UNUSED_PAD src0_sel:WORD_1 src1_sel:DWORD
	v_pk_fma_f16 v27, v25, v54, v27
	v_pk_fma_f16 v60, v26, v53, v52
	ds_read_b128 v[52:55], v45 offset:224
	v_pk_fma_f16 v23, v25, v57, v23
	v_mul_u32_u24_sdwa v25, v58, s19 dst_sel:DWORD dst_unused:UNUSED_PAD src0_sel:WORD_0 src1_sel:DWORD
	v_mul_u32_u24_sdwa v57, v59, s19 dst_sel:DWORD dst_unused:UNUSED_PAD src0_sel:WORD_0 src1_sel:DWORD
	v_mul_u32_u24_sdwa v58, v59, s19 dst_sel:DWORD dst_unused:UNUSED_PAD src0_sel:WORD_1 src1_sel:DWORD
	v_pk_fma_f16 v27, v26, v25, v27
	v_pk_fma_f16 v61, v26, v57, v56
	v_pk_fma_f16 v23, v26, v58, v23
	ds_read2_b32 v[25:26], v62 offset0:128 offset1:160
	ds_read_b128 v[56:59], v45 offset:240
	s_waitcnt lgkmcnt(2)
	v_mul_u32_u24_sdwa v63, v52, s19 dst_sel:DWORD dst_unused:UNUSED_PAD src0_sel:WORD_0 src1_sel:DWORD
	v_mul_u32_u24_sdwa v52, v52, s19 dst_sel:DWORD dst_unused:UNUSED_PAD src0_sel:WORD_1 src1_sel:DWORD
	v_mul_u32_u24_sdwa v64, v53, s19 dst_sel:DWORD dst_unused:UNUSED_PAD src0_sel:WORD_0 src1_sel:DWORD
	v_mul_u32_u24_sdwa v53, v53, s19 dst_sel:DWORD dst_unused:UNUSED_PAD src0_sel:WORD_1 src1_sel:DWORD
	s_waitcnt lgkmcnt(1)
	v_pk_fma_f16 v27, v25, v63, v27
	v_pk_fma_f16 v52, v25, v52, v60
	v_pk_fma_f16 v60, v25, v64, v61
	v_pk_fma_f16 v23, v25, v53, v23
	v_mul_u32_u24_sdwa v25, v54, s19 dst_sel:DWORD dst_unused:UNUSED_PAD src0_sel:WORD_0 src1_sel:DWORD
	v_mul_u32_u24_sdwa v53, v54, s19 dst_sel:DWORD dst_unused:UNUSED_PAD src0_sel:WORD_1 src1_sel:DWORD
	v_mul_u32_u24_sdwa v54, v55, s19 dst_sel:DWORD dst_unused:UNUSED_PAD src0_sel:WORD_0 src1_sel:DWORD
	v_mul_u32_u24_sdwa v55, v55, s19 dst_sel:DWORD dst_unused:UNUSED_PAD src0_sel:WORD_1 src1_sel:DWORD
	v_pk_fma_f16 v27, v26, v25, v27
	v_pk_fma_f16 v52, v26, v53, v52
	;; [unrolled: 1-line block ×4, first 2 shown]
	ds_read2_b32 v[25:26], v62 offset0:192 offset1:224
	s_waitcnt lgkmcnt(1)
	v_mul_u32_u24_sdwa v54, v56, s19 dst_sel:DWORD dst_unused:UNUSED_PAD src0_sel:WORD_0 src1_sel:DWORD
	v_mul_u32_u24_sdwa v55, v56, s19 dst_sel:DWORD dst_unused:UNUSED_PAD src0_sel:WORD_1 src1_sel:DWORD
	v_mul_u32_u24_sdwa v56, v57, s19 dst_sel:DWORD dst_unused:UNUSED_PAD src0_sel:WORD_0 src1_sel:DWORD
	v_mul_u32_u24_sdwa v57, v57, s19 dst_sel:DWORD dst_unused:UNUSED_PAD src0_sel:WORD_1 src1_sel:DWORD
	s_waitcnt lgkmcnt(0)
	v_pk_fma_f16 v27, v25, v54, v27
	v_pk_fma_f16 v52, v25, v55, v52
	;; [unrolled: 1-line block ×3, first 2 shown]
	v_mul_u32_u24_sdwa v54, v58, s19 dst_sel:DWORD dst_unused:UNUSED_PAD src0_sel:WORD_1 src1_sel:DWORD
	v_mul_u32_u24_sdwa v55, v59, s19 dst_sel:DWORD dst_unused:UNUSED_PAD src0_sel:WORD_0 src1_sel:DWORD
	v_pk_fma_f16 v60, v26, v54, v52
	v_pk_fma_f16 v61, v26, v55, v53
	ds_read_b128 v[52:55], v45 offset:256
	v_pk_fma_f16 v23, v25, v57, v23
	v_mul_u32_u24_sdwa v25, v58, s19 dst_sel:DWORD dst_unused:UNUSED_PAD src0_sel:WORD_0 src1_sel:DWORD
	v_mul_u32_u24_sdwa v56, v59, s19 dst_sel:DWORD dst_unused:UNUSED_PAD src0_sel:WORD_1 src1_sel:DWORD
	v_add_u32_e32 v62, 0x1000, v22
	v_pk_fma_f16 v27, v26, v25, v27
	v_pk_fma_f16 v23, v26, v56, v23
	ds_read2_b32 v[25:26], v62 offset1:32
	ds_read_b128 v[56:59], v45 offset:272
	s_waitcnt lgkmcnt(2)
	v_mul_u32_u24_sdwa v63, v52, s19 dst_sel:DWORD dst_unused:UNUSED_PAD src0_sel:WORD_0 src1_sel:DWORD
	v_mul_u32_u24_sdwa v52, v52, s19 dst_sel:DWORD dst_unused:UNUSED_PAD src0_sel:WORD_1 src1_sel:DWORD
	v_mul_u32_u24_sdwa v64, v53, s19 dst_sel:DWORD dst_unused:UNUSED_PAD src0_sel:WORD_0 src1_sel:DWORD
	v_mul_u32_u24_sdwa v53, v53, s19 dst_sel:DWORD dst_unused:UNUSED_PAD src0_sel:WORD_1 src1_sel:DWORD
	s_waitcnt lgkmcnt(1)
	v_pk_fma_f16 v27, v25, v63, v27
	v_pk_fma_f16 v52, v25, v52, v60
	;; [unrolled: 1-line block ×4, first 2 shown]
	v_mul_u32_u24_sdwa v25, v54, s19 dst_sel:DWORD dst_unused:UNUSED_PAD src0_sel:WORD_0 src1_sel:DWORD
	v_mul_u32_u24_sdwa v53, v54, s19 dst_sel:DWORD dst_unused:UNUSED_PAD src0_sel:WORD_1 src1_sel:DWORD
	v_mul_u32_u24_sdwa v54, v55, s19 dst_sel:DWORD dst_unused:UNUSED_PAD src0_sel:WORD_0 src1_sel:DWORD
	v_mul_u32_u24_sdwa v55, v55, s19 dst_sel:DWORD dst_unused:UNUSED_PAD src0_sel:WORD_1 src1_sel:DWORD
	v_pk_fma_f16 v27, v26, v25, v27
	v_pk_fma_f16 v52, v26, v53, v52
	;; [unrolled: 1-line block ×4, first 2 shown]
	ds_read2_b32 v[25:26], v62 offset0:64 offset1:96
	s_waitcnt lgkmcnt(1)
	v_mul_u32_u24_sdwa v54, v56, s19 dst_sel:DWORD dst_unused:UNUSED_PAD src0_sel:WORD_0 src1_sel:DWORD
	v_mul_u32_u24_sdwa v55, v56, s19 dst_sel:DWORD dst_unused:UNUSED_PAD src0_sel:WORD_1 src1_sel:DWORD
	v_mul_u32_u24_sdwa v56, v57, s19 dst_sel:DWORD dst_unused:UNUSED_PAD src0_sel:WORD_0 src1_sel:DWORD
	v_mul_u32_u24_sdwa v57, v57, s19 dst_sel:DWORD dst_unused:UNUSED_PAD src0_sel:WORD_1 src1_sel:DWORD
	s_waitcnt lgkmcnt(0)
	v_pk_fma_f16 v52, v25, v55, v52
	v_pk_fma_f16 v56, v25, v56, v53
	v_mul_u32_u24_sdwa v53, v58, s19 dst_sel:DWORD dst_unused:UNUSED_PAD src0_sel:WORD_1 src1_sel:DWORD
	v_pk_fma_f16 v27, v25, v54, v27
	v_pk_fma_f16 v60, v26, v53, v52
	ds_read_b128 v[52:55], v45 offset:288
	v_pk_fma_f16 v23, v25, v57, v23
	v_mul_u32_u24_sdwa v25, v58, s19 dst_sel:DWORD dst_unused:UNUSED_PAD src0_sel:WORD_0 src1_sel:DWORD
	v_mul_u32_u24_sdwa v57, v59, s19 dst_sel:DWORD dst_unused:UNUSED_PAD src0_sel:WORD_0 src1_sel:DWORD
	v_mul_u32_u24_sdwa v58, v59, s19 dst_sel:DWORD dst_unused:UNUSED_PAD src0_sel:WORD_1 src1_sel:DWORD
	v_pk_fma_f16 v27, v26, v25, v27
	v_pk_fma_f16 v61, v26, v57, v56
	;; [unrolled: 1-line block ×3, first 2 shown]
	ds_read2_b32 v[25:26], v62 offset0:128 offset1:160
	ds_read_b128 v[56:59], v45 offset:304
	s_waitcnt lgkmcnt(2)
	v_mul_u32_u24_sdwa v63, v52, s19 dst_sel:DWORD dst_unused:UNUSED_PAD src0_sel:WORD_0 src1_sel:DWORD
	v_mul_u32_u24_sdwa v52, v52, s19 dst_sel:DWORD dst_unused:UNUSED_PAD src0_sel:WORD_1 src1_sel:DWORD
	v_mul_u32_u24_sdwa v64, v53, s19 dst_sel:DWORD dst_unused:UNUSED_PAD src0_sel:WORD_0 src1_sel:DWORD
	v_mul_u32_u24_sdwa v53, v53, s19 dst_sel:DWORD dst_unused:UNUSED_PAD src0_sel:WORD_1 src1_sel:DWORD
	s_waitcnt lgkmcnt(1)
	v_pk_fma_f16 v27, v25, v63, v27
	v_pk_fma_f16 v52, v25, v52, v60
	;; [unrolled: 1-line block ×4, first 2 shown]
	v_mul_u32_u24_sdwa v25, v54, s19 dst_sel:DWORD dst_unused:UNUSED_PAD src0_sel:WORD_0 src1_sel:DWORD
	v_mul_u32_u24_sdwa v53, v54, s19 dst_sel:DWORD dst_unused:UNUSED_PAD src0_sel:WORD_1 src1_sel:DWORD
	v_mul_u32_u24_sdwa v54, v55, s19 dst_sel:DWORD dst_unused:UNUSED_PAD src0_sel:WORD_0 src1_sel:DWORD
	v_mul_u32_u24_sdwa v55, v55, s19 dst_sel:DWORD dst_unused:UNUSED_PAD src0_sel:WORD_1 src1_sel:DWORD
	v_pk_fma_f16 v27, v26, v25, v27
	v_pk_fma_f16 v52, v26, v53, v52
	v_pk_fma_f16 v53, v26, v54, v60
	v_pk_fma_f16 v23, v26, v55, v23
	ds_read2_b32 v[25:26], v62 offset0:192 offset1:224
	s_waitcnt lgkmcnt(1)
	v_mul_u32_u24_sdwa v54, v56, s19 dst_sel:DWORD dst_unused:UNUSED_PAD src0_sel:WORD_0 src1_sel:DWORD
	v_mul_u32_u24_sdwa v55, v56, s19 dst_sel:DWORD dst_unused:UNUSED_PAD src0_sel:WORD_1 src1_sel:DWORD
	v_mul_u32_u24_sdwa v56, v57, s19 dst_sel:DWORD dst_unused:UNUSED_PAD src0_sel:WORD_0 src1_sel:DWORD
	v_mul_u32_u24_sdwa v57, v57, s19 dst_sel:DWORD dst_unused:UNUSED_PAD src0_sel:WORD_1 src1_sel:DWORD
	s_waitcnt lgkmcnt(0)
	v_pk_fma_f16 v27, v25, v54, v27
	v_pk_fma_f16 v52, v25, v55, v52
	;; [unrolled: 1-line block ×3, first 2 shown]
	v_mul_u32_u24_sdwa v54, v58, s19 dst_sel:DWORD dst_unused:UNUSED_PAD src0_sel:WORD_1 src1_sel:DWORD
	v_mul_u32_u24_sdwa v55, v59, s19 dst_sel:DWORD dst_unused:UNUSED_PAD src0_sel:WORD_0 src1_sel:DWORD
	v_pk_fma_f16 v60, v26, v54, v52
	v_pk_fma_f16 v61, v26, v55, v53
	ds_read_b128 v[52:55], v45 offset:320
	v_pk_fma_f16 v23, v25, v57, v23
	v_mul_u32_u24_sdwa v25, v58, s19 dst_sel:DWORD dst_unused:UNUSED_PAD src0_sel:WORD_0 src1_sel:DWORD
	v_mul_u32_u24_sdwa v56, v59, s19 dst_sel:DWORD dst_unused:UNUSED_PAD src0_sel:WORD_1 src1_sel:DWORD
	v_add_u32_e32 v62, 0x1400, v22
	v_pk_fma_f16 v27, v26, v25, v27
	v_pk_fma_f16 v23, v26, v56, v23
	ds_read2_b32 v[25:26], v62 offset1:32
	ds_read_b128 v[56:59], v45 offset:336
	s_waitcnt lgkmcnt(2)
	v_mul_u32_u24_sdwa v63, v52, s19 dst_sel:DWORD dst_unused:UNUSED_PAD src0_sel:WORD_0 src1_sel:DWORD
	v_mul_u32_u24_sdwa v52, v52, s19 dst_sel:DWORD dst_unused:UNUSED_PAD src0_sel:WORD_1 src1_sel:DWORD
	v_mul_u32_u24_sdwa v64, v53, s19 dst_sel:DWORD dst_unused:UNUSED_PAD src0_sel:WORD_0 src1_sel:DWORD
	v_mul_u32_u24_sdwa v53, v53, s19 dst_sel:DWORD dst_unused:UNUSED_PAD src0_sel:WORD_1 src1_sel:DWORD
	s_waitcnt lgkmcnt(1)
	v_pk_fma_f16 v27, v25, v63, v27
	v_pk_fma_f16 v52, v25, v52, v60
	;; [unrolled: 1-line block ×4, first 2 shown]
	v_mul_u32_u24_sdwa v25, v54, s19 dst_sel:DWORD dst_unused:UNUSED_PAD src0_sel:WORD_0 src1_sel:DWORD
	v_mul_u32_u24_sdwa v53, v54, s19 dst_sel:DWORD dst_unused:UNUSED_PAD src0_sel:WORD_1 src1_sel:DWORD
	v_mul_u32_u24_sdwa v54, v55, s19 dst_sel:DWORD dst_unused:UNUSED_PAD src0_sel:WORD_0 src1_sel:DWORD
	v_mul_u32_u24_sdwa v55, v55, s19 dst_sel:DWORD dst_unused:UNUSED_PAD src0_sel:WORD_1 src1_sel:DWORD
	v_pk_fma_f16 v27, v26, v25, v27
	v_pk_fma_f16 v52, v26, v53, v52
	;; [unrolled: 1-line block ×4, first 2 shown]
	ds_read2_b32 v[25:26], v62 offset0:64 offset1:96
	s_waitcnt lgkmcnt(1)
	v_mul_u32_u24_sdwa v54, v56, s19 dst_sel:DWORD dst_unused:UNUSED_PAD src0_sel:WORD_0 src1_sel:DWORD
	v_mul_u32_u24_sdwa v55, v56, s19 dst_sel:DWORD dst_unused:UNUSED_PAD src0_sel:WORD_1 src1_sel:DWORD
	v_mul_u32_u24_sdwa v56, v57, s19 dst_sel:DWORD dst_unused:UNUSED_PAD src0_sel:WORD_0 src1_sel:DWORD
	v_mul_u32_u24_sdwa v57, v57, s19 dst_sel:DWORD dst_unused:UNUSED_PAD src0_sel:WORD_1 src1_sel:DWORD
	s_waitcnt lgkmcnt(0)
	v_pk_fma_f16 v52, v25, v55, v52
	v_pk_fma_f16 v56, v25, v56, v53
	v_mul_u32_u24_sdwa v53, v58, s19 dst_sel:DWORD dst_unused:UNUSED_PAD src0_sel:WORD_1 src1_sel:DWORD
	v_pk_fma_f16 v27, v25, v54, v27
	v_pk_fma_f16 v60, v26, v53, v52
	ds_read_b128 v[52:55], v45 offset:352
	v_pk_fma_f16 v23, v25, v57, v23
	v_mul_u32_u24_sdwa v25, v58, s19 dst_sel:DWORD dst_unused:UNUSED_PAD src0_sel:WORD_0 src1_sel:DWORD
	v_mul_u32_u24_sdwa v57, v59, s19 dst_sel:DWORD dst_unused:UNUSED_PAD src0_sel:WORD_0 src1_sel:DWORD
	v_mul_u32_u24_sdwa v58, v59, s19 dst_sel:DWORD dst_unused:UNUSED_PAD src0_sel:WORD_1 src1_sel:DWORD
	v_pk_fma_f16 v27, v26, v25, v27
	v_pk_fma_f16 v61, v26, v57, v56
	;; [unrolled: 1-line block ×3, first 2 shown]
	ds_read2_b32 v[25:26], v62 offset0:128 offset1:160
	ds_read_b128 v[56:59], v45 offset:368
	s_waitcnt lgkmcnt(2)
	v_mul_u32_u24_sdwa v63, v52, s19 dst_sel:DWORD dst_unused:UNUSED_PAD src0_sel:WORD_0 src1_sel:DWORD
	v_mul_u32_u24_sdwa v52, v52, s19 dst_sel:DWORD dst_unused:UNUSED_PAD src0_sel:WORD_1 src1_sel:DWORD
	v_mul_u32_u24_sdwa v64, v53, s19 dst_sel:DWORD dst_unused:UNUSED_PAD src0_sel:WORD_0 src1_sel:DWORD
	v_mul_u32_u24_sdwa v53, v53, s19 dst_sel:DWORD dst_unused:UNUSED_PAD src0_sel:WORD_1 src1_sel:DWORD
	s_waitcnt lgkmcnt(1)
	v_pk_fma_f16 v27, v25, v63, v27
	v_pk_fma_f16 v52, v25, v52, v60
	;; [unrolled: 1-line block ×4, first 2 shown]
	v_mul_u32_u24_sdwa v25, v54, s19 dst_sel:DWORD dst_unused:UNUSED_PAD src0_sel:WORD_0 src1_sel:DWORD
	v_mul_u32_u24_sdwa v53, v54, s19 dst_sel:DWORD dst_unused:UNUSED_PAD src0_sel:WORD_1 src1_sel:DWORD
	v_mul_u32_u24_sdwa v54, v55, s19 dst_sel:DWORD dst_unused:UNUSED_PAD src0_sel:WORD_0 src1_sel:DWORD
	v_mul_u32_u24_sdwa v55, v55, s19 dst_sel:DWORD dst_unused:UNUSED_PAD src0_sel:WORD_1 src1_sel:DWORD
	v_pk_fma_f16 v27, v26, v25, v27
	v_pk_fma_f16 v52, v26, v53, v52
	;; [unrolled: 1-line block ×4, first 2 shown]
	ds_read2_b32 v[25:26], v62 offset0:192 offset1:224
	s_waitcnt lgkmcnt(1)
	v_mul_u32_u24_sdwa v54, v56, s19 dst_sel:DWORD dst_unused:UNUSED_PAD src0_sel:WORD_0 src1_sel:DWORD
	v_mul_u32_u24_sdwa v55, v56, s19 dst_sel:DWORD dst_unused:UNUSED_PAD src0_sel:WORD_1 src1_sel:DWORD
	v_mul_u32_u24_sdwa v56, v57, s19 dst_sel:DWORD dst_unused:UNUSED_PAD src0_sel:WORD_0 src1_sel:DWORD
	v_mul_u32_u24_sdwa v57, v57, s19 dst_sel:DWORD dst_unused:UNUSED_PAD src0_sel:WORD_1 src1_sel:DWORD
	s_waitcnt lgkmcnt(0)
	v_pk_fma_f16 v27, v25, v54, v27
	v_pk_fma_f16 v52, v25, v55, v52
	;; [unrolled: 1-line block ×3, first 2 shown]
	v_mul_u32_u24_sdwa v54, v58, s19 dst_sel:DWORD dst_unused:UNUSED_PAD src0_sel:WORD_1 src1_sel:DWORD
	v_mul_u32_u24_sdwa v55, v59, s19 dst_sel:DWORD dst_unused:UNUSED_PAD src0_sel:WORD_0 src1_sel:DWORD
	v_pk_fma_f16 v60, v26, v54, v52
	v_pk_fma_f16 v61, v26, v55, v53
	ds_read_b128 v[52:55], v45 offset:384
	v_pk_fma_f16 v23, v25, v57, v23
	v_mul_u32_u24_sdwa v25, v58, s19 dst_sel:DWORD dst_unused:UNUSED_PAD src0_sel:WORD_0 src1_sel:DWORD
	v_mul_u32_u24_sdwa v56, v59, s19 dst_sel:DWORD dst_unused:UNUSED_PAD src0_sel:WORD_1 src1_sel:DWORD
	v_add_u32_e32 v62, 0x1800, v22
	v_pk_fma_f16 v27, v26, v25, v27
	v_pk_fma_f16 v23, v26, v56, v23
	ds_read2_b32 v[25:26], v62 offset1:32
	ds_read_b128 v[56:59], v45 offset:400
	s_waitcnt lgkmcnt(2)
	v_mul_u32_u24_sdwa v63, v52, s19 dst_sel:DWORD dst_unused:UNUSED_PAD src0_sel:WORD_0 src1_sel:DWORD
	v_mul_u32_u24_sdwa v52, v52, s19 dst_sel:DWORD dst_unused:UNUSED_PAD src0_sel:WORD_1 src1_sel:DWORD
	v_mul_u32_u24_sdwa v64, v53, s19 dst_sel:DWORD dst_unused:UNUSED_PAD src0_sel:WORD_0 src1_sel:DWORD
	v_mul_u32_u24_sdwa v53, v53, s19 dst_sel:DWORD dst_unused:UNUSED_PAD src0_sel:WORD_1 src1_sel:DWORD
	s_waitcnt lgkmcnt(1)
	v_pk_fma_f16 v27, v25, v63, v27
	v_pk_fma_f16 v52, v25, v52, v60
	;; [unrolled: 1-line block ×4, first 2 shown]
	v_mul_u32_u24_sdwa v25, v54, s19 dst_sel:DWORD dst_unused:UNUSED_PAD src0_sel:WORD_0 src1_sel:DWORD
	v_mul_u32_u24_sdwa v53, v54, s19 dst_sel:DWORD dst_unused:UNUSED_PAD src0_sel:WORD_1 src1_sel:DWORD
	v_mul_u32_u24_sdwa v54, v55, s19 dst_sel:DWORD dst_unused:UNUSED_PAD src0_sel:WORD_0 src1_sel:DWORD
	v_mul_u32_u24_sdwa v55, v55, s19 dst_sel:DWORD dst_unused:UNUSED_PAD src0_sel:WORD_1 src1_sel:DWORD
	v_pk_fma_f16 v27, v26, v25, v27
	v_pk_fma_f16 v52, v26, v53, v52
	;; [unrolled: 1-line block ×4, first 2 shown]
	ds_read2_b32 v[25:26], v62 offset0:64 offset1:96
	s_waitcnt lgkmcnt(1)
	v_mul_u32_u24_sdwa v54, v56, s19 dst_sel:DWORD dst_unused:UNUSED_PAD src0_sel:WORD_0 src1_sel:DWORD
	v_mul_u32_u24_sdwa v55, v56, s19 dst_sel:DWORD dst_unused:UNUSED_PAD src0_sel:WORD_1 src1_sel:DWORD
	v_mul_u32_u24_sdwa v56, v57, s19 dst_sel:DWORD dst_unused:UNUSED_PAD src0_sel:WORD_0 src1_sel:DWORD
	v_mul_u32_u24_sdwa v57, v57, s19 dst_sel:DWORD dst_unused:UNUSED_PAD src0_sel:WORD_1 src1_sel:DWORD
	s_waitcnt lgkmcnt(0)
	v_pk_fma_f16 v52, v25, v55, v52
	v_pk_fma_f16 v56, v25, v56, v53
	v_mul_u32_u24_sdwa v53, v58, s19 dst_sel:DWORD dst_unused:UNUSED_PAD src0_sel:WORD_1 src1_sel:DWORD
	v_pk_fma_f16 v27, v25, v54, v27
	v_pk_fma_f16 v60, v26, v53, v52
	ds_read_b128 v[52:55], v45 offset:416
	v_pk_fma_f16 v23, v25, v57, v23
	v_mul_u32_u24_sdwa v25, v58, s19 dst_sel:DWORD dst_unused:UNUSED_PAD src0_sel:WORD_0 src1_sel:DWORD
	v_mul_u32_u24_sdwa v57, v59, s19 dst_sel:DWORD dst_unused:UNUSED_PAD src0_sel:WORD_0 src1_sel:DWORD
	v_mul_u32_u24_sdwa v58, v59, s19 dst_sel:DWORD dst_unused:UNUSED_PAD src0_sel:WORD_1 src1_sel:DWORD
	v_pk_fma_f16 v27, v26, v25, v27
	v_pk_fma_f16 v61, v26, v57, v56
	;; [unrolled: 1-line block ×3, first 2 shown]
	ds_read2_b32 v[25:26], v62 offset0:128 offset1:160
	ds_read_b128 v[56:59], v45 offset:432
	s_waitcnt lgkmcnt(2)
	v_mul_u32_u24_sdwa v63, v52, s19 dst_sel:DWORD dst_unused:UNUSED_PAD src0_sel:WORD_0 src1_sel:DWORD
	v_mul_u32_u24_sdwa v52, v52, s19 dst_sel:DWORD dst_unused:UNUSED_PAD src0_sel:WORD_1 src1_sel:DWORD
	v_mul_u32_u24_sdwa v64, v53, s19 dst_sel:DWORD dst_unused:UNUSED_PAD src0_sel:WORD_0 src1_sel:DWORD
	v_mul_u32_u24_sdwa v53, v53, s19 dst_sel:DWORD dst_unused:UNUSED_PAD src0_sel:WORD_1 src1_sel:DWORD
	s_waitcnt lgkmcnt(1)
	v_pk_fma_f16 v27, v25, v63, v27
	v_pk_fma_f16 v52, v25, v52, v60
	;; [unrolled: 1-line block ×4, first 2 shown]
	v_mul_u32_u24_sdwa v25, v54, s19 dst_sel:DWORD dst_unused:UNUSED_PAD src0_sel:WORD_0 src1_sel:DWORD
	v_mul_u32_u24_sdwa v53, v54, s19 dst_sel:DWORD dst_unused:UNUSED_PAD src0_sel:WORD_1 src1_sel:DWORD
	v_mul_u32_u24_sdwa v54, v55, s19 dst_sel:DWORD dst_unused:UNUSED_PAD src0_sel:WORD_0 src1_sel:DWORD
	v_mul_u32_u24_sdwa v55, v55, s19 dst_sel:DWORD dst_unused:UNUSED_PAD src0_sel:WORD_1 src1_sel:DWORD
	v_pk_fma_f16 v27, v26, v25, v27
	v_pk_fma_f16 v52, v26, v53, v52
	;; [unrolled: 1-line block ×4, first 2 shown]
	ds_read2_b32 v[25:26], v62 offset0:192 offset1:224
	s_waitcnt lgkmcnt(1)
	v_mul_u32_u24_sdwa v54, v56, s19 dst_sel:DWORD dst_unused:UNUSED_PAD src0_sel:WORD_0 src1_sel:DWORD
	v_mul_u32_u24_sdwa v55, v56, s19 dst_sel:DWORD dst_unused:UNUSED_PAD src0_sel:WORD_1 src1_sel:DWORD
	v_mul_u32_u24_sdwa v56, v57, s19 dst_sel:DWORD dst_unused:UNUSED_PAD src0_sel:WORD_0 src1_sel:DWORD
	v_mul_u32_u24_sdwa v57, v57, s19 dst_sel:DWORD dst_unused:UNUSED_PAD src0_sel:WORD_1 src1_sel:DWORD
	s_waitcnt lgkmcnt(0)
	v_pk_fma_f16 v27, v25, v54, v27
	v_pk_fma_f16 v52, v25, v55, v52
	;; [unrolled: 1-line block ×3, first 2 shown]
	v_mul_u32_u24_sdwa v54, v58, s19 dst_sel:DWORD dst_unused:UNUSED_PAD src0_sel:WORD_1 src1_sel:DWORD
	v_mul_u32_u24_sdwa v55, v59, s19 dst_sel:DWORD dst_unused:UNUSED_PAD src0_sel:WORD_0 src1_sel:DWORD
	v_pk_fma_f16 v60, v26, v54, v52
	v_pk_fma_f16 v61, v26, v55, v53
	ds_read_b128 v[52:55], v45 offset:448
	v_pk_fma_f16 v23, v25, v57, v23
	v_mul_u32_u24_sdwa v25, v58, s19 dst_sel:DWORD dst_unused:UNUSED_PAD src0_sel:WORD_0 src1_sel:DWORD
	v_mul_u32_u24_sdwa v56, v59, s19 dst_sel:DWORD dst_unused:UNUSED_PAD src0_sel:WORD_1 src1_sel:DWORD
	v_add_u32_e32 v62, 0x1c00, v22
	v_pk_fma_f16 v27, v26, v25, v27
	v_pk_fma_f16 v23, v26, v56, v23
	ds_read2_b32 v[25:26], v62 offset1:32
	ds_read_b128 v[56:59], v45 offset:464
	s_waitcnt lgkmcnt(2)
	v_mul_u32_u24_sdwa v63, v52, s19 dst_sel:DWORD dst_unused:UNUSED_PAD src0_sel:WORD_0 src1_sel:DWORD
	v_mul_u32_u24_sdwa v52, v52, s19 dst_sel:DWORD dst_unused:UNUSED_PAD src0_sel:WORD_1 src1_sel:DWORD
	v_mul_u32_u24_sdwa v64, v53, s19 dst_sel:DWORD dst_unused:UNUSED_PAD src0_sel:WORD_0 src1_sel:DWORD
	v_mul_u32_u24_sdwa v53, v53, s19 dst_sel:DWORD dst_unused:UNUSED_PAD src0_sel:WORD_1 src1_sel:DWORD
	s_waitcnt lgkmcnt(1)
	v_pk_fma_f16 v27, v25, v63, v27
	v_pk_fma_f16 v52, v25, v52, v60
	;; [unrolled: 1-line block ×4, first 2 shown]
	v_mul_u32_u24_sdwa v25, v54, s19 dst_sel:DWORD dst_unused:UNUSED_PAD src0_sel:WORD_0 src1_sel:DWORD
	v_mul_u32_u24_sdwa v53, v54, s19 dst_sel:DWORD dst_unused:UNUSED_PAD src0_sel:WORD_1 src1_sel:DWORD
	v_mul_u32_u24_sdwa v54, v55, s19 dst_sel:DWORD dst_unused:UNUSED_PAD src0_sel:WORD_0 src1_sel:DWORD
	v_mul_u32_u24_sdwa v55, v55, s19 dst_sel:DWORD dst_unused:UNUSED_PAD src0_sel:WORD_1 src1_sel:DWORD
	v_pk_fma_f16 v27, v26, v25, v27
	v_pk_fma_f16 v52, v26, v53, v52
	;; [unrolled: 1-line block ×4, first 2 shown]
	ds_read2_b32 v[25:26], v62 offset0:64 offset1:96
	s_waitcnt lgkmcnt(1)
	v_mul_u32_u24_sdwa v54, v56, s19 dst_sel:DWORD dst_unused:UNUSED_PAD src0_sel:WORD_0 src1_sel:DWORD
	v_mul_u32_u24_sdwa v55, v56, s19 dst_sel:DWORD dst_unused:UNUSED_PAD src0_sel:WORD_1 src1_sel:DWORD
	v_mul_u32_u24_sdwa v56, v57, s19 dst_sel:DWORD dst_unused:UNUSED_PAD src0_sel:WORD_0 src1_sel:DWORD
	v_mul_u32_u24_sdwa v57, v57, s19 dst_sel:DWORD dst_unused:UNUSED_PAD src0_sel:WORD_1 src1_sel:DWORD
	s_waitcnt lgkmcnt(0)
	v_pk_fma_f16 v52, v25, v55, v52
	v_pk_fma_f16 v56, v25, v56, v53
	v_mul_u32_u24_sdwa v53, v58, s19 dst_sel:DWORD dst_unused:UNUSED_PAD src0_sel:WORD_1 src1_sel:DWORD
	v_pk_fma_f16 v27, v25, v54, v27
	v_pk_fma_f16 v60, v26, v53, v52
	ds_read_b128 v[52:55], v45 offset:480
	v_pk_fma_f16 v23, v25, v57, v23
	v_mul_u32_u24_sdwa v25, v58, s19 dst_sel:DWORD dst_unused:UNUSED_PAD src0_sel:WORD_0 src1_sel:DWORD
	v_mul_u32_u24_sdwa v57, v59, s19 dst_sel:DWORD dst_unused:UNUSED_PAD src0_sel:WORD_0 src1_sel:DWORD
	v_mul_u32_u24_sdwa v58, v59, s19 dst_sel:DWORD dst_unused:UNUSED_PAD src0_sel:WORD_1 src1_sel:DWORD
	v_pk_fma_f16 v27, v26, v25, v27
	v_pk_fma_f16 v61, v26, v57, v56
	;; [unrolled: 1-line block ×3, first 2 shown]
	ds_read2_b32 v[25:26], v62 offset0:128 offset1:160
	ds_read_b128 v[56:59], v45 offset:496
	s_waitcnt lgkmcnt(2)
	v_mul_u32_u24_sdwa v63, v52, s19 dst_sel:DWORD dst_unused:UNUSED_PAD src0_sel:WORD_0 src1_sel:DWORD
	v_mul_u32_u24_sdwa v52, v52, s19 dst_sel:DWORD dst_unused:UNUSED_PAD src0_sel:WORD_1 src1_sel:DWORD
	v_mul_u32_u24_sdwa v64, v53, s19 dst_sel:DWORD dst_unused:UNUSED_PAD src0_sel:WORD_0 src1_sel:DWORD
	v_mul_u32_u24_sdwa v53, v53, s19 dst_sel:DWORD dst_unused:UNUSED_PAD src0_sel:WORD_1 src1_sel:DWORD
	s_waitcnt lgkmcnt(1)
	v_pk_fma_f16 v27, v25, v63, v27
	v_pk_fma_f16 v52, v25, v52, v60
	;; [unrolled: 1-line block ×4, first 2 shown]
	v_mul_u32_u24_sdwa v25, v54, s19 dst_sel:DWORD dst_unused:UNUSED_PAD src0_sel:WORD_0 src1_sel:DWORD
	v_mul_u32_u24_sdwa v53, v54, s19 dst_sel:DWORD dst_unused:UNUSED_PAD src0_sel:WORD_1 src1_sel:DWORD
	v_pk_fma_f16 v25, v26, v25, v27
	v_pk_fma_f16 v27, v26, v53, v52
	ds_read2_b32 v[52:53], v62 offset0:192 offset1:224
	s_waitcnt lgkmcnt(0)
	s_barrier
	s_load_dword s39, s[10:11], 0x4
	v_mul_u32_u24_sdwa v54, v55, s19 dst_sel:DWORD dst_unused:UNUSED_PAD src0_sel:WORD_0 src1_sel:DWORD
	v_mul_u32_u24_sdwa v55, v55, s19 dst_sel:DWORD dst_unused:UNUSED_PAD src0_sel:WORD_1 src1_sel:DWORD
	v_pk_fma_f16 v54, v26, v54, v60
	v_pk_fma_f16 v23, v26, v55, v23
	v_mul_u32_u24_sdwa v26, v56, s19 dst_sel:DWORD dst_unused:UNUSED_PAD src0_sel:WORD_0 src1_sel:DWORD
	v_mul_u32_u24_sdwa v55, v56, s19 dst_sel:DWORD dst_unused:UNUSED_PAD src0_sel:WORD_1 src1_sel:DWORD
	v_mul_u32_u24_sdwa v56, v57, s19 dst_sel:DWORD dst_unused:UNUSED_PAD src0_sel:WORD_0 src1_sel:DWORD
	v_mul_u32_u24_sdwa v57, v57, s19 dst_sel:DWORD dst_unused:UNUSED_PAD src0_sel:WORD_1 src1_sel:DWORD
	s_waitcnt lgkmcnt(0)
	s_lshl_b32 s39, s39, 6
	v_pk_fma_f16 v25, v52, v26, v25
	v_pk_fma_f16 v26, v52, v55, v27
	;; [unrolled: 1-line block ×4, first 2 shown]
	v_mul_u32_u24_sdwa v27, v58, s19 dst_sel:DWORD dst_unused:UNUSED_PAD src0_sel:WORD_0 src1_sel:DWORD
	v_mul_u32_u24_sdwa v52, v58, s19 dst_sel:DWORD dst_unused:UNUSED_PAD src0_sel:WORD_1 src1_sel:DWORD
	v_mul_u32_u24_sdwa v55, v59, s19 dst_sel:DWORD dst_unused:UNUSED_PAD src0_sel:WORD_0 src1_sel:DWORD
	v_mul_u32_u24_sdwa v56, v59, s19 dst_sel:DWORD dst_unused:UNUSED_PAD src0_sel:WORD_1 src1_sel:DWORD
	s_add_i32 s36, s39, s36
	v_pk_fma_f16 v27, v53, v27, v25
	v_pk_fma_f16 v26, v53, v52, v26
	v_pk_fma_f16 v25, v53, v55, v54
	s_cmp_lt_i32 s36, s15
	v_pk_fma_f16 v23, v53, v56, v23
	s_cbranch_scc0 .LBB56_28
; %bb.26:                               ;   in Loop: Header=BB56_8 Depth=1
	v_mov_b32_e32 v59, v1
	v_mov_b32_e32 v57, v2
	;; [unrolled: 1-line block ×8, first 2 shown]
	s_branch .LBB56_8
.LBB56_27:
	v_mov_b32_e32 v1, 0xfeffffff
	v_mov_b32_e32 v2, v1
	;; [unrolled: 1-line block ×11, first 2 shown]
.LBB56_28:
	v_lshlrev_b32_e32 v32, 1, v0
	s_cmp_gt_i32 s46, s36
	s_cbranch_scc1 .LBB56_30
; %bb.29:
	v_mbcnt_hi_u32_b32 v45, -1, v31
	v_and_b32_e32 v5, 0x60, v45
	v_add_u32_e32 v46, 32, v5
	v_xor_b32_e32 v48, 16, v45
	v_xor_b32_e32 v47, 8, v45
	v_xor_b32_e32 v49, 4, v45
	v_xor_b32_e32 v50, 2, v45
	v_xor_b32_e32 v51, 1, v45
	s_cbranch_execz .LBB56_31
	s_branch .LBB56_71
.LBB56_30:
                                        ; implicit-def: $vgpr45
                                        ; implicit-def: $vgpr46
                                        ; implicit-def: $vgpr48
                                        ; implicit-def: $vgpr47
                                        ; implicit-def: $vgpr49
                                        ; implicit-def: $vgpr50
                                        ; implicit-def: $vgpr51
.LBB56_31:
	v_add_u32_e32 v11, v38, v13
	v_mul_lo_u32 v38, s12, v11
	s_mul_hi_i32 s11, s36, s12
	s_mul_i32 s10, s36, s12
	s_sub_i32 s39, s46, s36
	s_lshl_b64 s[10:11], s[10:11], 2
	v_and_b32_e32 v5, 28, v22
	v_ashrrev_i32_e32 v39, 31, v38
	s_add_u32 s10, s13, s10
	v_lshlrev_b32_e32 v9, 2, v5
	v_lshlrev_b64 v[5:6], 2, v[38:39]
	s_addc_u32 s11, s14, s11
	v_mov_b32_e32 v7, s11
	v_add_co_u32_e32 v5, vcc, s10, v5
	v_addc_co_u32_e32 v6, vcc, v7, v6, vcc
	s_mov_b64 s[6:7], src_private_base
	v_add_co_u32_e32 v5, vcc, v5, v9
	v_mov_b32_e32 v45, 0
	v_addc_co_u32_e32 v6, vcc, 0, v6, vcc
	v_mov_b32_e32 v12, s7
	v_cmp_gt_i32_e64 s[6:7], s39, v11
	v_mov_b32_e32 v40, 0
	buffer_store_dword v45, off, s[0:3], 0
	buffer_store_dword v45, off, s[0:3], 0 offset:4
	buffer_store_dword v45, off, s[0:3], 0 offset:8
	buffer_store_dword v45, off, s[0:3], 0 offset:12
	v_cndmask_b32_e64 v6, v12, v6, s[6:7]
	v_cndmask_b32_e64 v5, v40, v5, s[6:7]
	flat_load_dwordx4 v[5:8], v[5:6]
	v_lshl_add_u32 v38, s12, 5, v38
	v_ashrrev_i32_e32 v39, 31, v38
	v_lshlrev_b64 v[38:39], 2, v[38:39]
	v_mov_b32_e32 v41, s11
	v_add_co_u32_e32 v38, vcc, s10, v38
	v_addc_co_u32_e32 v39, vcc, v41, v39, vcc
	s_movk_i32 s13, 0x90
	v_add_u32_e32 v10, 32, v11
	v_add_co_u32_e32 v38, vcc, v38, v9
	v_mad_u32_u24 v47, v11, s13, v9
	v_addc_co_u32_e32 v39, vcc, 0, v39, vcc
	v_cmp_gt_i32_e64 s[16:17], s39, v10
	buffer_store_dword v45, off, s[0:3], 0
	buffer_store_dword v45, off, s[0:3], 0 offset:4
	buffer_store_dword v45, off, s[0:3], 0 offset:8
	;; [unrolled: 1-line block ×3, first 2 shown]
	v_cndmask_b32_e64 v39, v12, v39, s[16:17]
	v_cndmask_b32_e64 v38, v40, v38, s[16:17]
	v_mul_u32_u24_e32 v46, 0x90, v0
	v_mov_b32_e32 v43, 0
	v_mov_b32_e32 v41, 0
	;; [unrolled: 1-line block ×6, first 2 shown]
	s_cmp_lg_u64 s[44:45], 0
	s_cselect_b64 s[10:11], -1, 0
	v_add_u32_e32 v48, s36, v33
	v_cndmask_b32_e64 v33, 0, 1, s[10:11]
	v_cmp_gt_i32_e64 s[12:13], s39, v0
	v_cmp_ne_u32_e64 s[10:11], 1, v33
	s_waitcnt vmcnt(0) lgkmcnt(0)
	ds_write_b128 v47, v[5:8]
	flat_load_dwordx4 v[5:8], v[38:39]
	v_mov_b32_e32 v39, 0
	v_mov_b32_e32 v38, 0
	s_waitcnt vmcnt(0) lgkmcnt(0)
	ds_write_b128 v47, v[5:8] offset:4608
	s_waitcnt lgkmcnt(0)
	s_barrier
	ds_read_b128 v[5:8], v21 offset:13312
	ds_read_b128 v[49:52], v46
	ds_read_b128 v[53:56], v46 offset:4608
	ds_read_b128 v[57:60], v21 offset:13440
	;; [unrolled: 1-line block ×4, first 2 shown]
	s_waitcnt lgkmcnt(4)
	;;#ASMSTART
	v_dot2_f32_f16 v43, v49, v5, v43
	;;#ASMEND
	;;#ASMSTART
	v_dot2_f32_f16 v43, v50, v6, v43
	;;#ASMEND
	;;#ASMSTART
	v_dot2_f32_f16 v43, v51, v7, v43
	;;#ASMEND
	;;#ASMSTART
	v_dot2_f32_f16 v43, v52, v8, v43
	;;#ASMEND
	s_waitcnt lgkmcnt(2)
	;;#ASMSTART
	v_dot2_f32_f16 v41, v49, v57, v41
	;;#ASMEND
	;;#ASMSTART
	v_dot2_f32_f16 v41, v50, v58, v41
	;;#ASMEND
	;;#ASMSTART
	v_dot2_f32_f16 v41, v51, v59, v41
	;;#ASMEND
	;;#ASMSTART
	v_dot2_f32_f16 v41, v52, v60, v41
	;;#ASMEND
	;; [unrolled: 13-line block ×4, first 2 shown]
	;;#ASMSTART
	v_dot2_f32_f16 v44, v53, v5, v44
	;;#ASMEND
	;;#ASMSTART
	v_dot2_f32_f16 v44, v54, v6, v44
	;;#ASMEND
	;; [unrolled: 3-line block ×16, first 2 shown]
	ds_read_b128 v[5:8], v21 offset:13328
	ds_read_b128 v[49:52], v46 offset:16
	;; [unrolled: 1-line block ×6, first 2 shown]
	s_waitcnt lgkmcnt(4)
	;;#ASMSTART
	v_dot2_f32_f16 v43, v49, v5, v43
	;;#ASMEND
	;;#ASMSTART
	v_dot2_f32_f16 v43, v50, v6, v43
	;;#ASMEND
	;;#ASMSTART
	v_dot2_f32_f16 v43, v51, v7, v43
	;;#ASMEND
	;;#ASMSTART
	v_dot2_f32_f16 v43, v52, v8, v43
	;;#ASMEND
	s_waitcnt lgkmcnt(2)
	;;#ASMSTART
	v_dot2_f32_f16 v41, v49, v57, v41
	;;#ASMEND
	;;#ASMSTART
	v_dot2_f32_f16 v41, v50, v58, v41
	;;#ASMEND
	;;#ASMSTART
	v_dot2_f32_f16 v41, v51, v59, v41
	;;#ASMEND
	;;#ASMSTART
	v_dot2_f32_f16 v41, v52, v60, v41
	;;#ASMEND
	;; [unrolled: 13-line block ×4, first 2 shown]
	;;#ASMSTART
	v_dot2_f32_f16 v44, v53, v5, v44
	;;#ASMEND
	;;#ASMSTART
	v_dot2_f32_f16 v44, v54, v6, v44
	;;#ASMEND
	;;#ASMSTART
	v_dot2_f32_f16 v44, v55, v7, v44
	;;#ASMEND
	;;#ASMSTART
	v_dot2_f32_f16 v44, v56, v8, v44
	;;#ASMEND
	;;#ASMSTART
	v_dot2_f32_f16 v42, v53, v57, v42
	;;#ASMEND
	;;#ASMSTART
	v_dot2_f32_f16 v42, v54, v58, v42
	;;#ASMEND
	;;#ASMSTART
	v_dot2_f32_f16 v42, v55, v59, v42
	;;#ASMEND
	;;#ASMSTART
	v_dot2_f32_f16 v42, v56, v60, v42
	;;#ASMEND
	;;#ASMSTART
	v_dot2_f32_f16 v40, v53, v61, v40
	;;#ASMEND
	;;#ASMSTART
	v_dot2_f32_f16 v40, v54, v62, v40
	;;#ASMEND
	;;#ASMSTART
	v_dot2_f32_f16 v40, v55, v63, v40
	;;#ASMEND
	;;#ASMSTART
	v_dot2_f32_f16 v40, v56, v64, v40
	;;#ASMEND
	;;#ASMSTART
	v_dot2_f32_f16 v38, v53, v65, v38
	;;#ASMEND
	;;#ASMSTART
	v_dot2_f32_f16 v38, v54, v66, v38
	;;#ASMEND
	;;#ASMSTART
	v_dot2_f32_f16 v38, v55, v67, v38
	;;#ASMEND
	;;#ASMSTART
	v_dot2_f32_f16 v38, v56, v68, v38
	;;#ASMEND
	ds_read_b128 v[5:8], v21 offset:13344
	ds_read_b128 v[49:52], v46 offset:32
	;; [unrolled: 1-line block ×6, first 2 shown]
	s_waitcnt lgkmcnt(4)
	;;#ASMSTART
	v_dot2_f32_f16 v43, v49, v5, v43
	;;#ASMEND
	;;#ASMSTART
	v_dot2_f32_f16 v43, v50, v6, v43
	;;#ASMEND
	;;#ASMSTART
	v_dot2_f32_f16 v43, v51, v7, v43
	;;#ASMEND
	;;#ASMSTART
	v_dot2_f32_f16 v43, v52, v8, v43
	;;#ASMEND
	s_waitcnt lgkmcnt(2)
	;;#ASMSTART
	v_dot2_f32_f16 v41, v49, v57, v41
	;;#ASMEND
	;;#ASMSTART
	v_dot2_f32_f16 v41, v50, v58, v41
	;;#ASMEND
	;;#ASMSTART
	v_dot2_f32_f16 v41, v51, v59, v41
	;;#ASMEND
	;;#ASMSTART
	v_dot2_f32_f16 v41, v52, v60, v41
	;;#ASMEND
	;; [unrolled: 13-line block ×4, first 2 shown]
	;;#ASMSTART
	v_dot2_f32_f16 v44, v53, v5, v44
	;;#ASMEND
	;;#ASMSTART
	v_dot2_f32_f16 v44, v54, v6, v44
	;;#ASMEND
	;; [unrolled: 3-line block ×16, first 2 shown]
	ds_read_b128 v[5:8], v21 offset:13360
	ds_read_b128 v[49:52], v46 offset:48
	ds_read_b128 v[53:56], v46 offset:4656
	ds_read_b128 v[57:60], v21 offset:13488
	ds_read_b128 v[61:64], v21 offset:13616
	ds_read_b128 v[65:68], v21 offset:13744
	s_waitcnt lgkmcnt(4)
	;;#ASMSTART
	v_dot2_f32_f16 v43, v49, v5, v43
	;;#ASMEND
	;;#ASMSTART
	v_dot2_f32_f16 v43, v50, v6, v43
	;;#ASMEND
	;;#ASMSTART
	v_dot2_f32_f16 v43, v51, v7, v43
	;;#ASMEND
	;;#ASMSTART
	v_dot2_f32_f16 v43, v52, v8, v43
	;;#ASMEND
	s_waitcnt lgkmcnt(2)
	;;#ASMSTART
	v_dot2_f32_f16 v41, v49, v57, v41
	;;#ASMEND
	;;#ASMSTART
	v_dot2_f32_f16 v41, v50, v58, v41
	;;#ASMEND
	;;#ASMSTART
	v_dot2_f32_f16 v41, v51, v59, v41
	;;#ASMEND
	;;#ASMSTART
	v_dot2_f32_f16 v41, v52, v60, v41
	;;#ASMEND
	;; [unrolled: 13-line block ×4, first 2 shown]
	;;#ASMSTART
	v_dot2_f32_f16 v44, v53, v5, v44
	;;#ASMEND
	;;#ASMSTART
	v_dot2_f32_f16 v44, v54, v6, v44
	;;#ASMEND
	;; [unrolled: 3-line block ×16, first 2 shown]
	ds_read_b128 v[5:8], v21 offset:13376
	ds_read_b128 v[49:52], v46 offset:64
	;; [unrolled: 1-line block ×6, first 2 shown]
	s_waitcnt lgkmcnt(4)
	;;#ASMSTART
	v_dot2_f32_f16 v43, v49, v5, v43
	;;#ASMEND
	;;#ASMSTART
	v_dot2_f32_f16 v43, v50, v6, v43
	;;#ASMEND
	;;#ASMSTART
	v_dot2_f32_f16 v43, v51, v7, v43
	;;#ASMEND
	;;#ASMSTART
	v_dot2_f32_f16 v43, v52, v8, v43
	;;#ASMEND
	s_waitcnt lgkmcnt(2)
	;;#ASMSTART
	v_dot2_f32_f16 v41, v49, v57, v41
	;;#ASMEND
	;;#ASMSTART
	v_dot2_f32_f16 v41, v50, v58, v41
	;;#ASMEND
	;;#ASMSTART
	v_dot2_f32_f16 v41, v51, v59, v41
	;;#ASMEND
	;;#ASMSTART
	v_dot2_f32_f16 v41, v52, v60, v41
	;;#ASMEND
	;; [unrolled: 13-line block ×4, first 2 shown]
	;;#ASMSTART
	v_dot2_f32_f16 v44, v53, v5, v44
	;;#ASMEND
	;;#ASMSTART
	v_dot2_f32_f16 v44, v54, v6, v44
	;;#ASMEND
	;; [unrolled: 3-line block ×16, first 2 shown]
	ds_read_b128 v[5:8], v21 offset:13392
	ds_read_b128 v[49:52], v46 offset:80
	;; [unrolled: 1-line block ×6, first 2 shown]
	s_waitcnt lgkmcnt(4)
	;;#ASMSTART
	v_dot2_f32_f16 v43, v49, v5, v43
	;;#ASMEND
	;;#ASMSTART
	v_dot2_f32_f16 v43, v50, v6, v43
	;;#ASMEND
	;;#ASMSTART
	v_dot2_f32_f16 v43, v51, v7, v43
	;;#ASMEND
	;;#ASMSTART
	v_dot2_f32_f16 v43, v52, v8, v43
	;;#ASMEND
	s_waitcnt lgkmcnt(2)
	;;#ASMSTART
	v_dot2_f32_f16 v41, v49, v57, v41
	;;#ASMEND
	;;#ASMSTART
	v_dot2_f32_f16 v41, v50, v58, v41
	;;#ASMEND
	;;#ASMSTART
	v_dot2_f32_f16 v41, v51, v59, v41
	;;#ASMEND
	;;#ASMSTART
	v_dot2_f32_f16 v41, v52, v60, v41
	;;#ASMEND
	;; [unrolled: 13-line block ×4, first 2 shown]
	;;#ASMSTART
	v_dot2_f32_f16 v44, v53, v5, v44
	;;#ASMEND
	;;#ASMSTART
	v_dot2_f32_f16 v44, v54, v6, v44
	;;#ASMEND
	;; [unrolled: 3-line block ×16, first 2 shown]
	ds_read_b128 v[5:8], v21 offset:13408
	ds_read_b128 v[49:52], v46 offset:96
	;; [unrolled: 1-line block ×6, first 2 shown]
	s_waitcnt lgkmcnt(4)
	;;#ASMSTART
	v_dot2_f32_f16 v43, v49, v5, v43
	;;#ASMEND
	;;#ASMSTART
	v_dot2_f32_f16 v43, v50, v6, v43
	;;#ASMEND
	;;#ASMSTART
	v_dot2_f32_f16 v43, v51, v7, v43
	;;#ASMEND
	;;#ASMSTART
	v_dot2_f32_f16 v43, v52, v8, v43
	;;#ASMEND
	s_waitcnt lgkmcnt(2)
	;;#ASMSTART
	v_dot2_f32_f16 v41, v49, v57, v41
	;;#ASMEND
	;;#ASMSTART
	v_dot2_f32_f16 v41, v50, v58, v41
	;;#ASMEND
	;;#ASMSTART
	v_dot2_f32_f16 v41, v51, v59, v41
	;;#ASMEND
	;;#ASMSTART
	v_dot2_f32_f16 v41, v52, v60, v41
	;;#ASMEND
	;; [unrolled: 13-line block ×4, first 2 shown]
	;;#ASMSTART
	v_dot2_f32_f16 v44, v53, v5, v44
	;;#ASMEND
	;;#ASMSTART
	v_dot2_f32_f16 v44, v54, v6, v44
	;;#ASMEND
	;; [unrolled: 3-line block ×16, first 2 shown]
	ds_read_b128 v[5:8], v21 offset:13424
	ds_read_b128 v[49:52], v46 offset:112
	;; [unrolled: 1-line block ×6, first 2 shown]
	s_waitcnt lgkmcnt(4)
	;;#ASMSTART
	v_dot2_f32_f16 v43, v49, v5, v43
	;;#ASMEND
	;;#ASMSTART
	v_dot2_f32_f16 v43, v50, v6, v43
	;;#ASMEND
	;;#ASMSTART
	v_dot2_f32_f16 v43, v51, v7, v43
	;;#ASMEND
	;;#ASMSTART
	v_dot2_f32_f16 v43, v52, v8, v43
	;;#ASMEND
	s_waitcnt lgkmcnt(2)
	;;#ASMSTART
	v_dot2_f32_f16 v41, v49, v57, v41
	;;#ASMEND
	;;#ASMSTART
	v_dot2_f32_f16 v41, v50, v58, v41
	;;#ASMEND
	;;#ASMSTART
	v_dot2_f32_f16 v41, v51, v59, v41
	;;#ASMEND
	;;#ASMSTART
	v_dot2_f32_f16 v41, v52, v60, v41
	;;#ASMEND
	;; [unrolled: 13-line block ×4, first 2 shown]
	;;#ASMSTART
	v_dot2_f32_f16 v44, v53, v5, v44
	;;#ASMEND
	;;#ASMSTART
	v_dot2_f32_f16 v44, v54, v6, v44
	;;#ASMEND
	;; [unrolled: 3-line block ×14, first 2 shown]
	v_mov_b32_e32 v8, v4
	;;#ASMSTART
	v_dot2_f32_f16 v38, v55, v67, v38
	;;#ASMEND
	v_mov_b32_e32 v7, v3
	v_mov_b32_e32 v6, v2
	;; [unrolled: 1-line block ×3, first 2 shown]
	;;#ASMSTART
	v_dot2_f32_f16 v38, v56, v68, v38
	;;#ASMEND
	s_and_saveexec_b64 s[14:15], s[12:13]
	s_cbranch_execz .LBB56_35
; %bb.32:
	s_and_b64 vcc, exec, s[10:11]
	s_cbranch_vccnz .LBB56_34
; %bb.33:
	v_add_u32_e32 v5, v48, v0
	v_ashrrev_i32_e32 v6, 31, v5
	v_lshlrev_b64 v[5:6], 1, v[5:6]
	v_mov_b32_e32 v7, s45
	v_add_co_u32_e32 v5, vcc, s44, v5
	v_addc_co_u32_e32 v6, vcc, v7, v6, vcc
	global_load_ushort v5, v[5:6], off
	s_waitcnt vmcnt(0)
	v_cvt_f32_f16_e32 v5, v5
	v_mul_f32_e32 v45, v24, v5
.LBB56_34:
	v_add_f32_e32 v43, v43, v45
	v_add_f32_e32 v5, 0x40051340, v43
	v_max_f32_e32 v6, v1, v1
	v_max_f32_e32 v33, v6, v5
	v_mov_b32_e32 v8, v4
	v_mov_b32_e32 v5, v1
	;; [unrolled: 1-line block ×5, first 2 shown]
.LBB56_35:
	s_or_b64 exec, exec, s[14:15]
	v_add_u32_e32 v33, 32, v0
	v_cmp_gt_i32_e64 s[14:15], s39, v33
	s_and_saveexec_b64 s[18:19], s[14:15]
	s_cbranch_execz .LBB56_40
; %bb.36:
	s_and_b64 vcc, exec, s[10:11]
	s_cbranch_vccnz .LBB56_38
; %bb.37:
	v_ashrrev_i32_e32 v46, 31, v48
	v_add_co_u32_e32 v45, vcc, v48, v0
	v_addc_co_u32_e32 v46, vcc, 0, v46, vcc
	v_lshlrev_b64 v[45:46], 1, v[45:46]
	v_mov_b32_e32 v47, s45
	v_add_co_u32_e32 v45, vcc, s44, v45
	v_addc_co_u32_e32 v46, vcc, v47, v46, vcc
	global_load_ushort v45, v[45:46], off offset:64
	s_waitcnt vmcnt(0)
	v_cvt_f32_f16_e32 v45, v45
	v_mul_f32_e32 v45, v24, v45
	s_branch .LBB56_39
.LBB56_38:
	v_mov_b32_e32 v45, 0
.LBB56_39:
	v_add_f32_e32 v44, v44, v45
	v_add_f32_e32 v45, 0x40051340, v44
	v_max_f32_e32 v5, v5, v5
	v_max_f32_e32 v5, v5, v45
.LBB56_40:
	s_or_b64 exec, exec, s[18:19]
	v_mbcnt_hi_u32_b32 v45, -1, v31
	v_and_b32_e32 v31, 0x60, v45
	v_add_u32_e32 v46, 32, v31
	v_xor_b32_e32 v48, 16, v45
	v_cmp_lt_i32_e32 vcc, v48, v46
	v_cndmask_b32_e32 v31, v45, v48, vcc
	v_lshlrev_b32_e32 v54, 2, v31
	ds_bpermute_b32 v31, v54, v5
	v_xor_b32_e32 v47, 8, v45
	v_cmp_lt_i32_e32 vcc, v47, v46
	v_cndmask_b32_e32 v49, v45, v47, vcc
	v_max_f32_e32 v5, v5, v5
	s_waitcnt lgkmcnt(0)
	v_max_f32_e32 v31, v31, v31
	v_lshlrev_b32_e32 v55, 2, v49
	v_max_f32_e32 v5, v5, v31
	ds_bpermute_b32 v51, v55, v5
	v_xor_b32_e32 v49, 4, v45
	v_cmp_lt_i32_e32 vcc, v49, v46
	v_cndmask_b32_e32 v31, v45, v49, vcc
	v_lshlrev_b32_e32 v31, 2, v31
	s_waitcnt lgkmcnt(0)
	v_max_f32_e32 v51, v51, v51
	v_max_f32_e32 v5, v5, v51
	ds_bpermute_b32 v53, v31, v5
	v_xor_b32_e32 v50, 2, v45
	v_cmp_lt_i32_e32 vcc, v50, v46
	v_cndmask_b32_e32 v51, v45, v50, vcc
	v_mul_hi_u32 v57, s28, v30
	s_waitcnt lgkmcnt(0)
	v_max_f32_e32 v53, v53, v53
	v_lshlrev_b32_e32 v52, 2, v51
	v_max_f32_e32 v5, v5, v53
	ds_bpermute_b32 v56, v52, v5
	v_add_u32_e32 v57, v30, v57
	v_xor_b32_e32 v51, 1, v45
	v_lshrrev_b32_e32 v57, s29, v57
	v_cmp_lt_i32_e32 vcc, v51, v46
	v_mul_lo_u32 v57, v57, s30
	v_cndmask_b32_e32 v53, v45, v51, vcc
	s_waitcnt lgkmcnt(0)
	v_max_f32_e32 v56, v56, v56
	v_lshlrev_b32_e32 v53, 2, v53
	v_max_f32_e32 v5, v5, v56
	ds_bpermute_b32 v56, v53, v5
	v_sub_u32_e32 v30, v30, v57
	v_mul_lo_u32 v30, v30, s38
	s_waitcnt lgkmcnt(0)
	v_max_f32_e32 v56, v56, v56
	v_max_f32_e32 v5, v5, v56
	v_add_u32_e32 v30, s36, v30
	s_and_saveexec_b64 s[18:19], s[12:13]
	s_cbranch_execz .LBB56_45
; %bb.41:
	s_and_b64 vcc, exec, s[10:11]
	s_cbranch_vccnz .LBB56_43
; %bb.42:
	v_add_u32_e32 v56, v30, v0
	v_ashrrev_i32_e32 v57, 31, v56
	v_lshlrev_b64 v[56:57], 1, v[56:57]
	v_mov_b32_e32 v58, s45
	v_add_co_u32_e32 v56, vcc, s44, v56
	v_addc_co_u32_e32 v57, vcc, v58, v57, vcc
	global_load_ushort v56, v[56:57], off
	s_waitcnt vmcnt(0)
	v_cvt_f32_f16_e32 v56, v56
	v_mul_f32_e32 v56, v24, v56
	s_branch .LBB56_44
.LBB56_43:
	v_mov_b32_e32 v56, 0
.LBB56_44:
	v_add_f32_e32 v41, v41, v56
	v_add_f32_e32 v56, 0x40051340, v41
	v_max_f32_e32 v6, v6, v6
	v_max_f32_e32 v6, v6, v56
.LBB56_45:
	s_or_b64 exec, exec, s[18:19]
	s_and_saveexec_b64 s[18:19], s[14:15]
	s_cbranch_execz .LBB56_50
; %bb.46:
	s_and_b64 vcc, exec, s[10:11]
	s_cbranch_vccnz .LBB56_48
; %bb.47:
	v_ashrrev_i32_e32 v57, 31, v30
	v_add_co_u32_e32 v56, vcc, v30, v0
	v_addc_co_u32_e32 v57, vcc, 0, v57, vcc
	v_lshlrev_b64 v[56:57], 1, v[56:57]
	v_mov_b32_e32 v30, s45
	v_add_co_u32_e32 v56, vcc, s44, v56
	v_addc_co_u32_e32 v57, vcc, v30, v57, vcc
	global_load_ushort v30, v[56:57], off offset:64
	s_waitcnt vmcnt(0)
	v_cvt_f32_f16_e32 v30, v30
	v_mul_f32_e32 v30, v24, v30
	s_branch .LBB56_49
.LBB56_48:
	v_mov_b32_e32 v30, 0
.LBB56_49:
	v_add_f32_e32 v42, v42, v30
	v_add_f32_e32 v30, 0x40051340, v42
	v_max_f32_e32 v6, v6, v6
	v_max_f32_e32 v6, v6, v30
.LBB56_50:
	s_or_b64 exec, exec, s[18:19]
	ds_bpermute_b32 v30, v54, v6
	v_max_f32_e32 v6, v6, v6
	v_mul_hi_u32 v56, s28, v29
	s_waitcnt lgkmcnt(0)
	v_max_f32_e32 v30, v30, v30
	v_max_f32_e32 v6, v6, v30
	ds_bpermute_b32 v30, v55, v6
	v_add_u32_e32 v56, v29, v56
	v_lshrrev_b32_e32 v56, s29, v56
	v_mul_lo_u32 v56, v56, s30
	s_waitcnt lgkmcnt(0)
	v_max_f32_e32 v30, v30, v30
	v_max_f32_e32 v6, v6, v30
	ds_bpermute_b32 v30, v31, v6
	v_sub_u32_e32 v29, v29, v56
	v_mul_lo_u32 v29, v29, s38
	s_waitcnt lgkmcnt(0)
	v_max_f32_e32 v30, v30, v30
	v_max_f32_e32 v6, v6, v30
	ds_bpermute_b32 v30, v52, v6
	v_add_u32_e32 v29, s36, v29
	s_waitcnt lgkmcnt(0)
	v_max_f32_e32 v30, v30, v30
	v_max_f32_e32 v6, v6, v30
	ds_bpermute_b32 v30, v53, v6
	s_waitcnt lgkmcnt(0)
	v_max_f32_e32 v30, v30, v30
	v_max_f32_e32 v6, v6, v30
	s_and_saveexec_b64 s[18:19], s[12:13]
	s_cbranch_execz .LBB56_55
; %bb.51:
	s_and_b64 vcc, exec, s[10:11]
	s_cbranch_vccnz .LBB56_53
; %bb.52:
	v_add_u32_e32 v56, v29, v0
	v_ashrrev_i32_e32 v57, 31, v56
	v_lshlrev_b64 v[56:57], 1, v[56:57]
	v_mov_b32_e32 v30, s45
	v_add_co_u32_e32 v56, vcc, s44, v56
	v_addc_co_u32_e32 v57, vcc, v30, v57, vcc
	global_load_ushort v30, v[56:57], off
	s_waitcnt vmcnt(0)
	v_cvt_f32_f16_e32 v30, v30
	v_mul_f32_e32 v30, v24, v30
	s_branch .LBB56_54
.LBB56_53:
	v_mov_b32_e32 v30, 0
.LBB56_54:
	v_add_f32_e32 v39, v39, v30
	v_add_f32_e32 v30, 0x40051340, v39
	v_max_f32_e32 v7, v7, v7
	v_max_f32_e32 v7, v7, v30
.LBB56_55:
	s_or_b64 exec, exec, s[18:19]
	s_and_saveexec_b64 s[18:19], s[14:15]
	s_cbranch_execz .LBB56_60
; %bb.56:
	s_and_b64 vcc, exec, s[10:11]
	s_cbranch_vccnz .LBB56_58
; %bb.57:
	v_ashrrev_i32_e32 v30, 31, v29
	v_add_co_u32_e32 v29, vcc, v29, v0
	v_addc_co_u32_e32 v30, vcc, 0, v30, vcc
	v_lshlrev_b64 v[29:30], 1, v[29:30]
	v_mov_b32_e32 v56, s45
	v_add_co_u32_e32 v29, vcc, s44, v29
	v_addc_co_u32_e32 v30, vcc, v56, v30, vcc
	global_load_ushort v29, v[29:30], off offset:64
	s_waitcnt vmcnt(0)
	v_cvt_f32_f16_e32 v29, v29
	v_mul_f32_e32 v29, v24, v29
	s_branch .LBB56_59
.LBB56_58:
	v_mov_b32_e32 v29, 0
.LBB56_59:
	v_add_f32_e32 v40, v40, v29
	v_add_f32_e32 v29, 0x40051340, v40
	v_max_f32_e32 v7, v7, v7
	v_max_f32_e32 v7, v7, v29
.LBB56_60:
	s_or_b64 exec, exec, s[18:19]
	ds_bpermute_b32 v29, v54, v7
	v_max_f32_e32 v7, v7, v7
	v_mul_hi_u32 v30, s28, v28
	s_waitcnt lgkmcnt(0)
	v_max_f32_e32 v29, v29, v29
	v_max_f32_e32 v7, v7, v29
	ds_bpermute_b32 v29, v55, v7
	v_add_u32_e32 v30, v28, v30
	v_lshrrev_b32_e32 v30, s29, v30
	v_mul_lo_u32 v30, v30, s30
	s_waitcnt lgkmcnt(0)
	v_max_f32_e32 v29, v29, v29
	v_max_f32_e32 v7, v7, v29
	ds_bpermute_b32 v29, v31, v7
	v_sub_u32_e32 v28, v28, v30
	v_mul_lo_u32 v28, v28, s38
	s_waitcnt lgkmcnt(0)
	v_max_f32_e32 v29, v29, v29
	v_max_f32_e32 v7, v7, v29
	ds_bpermute_b32 v29, v52, v7
	v_add_u32_e32 v28, s36, v28
	s_waitcnt lgkmcnt(0)
	v_max_f32_e32 v29, v29, v29
	v_max_f32_e32 v7, v7, v29
	ds_bpermute_b32 v29, v53, v7
	s_waitcnt lgkmcnt(0)
	v_max_f32_e32 v29, v29, v29
	v_max_f32_e32 v7, v7, v29
	s_and_saveexec_b64 s[18:19], s[12:13]
	s_cbranch_execz .LBB56_65
; %bb.61:
	s_and_b64 vcc, exec, s[10:11]
	s_cbranch_vccnz .LBB56_63
; %bb.62:
	v_add_u32_e32 v29, v28, v0
	v_ashrrev_i32_e32 v30, 31, v29
	v_lshlrev_b64 v[29:30], 1, v[29:30]
	v_mov_b32_e32 v56, s45
	v_add_co_u32_e32 v29, vcc, s44, v29
	v_addc_co_u32_e32 v30, vcc, v56, v30, vcc
	global_load_ushort v29, v[29:30], off
	s_waitcnt vmcnt(0)
	v_cvt_f32_f16_e32 v29, v29
	v_mul_f32_e32 v29, v24, v29
	s_branch .LBB56_64
.LBB56_63:
	v_mov_b32_e32 v29, 0
.LBB56_64:
	v_add_f32_e32 v12, v12, v29
	v_add_f32_e32 v29, 0x40051340, v12
	v_max_f32_e32 v8, v8, v8
	v_max_f32_e32 v8, v8, v29
.LBB56_65:
	s_or_b64 exec, exec, s[18:19]
	s_and_saveexec_b64 s[12:13], s[14:15]
	s_cbranch_execz .LBB56_70
; %bb.66:
	s_and_b64 vcc, exec, s[10:11]
	s_cbranch_vccnz .LBB56_68
; %bb.67:
	v_ashrrev_i32_e32 v29, 31, v28
	v_add_co_u32_e32 v28, vcc, v28, v0
	v_addc_co_u32_e32 v29, vcc, 0, v29, vcc
	v_lshlrev_b64 v[28:29], 1, v[28:29]
	v_mov_b32_e32 v30, s45
	v_add_co_u32_e32 v28, vcc, s44, v28
	v_addc_co_u32_e32 v29, vcc, v30, v29, vcc
	global_load_ushort v28, v[28:29], off offset:64
	s_waitcnt vmcnt(0)
	v_cvt_f32_f16_e32 v28, v28
	v_mul_f32_e32 v24, v24, v28
	s_branch .LBB56_69
.LBB56_68:
	v_mov_b32_e32 v24, 0
.LBB56_69:
	v_add_f32_e32 v38, v38, v24
	v_add_f32_e32 v24, 0x40051340, v38
	v_max_f32_e32 v8, v8, v8
	v_max_f32_e32 v8, v8, v24
.LBB56_70:
	s_or_b64 exec, exec, s[12:13]
	ds_bpermute_b32 v24, v54, v8
	v_max_f32_e32 v8, v8, v8
	v_sub_f32_e32 v28, v43, v5
	s_mov_b32 s18, 0x3fb8aa3b
	v_mul_f32_e32 v29, 0x3fb8aa3b, v28
	s_waitcnt lgkmcnt(0)
	v_max_f32_e32 v24, v24, v24
	v_max_f32_e32 v8, v8, v24
	ds_bpermute_b32 v24, v55, v8
	v_fma_f32 v30, v28, s18, -v29
	v_fmac_f32_e32 v30, 0x32a5705f, v28
	s_mov_b64 s[14:15], src_private_base
	s_mov_b32 s14, 0xc2ce8ed0
	s_waitcnt lgkmcnt(0)
	v_max_f32_e32 v24, v24, v24
	v_max_f32_e32 v8, v8, v24
	ds_bpermute_b32 v24, v31, v8
	v_rndne_f32_e32 v31, v29
	v_sub_f32_e32 v29, v29, v31
	v_add_f32_e32 v29, v29, v30
	v_cvt_i32_f32_e32 v31, v31
	s_waitcnt lgkmcnt(0)
	v_max_f32_e32 v24, v24, v24
	v_max_f32_e32 v8, v8, v24
	ds_bpermute_b32 v24, v52, v8
	v_exp_f32_e32 v29, v29
	s_mov_b32 s19, 0x42b17218
	v_cmp_ngt_f32_e32 vcc, s14, v28
	v_sub_f32_e32 v39, v39, v7
	s_waitcnt lgkmcnt(0)
	v_max_f32_e32 v24, v24, v24
	v_max_f32_e32 v8, v8, v24
	ds_bpermute_b32 v24, v53, v8
	v_ldexp_f32 v29, v29, v31
	v_cndmask_b32_e32 v29, 0, v29, vcc
	v_cmp_nlt_f32_e32 vcc, s19, v28
	v_sub_f32_e32 v40, v40, v7
	s_waitcnt lgkmcnt(0)
	v_max_f32_e32 v24, v24, v24
	v_max_f32_e32 v8, v8, v24
	v_mov_b32_e32 v24, 0x7f800000
	v_cndmask_b32_e32 v28, v24, v29, vcc
	v_sub_f32_e32 v29, v44, v5
	v_mul_f32_e32 v30, 0x3fb8aa3b, v29
	v_fma_f32 v31, v29, s18, -v30
	v_rndne_f32_e32 v43, v30
	v_fmac_f32_e32 v31, 0x32a5705f, v29
	v_sub_f32_e32 v30, v30, v43
	v_add_f32_e32 v30, v30, v31
	v_exp_f32_e32 v30, v30
	v_cvt_i32_f32_e32 v31, v43
	v_cmp_ngt_f32_e64 s[10:11], s14, v29
	v_sub_f32_e32 v12, v12, v8
	v_sub_f32_e32 v38, v38, v8
	v_ldexp_f32 v30, v30, v31
	v_cndmask_b32_e64 v30, 0, v30, s[10:11]
	v_cmp_nlt_f32_e64 s[10:11], s19, v29
	v_cndmask_b32_e64 v29, v24, v30, s[10:11]
	v_sub_f32_e32 v30, v41, v6
	v_mul_f32_e32 v31, 0x3fb8aa3b, v30
	v_fma_f32 v41, v30, s18, -v31
	v_rndne_f32_e32 v44, v31
	v_fmac_f32_e32 v41, 0x32a5705f, v30
	v_sub_f32_e32 v31, v31, v44
	v_add_f32_e32 v31, v31, v41
	v_exp_f32_e32 v31, v31
	v_cvt_i32_f32_e32 v41, v44
	v_cmp_ngt_f32_e64 s[12:13], s14, v30
	v_cmp_gt_u32_e32 vcc, s39, v0
	v_cndmask_b32_e32 v28, 0, v28, vcc
	v_ldexp_f32 v31, v31, v41
	v_sub_f32_e32 v41, v42, v6
	v_mul_f32_e32 v42, 0x3fb8aa3b, v41
	v_fma_f32 v52, v41, s18, -v42
	v_rndne_f32_e32 v53, v42
	v_fmac_f32_e32 v52, 0x32a5705f, v41
	v_sub_f32_e32 v42, v42, v53
	v_add_f32_e32 v42, v42, v52
	v_exp_f32_e32 v42, v42
	v_cvt_i32_f32_e32 v52, v53
	v_cndmask_b32_e64 v31, 0, v31, s[12:13]
	v_cmp_nlt_f32_e64 s[12:13], s19, v30
	v_cndmask_b32_e64 v30, v24, v31, s[12:13]
	v_ldexp_f32 v42, v42, v52
	v_mul_f32_e32 v52, 0x3fb8aa3b, v39
	v_fma_f32 v53, v39, s18, -v52
	v_rndne_f32_e32 v54, v52
	v_fmac_f32_e32 v53, 0x32a5705f, v39
	v_sub_f32_e32 v52, v52, v54
	v_add_f32_e32 v52, v52, v53
	v_exp_f32_e32 v52, v52
	v_cvt_i32_f32_e32 v53, v54
	v_cmp_ngt_f32_e64 s[12:13], s14, v41
	v_cndmask_b32_e64 v42, 0, v42, s[12:13]
	v_cmp_nlt_f32_e64 s[12:13], s19, v41
	v_cndmask_b32_e64 v41, v24, v42, s[12:13]
	v_ldexp_f32 v42, v52, v53
	v_mul_f32_e32 v52, 0x3fb8aa3b, v40
	v_fma_f32 v53, v40, s18, -v52
	v_rndne_f32_e32 v55, v52
	v_fmac_f32_e32 v53, 0x32a5705f, v40
	v_sub_f32_e32 v52, v52, v55
	v_add_f32_e32 v52, v52, v53
	v_exp_f32_e32 v52, v52
	v_cvt_i32_f32_e32 v53, v55
	v_cmp_ngt_f32_e64 s[12:13], s14, v39
	;; [unrolled: 13-line block ×4, first 2 shown]
	v_cndmask_b32_e64 v42, 0, v42, s[12:13]
	v_cmp_nlt_f32_e64 s[12:13], s19, v12
	v_cndmask_b32_e64 v12, v24, v42, s[12:13]
	v_cndmask_b32_e32 v30, 0, v30, vcc
	v_cndmask_b32_e32 v55, 0, v39, vcc
	;; [unrolled: 1-line block ×3, first 2 shown]
	v_ldexp_f32 v42, v52, v53
	v_cmp_ngt_f32_e32 vcc, s14, v38
	v_cndmask_b32_e32 v42, 0, v42, vcc
	v_cmp_nlt_f32_e32 vcc, s19, v38
	v_cmp_gt_u32_e64 s[10:11], s39, v33
	v_cndmask_b32_e32 v38, v24, v42, vcc
	v_cvt_f16_f32_e32 v43, v28
	v_cvt_f16_f32_e32 v31, v30
	;; [unrolled: 1-line block ×3, first 2 shown]
	v_cndmask_b32_e64 v56, 0, v40, s[10:11]
	v_cvt_f16_f32_e32 v12, v57
	v_cndmask_b32_e64 v52, 0, v38, s[10:11]
	v_cvt_f16_f32_e32 v40, v56
	v_cvt_f16_f32_e32 v42, v52
	v_add_u32_e32 v53, 0x2400, v21
	v_cndmask_b32_e64 v29, 0, v29, s[10:11]
	v_cndmask_b32_e64 v54, 0, v41, s[10:11]
	v_lshl_add_u32 v58, v0, 3, v53
	v_pack_b32_f16 v39, v39, v12
	v_pack_b32_f16 v38, v43, v31
	s_barrier
	v_cvt_f16_f32_e32 v44, v29
	v_cvt_f16_f32_e32 v41, v54
	ds_write_b64 v58, v[38:39]
	v_pack_b32_f16 v39, v40, v42
	v_mul_lo_u32 v42, s8, v11
	s_mul_hi_i32 s11, s36, s8
	s_mul_i32 s10, s36, s8
	v_lshl_add_u32 v12, v33, 3, v53
	v_pack_b32_f16 v38, v44, v41
	s_lshl_b64 s[10:11], s[10:11], 2
	v_ashrrev_i32_e32 v43, 31, v42
	ds_write_b64 v12, v[38:39]
	s_add_u32 s10, s22, s10
	v_lshlrev_b64 v[38:39], 2, v[42:43]
	s_addc_u32 s11, s23, s11
	v_mov_b32_e32 v12, s11
	v_add_co_u32_e32 v31, vcc, s10, v38
	v_addc_co_u32_e32 v12, vcc, v12, v39, vcc
	v_add_co_u32_e32 v31, vcc, v31, v9
	v_mov_b32_e32 v33, 0
	v_addc_co_u32_e32 v12, vcc, 0, v12, vcc
	v_mov_b32_e32 v43, s15
	v_mov_b32_e32 v44, 0
	buffer_store_dword v33, off, s[0:3], 0
	buffer_store_dword v33, off, s[0:3], 0 offset:4
	buffer_store_dword v33, off, s[0:3], 0 offset:8
	;; [unrolled: 1-line block ×3, first 2 shown]
	v_cndmask_b32_e64 v39, v43, v12, s[6:7]
	v_cndmask_b32_e64 v38, v44, v31, s[6:7]
	flat_load_dwordx4 v[38:41], v[38:39]
	v_lshl_or_b32 v31, v11, 7, v9
	v_lshl_add_u32 v11, s8, 5, v42
	v_ashrrev_i32_e32 v12, 31, v11
	v_lshlrev_b64 v[11:12], 2, v[11:12]
	v_mov_b32_e32 v42, s11
	v_add_co_u32_e32 v11, vcc, s10, v11
	v_addc_co_u32_e32 v12, vcc, v42, v12, vcc
	v_add_co_u32_e32 v11, vcc, v11, v9
	v_addc_co_u32_e32 v12, vcc, 0, v12, vcc
	v_cndmask_b32_e64 v12, v43, v12, s[16:17]
	v_cndmask_b32_e64 v11, v44, v11, s[16:17]
	v_sub_f32_e32 v4, v4, v8
	v_lshl_or_b32 v9, v10, 7, v9
	s_mov_b32 s6, 0x10001
	s_waitcnt vmcnt(0) lgkmcnt(0)
	ds_write_b128 v31, v[38:41]
	buffer_store_dword v33, off, s[0:3], 0
	buffer_store_dword v33, off, s[0:3], 0 offset:4
	buffer_store_dword v33, off, s[0:3], 0 offset:8
	;; [unrolled: 1-line block ×3, first 2 shown]
	flat_load_dwordx4 v[38:41], v[11:12]
	v_sub_f32_e32 v11, v1, v5
	v_mul_f32_e32 v1, 0x3fb8aa3b, v11
	v_fma_f32 v12, v11, s18, -v1
	v_rndne_f32_e32 v31, v1
	v_fmac_f32_e32 v12, 0x32a5705f, v11
	v_sub_f32_e32 v1, v1, v31
	v_add_f32_e32 v1, v1, v12
	v_exp_f32_e32 v12, v1
	v_cvt_i32_f32_e32 v31, v31
	v_cmp_ngt_f32_e32 vcc, s14, v11
	v_add_f32_e32 v1, v28, v29
	v_ldexp_f32 v12, v12, v31
	v_cndmask_b32_e32 v12, 0, v12, vcc
	v_cmp_nlt_f32_e32 vcc, s19, v11
	v_cndmask_b32_e32 v11, v24, v12, vcc
	v_sub_f32_e32 v12, v2, v6
	v_mul_f32_e32 v2, 0x3fb8aa3b, v12
	v_fma_f32 v28, v12, s18, -v2
	v_rndne_f32_e32 v29, v2
	v_fmac_f32_e32 v28, 0x32a5705f, v12
	v_sub_f32_e32 v2, v2, v29
	v_add_f32_e32 v2, v2, v28
	v_fmac_f32_e32 v1, v35, v11
	v_cvt_f16_f32_e32 v11, v11
	v_exp_f32_e32 v28, v2
	v_cvt_i32_f32_e32 v29, v29
	v_cmp_ngt_f32_e32 vcc, s14, v12
	v_mul_u32_u24_e32 v42, 0x10001, v11
	v_add_f32_e32 v2, v30, v54
	v_ldexp_f32 v11, v28, v29
	v_sub_f32_e32 v28, v3, v7
	v_mul_f32_e32 v3, 0x3fb8aa3b, v28
	v_cndmask_b32_e32 v11, 0, v11, vcc
	v_cmp_nlt_f32_e32 vcc, s19, v12
	v_fma_f32 v29, v28, s18, -v3
	v_rndne_f32_e32 v30, v3
	v_cndmask_b32_e32 v11, v24, v11, vcc
	v_fmac_f32_e32 v29, 0x32a5705f, v28
	v_sub_f32_e32 v3, v3, v30
	v_cvt_f16_f32_e32 v12, v11
	v_add_f32_e32 v3, v3, v29
	v_exp_f32_e32 v29, v3
	v_cvt_i32_f32_e32 v30, v30
	v_mul_u32_u24_e32 v43, 0x10001, v12
	v_mul_f32_e32 v12, 0x3fb8aa3b, v4
	v_fmac_f32_e32 v2, v34, v11
	v_ldexp_f32 v11, v29, v30
	v_fma_f32 v29, v4, s18, -v12
	v_rndne_f32_e32 v30, v12
	v_fmac_f32_e32 v29, 0x32a5705f, v4
	v_sub_f32_e32 v12, v12, v30
	v_add_f32_e32 v12, v12, v29
	v_exp_f32_e32 v12, v12
	v_cvt_i32_f32_e32 v29, v30
	v_cmp_ngt_f32_e32 vcc, s14, v28
	v_cndmask_b32_e32 v11, 0, v11, vcc
	v_cmp_nlt_f32_e32 vcc, s19, v28
	v_cndmask_b32_e32 v11, v24, v11, vcc
	v_ldexp_f32 v12, v12, v29
	v_cmp_ngt_f32_e32 vcc, s14, v4
	v_cndmask_b32_e32 v12, 0, v12, vcc
	v_cmp_nlt_f32_e32 vcc, s19, v4
	v_add_f32_e32 v3, v55, v56
	v_cndmask_b32_e32 v12, v24, v12, vcc
	v_fmac_f32_e32 v3, v37, v11
	v_cvt_f16_f32_e32 v11, v11
	v_cvt_f16_f32_e32 v24, v12
	v_add_f32_e32 v4, v57, v52
	v_fmac_f32_e32 v4, v36, v12
	v_mul_u32_u24_e32 v44, 0x10001, v11
	v_mul_u32_u24_e32 v11, 0x10001, v24
	v_pk_mul_f16 v52, v23, v11
	s_waitcnt vmcnt(0) lgkmcnt(0)
	ds_write_b128 v9, v[38:41]
	s_waitcnt lgkmcnt(0)
	s_barrier
	ds_read_b128 v[9:12], v21 offset:9216
	ds_read2_b32 v[23:24], v22 offset1:32
	ds_read_b128 v[28:31], v21 offset:9232
	ds_read_b128 v[33:36], v21 offset:9248
	;; [unrolled: 1-line block ×3, first 2 shown]
	s_waitcnt lgkmcnt(4)
	v_mul_u32_u24_sdwa v41, v9, s6 dst_sel:DWORD dst_unused:UNUSED_PAD src0_sel:WORD_0 src1_sel:DWORD
	v_mul_u32_u24_sdwa v9, v9, s6 dst_sel:DWORD dst_unused:UNUSED_PAD src0_sel:WORD_1 src1_sel:DWORD
	v_mul_u32_u24_sdwa v53, v10, s6 dst_sel:DWORD dst_unused:UNUSED_PAD src0_sel:WORD_0 src1_sel:DWORD
	s_waitcnt lgkmcnt(3)
	v_pk_mul_f16 v9, v23, v9
	v_mul_u32_u24_sdwa v10, v10, s6 dst_sel:DWORD dst_unused:UNUSED_PAD src0_sel:WORD_1 src1_sel:DWORD
	v_pk_fma_f16 v9, v26, v43, v9
	v_pk_mul_f16 v26, v23, v53
	v_pk_mul_f16 v41, v23, v41
	v_pk_fma_f16 v25, v25, v44, v26
	v_pk_fma_f16 v10, v23, v10, v52
	v_mul_u32_u24_sdwa v23, v11, s6 dst_sel:DWORD dst_unused:UNUSED_PAD src0_sel:WORD_0 src1_sel:DWORD
	v_mul_u32_u24_sdwa v11, v11, s6 dst_sel:DWORD dst_unused:UNUSED_PAD src0_sel:WORD_1 src1_sel:DWORD
	v_mul_u32_u24_sdwa v26, v12, s6 dst_sel:DWORD dst_unused:UNUSED_PAD src0_sel:WORD_0 src1_sel:DWORD
	v_mul_u32_u24_sdwa v12, v12, s6 dst_sel:DWORD dst_unused:UNUSED_PAD src0_sel:WORD_1 src1_sel:DWORD
	v_pk_fma_f16 v11, v24, v11, v9
	v_pk_fma_f16 v12, v24, v12, v10
	ds_read2_b32 v[9:10], v22 offset0:64 offset1:96
	v_pk_fma_f16 v27, v27, v42, v41
	v_pk_fma_f16 v23, v24, v23, v27
	;; [unrolled: 1-line block ×3, first 2 shown]
	s_waitcnt lgkmcnt(3)
	v_mul_u32_u24_sdwa v24, v28, s6 dst_sel:DWORD dst_unused:UNUSED_PAD src0_sel:WORD_0 src1_sel:DWORD
	v_mul_u32_u24_sdwa v26, v28, s6 dst_sel:DWORD dst_unused:UNUSED_PAD src0_sel:WORD_1 src1_sel:DWORD
	v_mul_u32_u24_sdwa v27, v29, s6 dst_sel:DWORD dst_unused:UNUSED_PAD src0_sel:WORD_0 src1_sel:DWORD
	v_mul_u32_u24_sdwa v28, v29, s6 dst_sel:DWORD dst_unused:UNUSED_PAD src0_sel:WORD_1 src1_sel:DWORD
	s_waitcnt lgkmcnt(0)
	v_pk_fma_f16 v23, v9, v24, v23
	v_pk_fma_f16 v11, v9, v26, v11
	;; [unrolled: 1-line block ×4, first 2 shown]
	v_mul_u32_u24_sdwa v12, v30, s6 dst_sel:DWORD dst_unused:UNUSED_PAD src0_sel:WORD_0 src1_sel:DWORD
	v_mul_u32_u24_sdwa v25, v30, s6 dst_sel:DWORD dst_unused:UNUSED_PAD src0_sel:WORD_1 src1_sel:DWORD
	v_mul_u32_u24_sdwa v26, v31, s6 dst_sel:DWORD dst_unused:UNUSED_PAD src0_sel:WORD_0 src1_sel:DWORD
	v_mul_u32_u24_sdwa v27, v31, s6 dst_sel:DWORD dst_unused:UNUSED_PAD src0_sel:WORD_1 src1_sel:DWORD
	v_pk_fma_f16 v12, v10, v12, v23
	v_pk_fma_f16 v11, v10, v25, v11
	;; [unrolled: 1-line block ×4, first 2 shown]
	ds_read2_b32 v[9:10], v22 offset0:128 offset1:160
	v_mul_u32_u24_sdwa v25, v33, s6 dst_sel:DWORD dst_unused:UNUSED_PAD src0_sel:WORD_0 src1_sel:DWORD
	v_mul_u32_u24_sdwa v26, v33, s6 dst_sel:DWORD dst_unused:UNUSED_PAD src0_sel:WORD_1 src1_sel:DWORD
	v_mul_u32_u24_sdwa v27, v34, s6 dst_sel:DWORD dst_unused:UNUSED_PAD src0_sel:WORD_0 src1_sel:DWORD
	v_mul_u32_u24_sdwa v28, v34, s6 dst_sel:DWORD dst_unused:UNUSED_PAD src0_sel:WORD_1 src1_sel:DWORD
	s_waitcnt lgkmcnt(0)
	v_pk_fma_f16 v12, v9, v25, v12
	v_pk_fma_f16 v11, v9, v26, v11
	;; [unrolled: 1-line block ×4, first 2 shown]
	v_mul_u32_u24_sdwa v24, v35, s6 dst_sel:DWORD dst_unused:UNUSED_PAD src0_sel:WORD_0 src1_sel:DWORD
	v_mul_u32_u24_sdwa v25, v35, s6 dst_sel:DWORD dst_unused:UNUSED_PAD src0_sel:WORD_1 src1_sel:DWORD
	v_mul_u32_u24_sdwa v26, v36, s6 dst_sel:DWORD dst_unused:UNUSED_PAD src0_sel:WORD_0 src1_sel:DWORD
	v_pk_fma_f16 v12, v10, v24, v12
	v_pk_fma_f16 v11, v10, v25, v11
	;; [unrolled: 1-line block ×3, first 2 shown]
	ds_read2_b32 v[23:24], v22 offset0:192 offset1:224
	v_mul_u32_u24_sdwa v27, v36, s6 dst_sel:DWORD dst_unused:UNUSED_PAD src0_sel:WORD_1 src1_sel:DWORD
	v_pk_fma_f16 v9, v10, v27, v9
	v_mul_u32_u24_sdwa v10, v37, s6 dst_sel:DWORD dst_unused:UNUSED_PAD src0_sel:WORD_0 src1_sel:DWORD
	v_mul_u32_u24_sdwa v26, v37, s6 dst_sel:DWORD dst_unused:UNUSED_PAD src0_sel:WORD_1 src1_sel:DWORD
	v_mul_u32_u24_sdwa v27, v38, s6 dst_sel:DWORD dst_unused:UNUSED_PAD src0_sel:WORD_0 src1_sel:DWORD
	v_mul_u32_u24_sdwa v28, v38, s6 dst_sel:DWORD dst_unused:UNUSED_PAD src0_sel:WORD_1 src1_sel:DWORD
	s_waitcnt lgkmcnt(0)
	v_pk_fma_f16 v10, v23, v10, v12
	v_pk_fma_f16 v11, v23, v26, v11
	;; [unrolled: 1-line block ×4, first 2 shown]
	v_mul_u32_u24_sdwa v9, v39, s6 dst_sel:DWORD dst_unused:UNUSED_PAD src0_sel:WORD_0 src1_sel:DWORD
	v_mul_u32_u24_sdwa v25, v39, s6 dst_sel:DWORD dst_unused:UNUSED_PAD src0_sel:WORD_1 src1_sel:DWORD
	v_mul_u32_u24_sdwa v26, v40, s6 dst_sel:DWORD dst_unused:UNUSED_PAD src0_sel:WORD_0 src1_sel:DWORD
	v_pk_fma_f16 v29, v24, v9, v10
	v_pk_fma_f16 v30, v24, v25, v11
	;; [unrolled: 1-line block ×3, first 2 shown]
	ds_read_b128 v[9:12], v21 offset:9280
	v_mul_u32_u24_sdwa v27, v40, s6 dst_sel:DWORD dst_unused:UNUSED_PAD src0_sel:WORD_1 src1_sel:DWORD
	v_add_u32_e32 v34, 0x400, v22
	v_pk_fma_f16 v33, v24, v27, v23
	ds_read2_b32 v[27:28], v34 offset1:32
	ds_read_b128 v[23:26], v21 offset:9296
	s_waitcnt lgkmcnt(2)
	v_mul_u32_u24_sdwa v35, v9, s6 dst_sel:DWORD dst_unused:UNUSED_PAD src0_sel:WORD_0 src1_sel:DWORD
	v_mul_u32_u24_sdwa v9, v9, s6 dst_sel:DWORD dst_unused:UNUSED_PAD src0_sel:WORD_1 src1_sel:DWORD
	v_mul_u32_u24_sdwa v36, v10, s6 dst_sel:DWORD dst_unused:UNUSED_PAD src0_sel:WORD_0 src1_sel:DWORD
	v_mul_u32_u24_sdwa v10, v10, s6 dst_sel:DWORD dst_unused:UNUSED_PAD src0_sel:WORD_1 src1_sel:DWORD
	s_waitcnt lgkmcnt(1)
	v_pk_fma_f16 v29, v27, v35, v29
	v_pk_fma_f16 v9, v27, v9, v30
	v_pk_fma_f16 v30, v27, v36, v31
	v_pk_fma_f16 v10, v27, v10, v33
	v_mul_u32_u24_sdwa v27, v11, s6 dst_sel:DWORD dst_unused:UNUSED_PAD src0_sel:WORD_0 src1_sel:DWORD
	v_mul_u32_u24_sdwa v11, v11, s6 dst_sel:DWORD dst_unused:UNUSED_PAD src0_sel:WORD_1 src1_sel:DWORD
	v_mul_u32_u24_sdwa v31, v12, s6 dst_sel:DWORD dst_unused:UNUSED_PAD src0_sel:WORD_0 src1_sel:DWORD
	v_mul_u32_u24_sdwa v12, v12, s6 dst_sel:DWORD dst_unused:UNUSED_PAD src0_sel:WORD_1 src1_sel:DWORD
	v_pk_fma_f16 v29, v28, v27, v29
	v_pk_fma_f16 v9, v28, v11, v9
	;; [unrolled: 1-line block ×4, first 2 shown]
	ds_read2_b32 v[27:28], v34 offset0:64 offset1:96
	s_waitcnt lgkmcnt(1)
	v_mul_u32_u24_sdwa v12, v23, s6 dst_sel:DWORD dst_unused:UNUSED_PAD src0_sel:WORD_0 src1_sel:DWORD
	v_mul_u32_u24_sdwa v23, v23, s6 dst_sel:DWORD dst_unused:UNUSED_PAD src0_sel:WORD_1 src1_sel:DWORD
	v_mul_u32_u24_sdwa v30, v24, s6 dst_sel:DWORD dst_unused:UNUSED_PAD src0_sel:WORD_0 src1_sel:DWORD
	v_mul_u32_u24_sdwa v24, v24, s6 dst_sel:DWORD dst_unused:UNUSED_PAD src0_sel:WORD_1 src1_sel:DWORD
	s_waitcnt lgkmcnt(0)
	v_pk_fma_f16 v12, v27, v12, v29
	v_pk_fma_f16 v9, v27, v23, v9
	;; [unrolled: 1-line block ×4, first 2 shown]
	v_mul_u32_u24_sdwa v10, v25, s6 dst_sel:DWORD dst_unused:UNUSED_PAD src0_sel:WORD_0 src1_sel:DWORD
	v_mul_u32_u24_sdwa v11, v25, s6 dst_sel:DWORD dst_unused:UNUSED_PAD src0_sel:WORD_1 src1_sel:DWORD
	v_pk_fma_f16 v29, v28, v10, v12
	v_pk_fma_f16 v30, v28, v11, v9
	ds_read_b128 v[9:12], v21 offset:9312
	v_mul_u32_u24_sdwa v25, v26, s6 dst_sel:DWORD dst_unused:UNUSED_PAD src0_sel:WORD_0 src1_sel:DWORD
	v_mul_u32_u24_sdwa v26, v26, s6 dst_sel:DWORD dst_unused:UNUSED_PAD src0_sel:WORD_1 src1_sel:DWORD
	v_pk_fma_f16 v31, v28, v25, v23
	v_pk_fma_f16 v33, v28, v26, v24
	ds_read2_b32 v[27:28], v34 offset0:128 offset1:160
	ds_read_b128 v[23:26], v21 offset:9328
	s_waitcnt lgkmcnt(2)
	v_mul_u32_u24_sdwa v35, v9, s6 dst_sel:DWORD dst_unused:UNUSED_PAD src0_sel:WORD_0 src1_sel:DWORD
	v_mul_u32_u24_sdwa v9, v9, s6 dst_sel:DWORD dst_unused:UNUSED_PAD src0_sel:WORD_1 src1_sel:DWORD
	v_mul_u32_u24_sdwa v36, v10, s6 dst_sel:DWORD dst_unused:UNUSED_PAD src0_sel:WORD_0 src1_sel:DWORD
	v_mul_u32_u24_sdwa v10, v10, s6 dst_sel:DWORD dst_unused:UNUSED_PAD src0_sel:WORD_1 src1_sel:DWORD
	s_waitcnt lgkmcnt(1)
	v_pk_fma_f16 v29, v27, v35, v29
	v_pk_fma_f16 v9, v27, v9, v30
	;; [unrolled: 1-line block ×4, first 2 shown]
	v_mul_u32_u24_sdwa v27, v11, s6 dst_sel:DWORD dst_unused:UNUSED_PAD src0_sel:WORD_0 src1_sel:DWORD
	v_mul_u32_u24_sdwa v11, v11, s6 dst_sel:DWORD dst_unused:UNUSED_PAD src0_sel:WORD_1 src1_sel:DWORD
	v_mul_u32_u24_sdwa v31, v12, s6 dst_sel:DWORD dst_unused:UNUSED_PAD src0_sel:WORD_0 src1_sel:DWORD
	v_mul_u32_u24_sdwa v12, v12, s6 dst_sel:DWORD dst_unused:UNUSED_PAD src0_sel:WORD_1 src1_sel:DWORD
	v_pk_fma_f16 v29, v28, v27, v29
	v_pk_fma_f16 v9, v28, v11, v9
	;; [unrolled: 1-line block ×4, first 2 shown]
	ds_read2_b32 v[27:28], v34 offset0:192 offset1:224
	s_waitcnt lgkmcnt(1)
	v_mul_u32_u24_sdwa v12, v23, s6 dst_sel:DWORD dst_unused:UNUSED_PAD src0_sel:WORD_0 src1_sel:DWORD
	v_mul_u32_u24_sdwa v23, v23, s6 dst_sel:DWORD dst_unused:UNUSED_PAD src0_sel:WORD_1 src1_sel:DWORD
	v_mul_u32_u24_sdwa v30, v24, s6 dst_sel:DWORD dst_unused:UNUSED_PAD src0_sel:WORD_0 src1_sel:DWORD
	v_mul_u32_u24_sdwa v24, v24, s6 dst_sel:DWORD dst_unused:UNUSED_PAD src0_sel:WORD_1 src1_sel:DWORD
	s_waitcnt lgkmcnt(0)
	v_pk_fma_f16 v12, v27, v12, v29
	v_pk_fma_f16 v9, v27, v23, v9
	;; [unrolled: 1-line block ×4, first 2 shown]
	v_mul_u32_u24_sdwa v10, v25, s6 dst_sel:DWORD dst_unused:UNUSED_PAD src0_sel:WORD_0 src1_sel:DWORD
	v_mul_u32_u24_sdwa v24, v25, s6 dst_sel:DWORD dst_unused:UNUSED_PAD src0_sel:WORD_1 src1_sel:DWORD
	v_mul_u32_u24_sdwa v25, v26, s6 dst_sel:DWORD dst_unused:UNUSED_PAD src0_sel:WORD_0 src1_sel:DWORD
	v_pk_fma_f16 v29, v28, v10, v12
	v_pk_fma_f16 v30, v28, v24, v9
	;; [unrolled: 1-line block ×3, first 2 shown]
	ds_read_b128 v[9:12], v21 offset:9344
	v_mul_u32_u24_sdwa v26, v26, s6 dst_sel:DWORD dst_unused:UNUSED_PAD src0_sel:WORD_1 src1_sel:DWORD
	v_add_u32_e32 v34, 0x800, v22
	v_pk_fma_f16 v33, v28, v26, v23
	ds_read2_b32 v[27:28], v34 offset1:32
	ds_read_b128 v[23:26], v21 offset:9360
	s_waitcnt lgkmcnt(2)
	v_mul_u32_u24_sdwa v35, v9, s6 dst_sel:DWORD dst_unused:UNUSED_PAD src0_sel:WORD_0 src1_sel:DWORD
	v_mul_u32_u24_sdwa v9, v9, s6 dst_sel:DWORD dst_unused:UNUSED_PAD src0_sel:WORD_1 src1_sel:DWORD
	v_mul_u32_u24_sdwa v36, v10, s6 dst_sel:DWORD dst_unused:UNUSED_PAD src0_sel:WORD_0 src1_sel:DWORD
	v_mul_u32_u24_sdwa v10, v10, s6 dst_sel:DWORD dst_unused:UNUSED_PAD src0_sel:WORD_1 src1_sel:DWORD
	s_waitcnt lgkmcnt(1)
	v_pk_fma_f16 v29, v27, v35, v29
	v_pk_fma_f16 v9, v27, v9, v30
	;; [unrolled: 1-line block ×4, first 2 shown]
	v_mul_u32_u24_sdwa v27, v11, s6 dst_sel:DWORD dst_unused:UNUSED_PAD src0_sel:WORD_0 src1_sel:DWORD
	v_mul_u32_u24_sdwa v11, v11, s6 dst_sel:DWORD dst_unused:UNUSED_PAD src0_sel:WORD_1 src1_sel:DWORD
	v_mul_u32_u24_sdwa v31, v12, s6 dst_sel:DWORD dst_unused:UNUSED_PAD src0_sel:WORD_0 src1_sel:DWORD
	v_mul_u32_u24_sdwa v12, v12, s6 dst_sel:DWORD dst_unused:UNUSED_PAD src0_sel:WORD_1 src1_sel:DWORD
	v_pk_fma_f16 v29, v28, v27, v29
	v_pk_fma_f16 v9, v28, v11, v9
	;; [unrolled: 1-line block ×4, first 2 shown]
	ds_read2_b32 v[27:28], v34 offset0:64 offset1:96
	s_waitcnt lgkmcnt(1)
	v_mul_u32_u24_sdwa v12, v23, s6 dst_sel:DWORD dst_unused:UNUSED_PAD src0_sel:WORD_0 src1_sel:DWORD
	v_mul_u32_u24_sdwa v23, v23, s6 dst_sel:DWORD dst_unused:UNUSED_PAD src0_sel:WORD_1 src1_sel:DWORD
	v_mul_u32_u24_sdwa v30, v24, s6 dst_sel:DWORD dst_unused:UNUSED_PAD src0_sel:WORD_0 src1_sel:DWORD
	v_mul_u32_u24_sdwa v24, v24, s6 dst_sel:DWORD dst_unused:UNUSED_PAD src0_sel:WORD_1 src1_sel:DWORD
	s_waitcnt lgkmcnt(0)
	v_pk_fma_f16 v12, v27, v12, v29
	v_pk_fma_f16 v9, v27, v23, v9
	;; [unrolled: 1-line block ×4, first 2 shown]
	v_mul_u32_u24_sdwa v10, v25, s6 dst_sel:DWORD dst_unused:UNUSED_PAD src0_sel:WORD_0 src1_sel:DWORD
	v_mul_u32_u24_sdwa v11, v25, s6 dst_sel:DWORD dst_unused:UNUSED_PAD src0_sel:WORD_1 src1_sel:DWORD
	v_pk_fma_f16 v29, v28, v10, v12
	v_pk_fma_f16 v30, v28, v11, v9
	ds_read_b128 v[9:12], v21 offset:9376
	v_mul_u32_u24_sdwa v25, v26, s6 dst_sel:DWORD dst_unused:UNUSED_PAD src0_sel:WORD_0 src1_sel:DWORD
	v_mul_u32_u24_sdwa v26, v26, s6 dst_sel:DWORD dst_unused:UNUSED_PAD src0_sel:WORD_1 src1_sel:DWORD
	v_pk_fma_f16 v31, v28, v25, v23
	v_pk_fma_f16 v33, v28, v26, v24
	ds_read2_b32 v[27:28], v34 offset0:128 offset1:160
	ds_read_b128 v[23:26], v21 offset:9392
	s_waitcnt lgkmcnt(2)
	v_mul_u32_u24_sdwa v35, v9, s6 dst_sel:DWORD dst_unused:UNUSED_PAD src0_sel:WORD_0 src1_sel:DWORD
	v_mul_u32_u24_sdwa v9, v9, s6 dst_sel:DWORD dst_unused:UNUSED_PAD src0_sel:WORD_1 src1_sel:DWORD
	v_mul_u32_u24_sdwa v36, v10, s6 dst_sel:DWORD dst_unused:UNUSED_PAD src0_sel:WORD_0 src1_sel:DWORD
	v_mul_u32_u24_sdwa v10, v10, s6 dst_sel:DWORD dst_unused:UNUSED_PAD src0_sel:WORD_1 src1_sel:DWORD
	s_waitcnt lgkmcnt(1)
	v_pk_fma_f16 v29, v27, v35, v29
	v_pk_fma_f16 v9, v27, v9, v30
	;; [unrolled: 1-line block ×4, first 2 shown]
	v_mul_u32_u24_sdwa v27, v11, s6 dst_sel:DWORD dst_unused:UNUSED_PAD src0_sel:WORD_0 src1_sel:DWORD
	v_mul_u32_u24_sdwa v11, v11, s6 dst_sel:DWORD dst_unused:UNUSED_PAD src0_sel:WORD_1 src1_sel:DWORD
	v_mul_u32_u24_sdwa v31, v12, s6 dst_sel:DWORD dst_unused:UNUSED_PAD src0_sel:WORD_0 src1_sel:DWORD
	v_mul_u32_u24_sdwa v12, v12, s6 dst_sel:DWORD dst_unused:UNUSED_PAD src0_sel:WORD_1 src1_sel:DWORD
	v_pk_fma_f16 v29, v28, v27, v29
	v_pk_fma_f16 v9, v28, v11, v9
	;; [unrolled: 1-line block ×4, first 2 shown]
	ds_read2_b32 v[27:28], v34 offset0:192 offset1:224
	s_waitcnt lgkmcnt(1)
	v_mul_u32_u24_sdwa v12, v23, s6 dst_sel:DWORD dst_unused:UNUSED_PAD src0_sel:WORD_0 src1_sel:DWORD
	v_mul_u32_u24_sdwa v23, v23, s6 dst_sel:DWORD dst_unused:UNUSED_PAD src0_sel:WORD_1 src1_sel:DWORD
	v_mul_u32_u24_sdwa v30, v24, s6 dst_sel:DWORD dst_unused:UNUSED_PAD src0_sel:WORD_0 src1_sel:DWORD
	v_mul_u32_u24_sdwa v24, v24, s6 dst_sel:DWORD dst_unused:UNUSED_PAD src0_sel:WORD_1 src1_sel:DWORD
	s_waitcnt lgkmcnt(0)
	v_pk_fma_f16 v12, v27, v12, v29
	v_pk_fma_f16 v9, v27, v23, v9
	;; [unrolled: 1-line block ×4, first 2 shown]
	v_mul_u32_u24_sdwa v10, v25, s6 dst_sel:DWORD dst_unused:UNUSED_PAD src0_sel:WORD_0 src1_sel:DWORD
	v_mul_u32_u24_sdwa v24, v25, s6 dst_sel:DWORD dst_unused:UNUSED_PAD src0_sel:WORD_1 src1_sel:DWORD
	v_mul_u32_u24_sdwa v25, v26, s6 dst_sel:DWORD dst_unused:UNUSED_PAD src0_sel:WORD_0 src1_sel:DWORD
	v_pk_fma_f16 v29, v28, v10, v12
	v_pk_fma_f16 v30, v28, v24, v9
	;; [unrolled: 1-line block ×3, first 2 shown]
	ds_read_b128 v[9:12], v21 offset:9408
	v_mul_u32_u24_sdwa v26, v26, s6 dst_sel:DWORD dst_unused:UNUSED_PAD src0_sel:WORD_1 src1_sel:DWORD
	v_add_u32_e32 v34, 0xc00, v22
	v_pk_fma_f16 v33, v28, v26, v23
	ds_read2_b32 v[27:28], v34 offset1:32
	ds_read_b128 v[23:26], v21 offset:9424
	s_waitcnt lgkmcnt(2)
	v_mul_u32_u24_sdwa v35, v9, s6 dst_sel:DWORD dst_unused:UNUSED_PAD src0_sel:WORD_0 src1_sel:DWORD
	v_mul_u32_u24_sdwa v9, v9, s6 dst_sel:DWORD dst_unused:UNUSED_PAD src0_sel:WORD_1 src1_sel:DWORD
	v_mul_u32_u24_sdwa v36, v10, s6 dst_sel:DWORD dst_unused:UNUSED_PAD src0_sel:WORD_0 src1_sel:DWORD
	v_mul_u32_u24_sdwa v10, v10, s6 dst_sel:DWORD dst_unused:UNUSED_PAD src0_sel:WORD_1 src1_sel:DWORD
	s_waitcnt lgkmcnt(1)
	v_pk_fma_f16 v29, v27, v35, v29
	v_pk_fma_f16 v9, v27, v9, v30
	;; [unrolled: 1-line block ×4, first 2 shown]
	v_mul_u32_u24_sdwa v27, v11, s6 dst_sel:DWORD dst_unused:UNUSED_PAD src0_sel:WORD_0 src1_sel:DWORD
	v_mul_u32_u24_sdwa v11, v11, s6 dst_sel:DWORD dst_unused:UNUSED_PAD src0_sel:WORD_1 src1_sel:DWORD
	v_mul_u32_u24_sdwa v31, v12, s6 dst_sel:DWORD dst_unused:UNUSED_PAD src0_sel:WORD_0 src1_sel:DWORD
	v_mul_u32_u24_sdwa v12, v12, s6 dst_sel:DWORD dst_unused:UNUSED_PAD src0_sel:WORD_1 src1_sel:DWORD
	v_pk_fma_f16 v29, v28, v27, v29
	v_pk_fma_f16 v9, v28, v11, v9
	;; [unrolled: 1-line block ×4, first 2 shown]
	ds_read2_b32 v[27:28], v34 offset0:64 offset1:96
	s_waitcnt lgkmcnt(1)
	v_mul_u32_u24_sdwa v12, v23, s6 dst_sel:DWORD dst_unused:UNUSED_PAD src0_sel:WORD_0 src1_sel:DWORD
	v_mul_u32_u24_sdwa v23, v23, s6 dst_sel:DWORD dst_unused:UNUSED_PAD src0_sel:WORD_1 src1_sel:DWORD
	v_mul_u32_u24_sdwa v30, v24, s6 dst_sel:DWORD dst_unused:UNUSED_PAD src0_sel:WORD_0 src1_sel:DWORD
	v_mul_u32_u24_sdwa v24, v24, s6 dst_sel:DWORD dst_unused:UNUSED_PAD src0_sel:WORD_1 src1_sel:DWORD
	s_waitcnt lgkmcnt(0)
	v_pk_fma_f16 v12, v27, v12, v29
	v_pk_fma_f16 v9, v27, v23, v9
	;; [unrolled: 1-line block ×4, first 2 shown]
	v_mul_u32_u24_sdwa v10, v25, s6 dst_sel:DWORD dst_unused:UNUSED_PAD src0_sel:WORD_0 src1_sel:DWORD
	v_mul_u32_u24_sdwa v11, v25, s6 dst_sel:DWORD dst_unused:UNUSED_PAD src0_sel:WORD_1 src1_sel:DWORD
	v_pk_fma_f16 v29, v28, v10, v12
	v_pk_fma_f16 v30, v28, v11, v9
	ds_read_b128 v[9:12], v21 offset:9440
	v_mul_u32_u24_sdwa v25, v26, s6 dst_sel:DWORD dst_unused:UNUSED_PAD src0_sel:WORD_0 src1_sel:DWORD
	v_mul_u32_u24_sdwa v26, v26, s6 dst_sel:DWORD dst_unused:UNUSED_PAD src0_sel:WORD_1 src1_sel:DWORD
	v_pk_fma_f16 v31, v28, v25, v23
	v_pk_fma_f16 v33, v28, v26, v24
	ds_read2_b32 v[27:28], v34 offset0:128 offset1:160
	ds_read_b128 v[23:26], v21 offset:9456
	s_waitcnt lgkmcnt(2)
	v_mul_u32_u24_sdwa v35, v9, s6 dst_sel:DWORD dst_unused:UNUSED_PAD src0_sel:WORD_0 src1_sel:DWORD
	v_mul_u32_u24_sdwa v9, v9, s6 dst_sel:DWORD dst_unused:UNUSED_PAD src0_sel:WORD_1 src1_sel:DWORD
	v_mul_u32_u24_sdwa v36, v10, s6 dst_sel:DWORD dst_unused:UNUSED_PAD src0_sel:WORD_0 src1_sel:DWORD
	v_mul_u32_u24_sdwa v10, v10, s6 dst_sel:DWORD dst_unused:UNUSED_PAD src0_sel:WORD_1 src1_sel:DWORD
	s_waitcnt lgkmcnt(1)
	v_pk_fma_f16 v29, v27, v35, v29
	v_pk_fma_f16 v9, v27, v9, v30
	;; [unrolled: 1-line block ×4, first 2 shown]
	v_mul_u32_u24_sdwa v27, v11, s6 dst_sel:DWORD dst_unused:UNUSED_PAD src0_sel:WORD_0 src1_sel:DWORD
	v_mul_u32_u24_sdwa v11, v11, s6 dst_sel:DWORD dst_unused:UNUSED_PAD src0_sel:WORD_1 src1_sel:DWORD
	v_mul_u32_u24_sdwa v31, v12, s6 dst_sel:DWORD dst_unused:UNUSED_PAD src0_sel:WORD_0 src1_sel:DWORD
	v_mul_u32_u24_sdwa v12, v12, s6 dst_sel:DWORD dst_unused:UNUSED_PAD src0_sel:WORD_1 src1_sel:DWORD
	v_pk_fma_f16 v29, v28, v27, v29
	v_pk_fma_f16 v9, v28, v11, v9
	;; [unrolled: 1-line block ×4, first 2 shown]
	ds_read2_b32 v[27:28], v34 offset0:192 offset1:224
	s_waitcnt lgkmcnt(1)
	v_mul_u32_u24_sdwa v12, v23, s6 dst_sel:DWORD dst_unused:UNUSED_PAD src0_sel:WORD_0 src1_sel:DWORD
	v_mul_u32_u24_sdwa v23, v23, s6 dst_sel:DWORD dst_unused:UNUSED_PAD src0_sel:WORD_1 src1_sel:DWORD
	v_mul_u32_u24_sdwa v30, v24, s6 dst_sel:DWORD dst_unused:UNUSED_PAD src0_sel:WORD_0 src1_sel:DWORD
	v_mul_u32_u24_sdwa v24, v24, s6 dst_sel:DWORD dst_unused:UNUSED_PAD src0_sel:WORD_1 src1_sel:DWORD
	s_waitcnt lgkmcnt(0)
	v_pk_fma_f16 v12, v27, v12, v29
	v_pk_fma_f16 v9, v27, v23, v9
	;; [unrolled: 1-line block ×4, first 2 shown]
	v_mul_u32_u24_sdwa v10, v25, s6 dst_sel:DWORD dst_unused:UNUSED_PAD src0_sel:WORD_0 src1_sel:DWORD
	v_mul_u32_u24_sdwa v24, v25, s6 dst_sel:DWORD dst_unused:UNUSED_PAD src0_sel:WORD_1 src1_sel:DWORD
	v_mul_u32_u24_sdwa v25, v26, s6 dst_sel:DWORD dst_unused:UNUSED_PAD src0_sel:WORD_0 src1_sel:DWORD
	v_pk_fma_f16 v29, v28, v10, v12
	v_pk_fma_f16 v30, v28, v24, v9
	;; [unrolled: 1-line block ×3, first 2 shown]
	ds_read_b128 v[9:12], v21 offset:9472
	v_mul_u32_u24_sdwa v26, v26, s6 dst_sel:DWORD dst_unused:UNUSED_PAD src0_sel:WORD_1 src1_sel:DWORD
	v_add_u32_e32 v34, 0x1000, v22
	v_pk_fma_f16 v33, v28, v26, v23
	ds_read2_b32 v[27:28], v34 offset1:32
	ds_read_b128 v[23:26], v21 offset:9488
	s_waitcnt lgkmcnt(2)
	v_mul_u32_u24_sdwa v35, v9, s6 dst_sel:DWORD dst_unused:UNUSED_PAD src0_sel:WORD_0 src1_sel:DWORD
	v_mul_u32_u24_sdwa v9, v9, s6 dst_sel:DWORD dst_unused:UNUSED_PAD src0_sel:WORD_1 src1_sel:DWORD
	v_mul_u32_u24_sdwa v36, v10, s6 dst_sel:DWORD dst_unused:UNUSED_PAD src0_sel:WORD_0 src1_sel:DWORD
	v_mul_u32_u24_sdwa v10, v10, s6 dst_sel:DWORD dst_unused:UNUSED_PAD src0_sel:WORD_1 src1_sel:DWORD
	s_waitcnt lgkmcnt(1)
	v_pk_fma_f16 v29, v27, v35, v29
	v_pk_fma_f16 v9, v27, v9, v30
	;; [unrolled: 1-line block ×4, first 2 shown]
	v_mul_u32_u24_sdwa v27, v11, s6 dst_sel:DWORD dst_unused:UNUSED_PAD src0_sel:WORD_0 src1_sel:DWORD
	v_mul_u32_u24_sdwa v11, v11, s6 dst_sel:DWORD dst_unused:UNUSED_PAD src0_sel:WORD_1 src1_sel:DWORD
	v_mul_u32_u24_sdwa v31, v12, s6 dst_sel:DWORD dst_unused:UNUSED_PAD src0_sel:WORD_0 src1_sel:DWORD
	v_mul_u32_u24_sdwa v12, v12, s6 dst_sel:DWORD dst_unused:UNUSED_PAD src0_sel:WORD_1 src1_sel:DWORD
	v_pk_fma_f16 v29, v28, v27, v29
	v_pk_fma_f16 v9, v28, v11, v9
	;; [unrolled: 1-line block ×4, first 2 shown]
	ds_read2_b32 v[27:28], v34 offset0:64 offset1:96
	s_waitcnt lgkmcnt(1)
	v_mul_u32_u24_sdwa v12, v23, s6 dst_sel:DWORD dst_unused:UNUSED_PAD src0_sel:WORD_0 src1_sel:DWORD
	v_mul_u32_u24_sdwa v23, v23, s6 dst_sel:DWORD dst_unused:UNUSED_PAD src0_sel:WORD_1 src1_sel:DWORD
	v_mul_u32_u24_sdwa v30, v24, s6 dst_sel:DWORD dst_unused:UNUSED_PAD src0_sel:WORD_0 src1_sel:DWORD
	v_mul_u32_u24_sdwa v24, v24, s6 dst_sel:DWORD dst_unused:UNUSED_PAD src0_sel:WORD_1 src1_sel:DWORD
	s_waitcnt lgkmcnt(0)
	v_pk_fma_f16 v12, v27, v12, v29
	v_pk_fma_f16 v9, v27, v23, v9
	;; [unrolled: 1-line block ×4, first 2 shown]
	v_mul_u32_u24_sdwa v10, v25, s6 dst_sel:DWORD dst_unused:UNUSED_PAD src0_sel:WORD_0 src1_sel:DWORD
	v_mul_u32_u24_sdwa v11, v25, s6 dst_sel:DWORD dst_unused:UNUSED_PAD src0_sel:WORD_1 src1_sel:DWORD
	v_pk_fma_f16 v29, v28, v10, v12
	v_pk_fma_f16 v30, v28, v11, v9
	ds_read_b128 v[9:12], v21 offset:9504
	v_mul_u32_u24_sdwa v25, v26, s6 dst_sel:DWORD dst_unused:UNUSED_PAD src0_sel:WORD_0 src1_sel:DWORD
	v_mul_u32_u24_sdwa v26, v26, s6 dst_sel:DWORD dst_unused:UNUSED_PAD src0_sel:WORD_1 src1_sel:DWORD
	v_pk_fma_f16 v31, v28, v25, v23
	v_pk_fma_f16 v33, v28, v26, v24
	ds_read2_b32 v[27:28], v34 offset0:128 offset1:160
	ds_read_b128 v[23:26], v21 offset:9520
	s_waitcnt lgkmcnt(2)
	v_mul_u32_u24_sdwa v35, v9, s6 dst_sel:DWORD dst_unused:UNUSED_PAD src0_sel:WORD_0 src1_sel:DWORD
	v_mul_u32_u24_sdwa v9, v9, s6 dst_sel:DWORD dst_unused:UNUSED_PAD src0_sel:WORD_1 src1_sel:DWORD
	v_mul_u32_u24_sdwa v36, v10, s6 dst_sel:DWORD dst_unused:UNUSED_PAD src0_sel:WORD_0 src1_sel:DWORD
	v_mul_u32_u24_sdwa v10, v10, s6 dst_sel:DWORD dst_unused:UNUSED_PAD src0_sel:WORD_1 src1_sel:DWORD
	s_waitcnt lgkmcnt(1)
	v_pk_fma_f16 v29, v27, v35, v29
	v_pk_fma_f16 v9, v27, v9, v30
	;; [unrolled: 1-line block ×4, first 2 shown]
	v_mul_u32_u24_sdwa v27, v11, s6 dst_sel:DWORD dst_unused:UNUSED_PAD src0_sel:WORD_0 src1_sel:DWORD
	v_mul_u32_u24_sdwa v11, v11, s6 dst_sel:DWORD dst_unused:UNUSED_PAD src0_sel:WORD_1 src1_sel:DWORD
	v_mul_u32_u24_sdwa v31, v12, s6 dst_sel:DWORD dst_unused:UNUSED_PAD src0_sel:WORD_0 src1_sel:DWORD
	v_mul_u32_u24_sdwa v12, v12, s6 dst_sel:DWORD dst_unused:UNUSED_PAD src0_sel:WORD_1 src1_sel:DWORD
	v_pk_fma_f16 v29, v28, v27, v29
	v_pk_fma_f16 v9, v28, v11, v9
	;; [unrolled: 1-line block ×4, first 2 shown]
	ds_read2_b32 v[27:28], v34 offset0:192 offset1:224
	s_waitcnt lgkmcnt(1)
	v_mul_u32_u24_sdwa v12, v23, s6 dst_sel:DWORD dst_unused:UNUSED_PAD src0_sel:WORD_0 src1_sel:DWORD
	v_mul_u32_u24_sdwa v23, v23, s6 dst_sel:DWORD dst_unused:UNUSED_PAD src0_sel:WORD_1 src1_sel:DWORD
	v_mul_u32_u24_sdwa v30, v24, s6 dst_sel:DWORD dst_unused:UNUSED_PAD src0_sel:WORD_0 src1_sel:DWORD
	v_mul_u32_u24_sdwa v24, v24, s6 dst_sel:DWORD dst_unused:UNUSED_PAD src0_sel:WORD_1 src1_sel:DWORD
	s_waitcnt lgkmcnt(0)
	v_pk_fma_f16 v12, v27, v12, v29
	v_pk_fma_f16 v9, v27, v23, v9
	;; [unrolled: 1-line block ×4, first 2 shown]
	v_mul_u32_u24_sdwa v10, v25, s6 dst_sel:DWORD dst_unused:UNUSED_PAD src0_sel:WORD_0 src1_sel:DWORD
	v_mul_u32_u24_sdwa v24, v25, s6 dst_sel:DWORD dst_unused:UNUSED_PAD src0_sel:WORD_1 src1_sel:DWORD
	v_mul_u32_u24_sdwa v25, v26, s6 dst_sel:DWORD dst_unused:UNUSED_PAD src0_sel:WORD_0 src1_sel:DWORD
	v_pk_fma_f16 v29, v28, v10, v12
	v_pk_fma_f16 v30, v28, v24, v9
	;; [unrolled: 1-line block ×3, first 2 shown]
	ds_read_b128 v[9:12], v21 offset:9536
	v_mul_u32_u24_sdwa v26, v26, s6 dst_sel:DWORD dst_unused:UNUSED_PAD src0_sel:WORD_1 src1_sel:DWORD
	v_add_u32_e32 v34, 0x1400, v22
	v_pk_fma_f16 v33, v28, v26, v23
	ds_read2_b32 v[27:28], v34 offset1:32
	ds_read_b128 v[23:26], v21 offset:9552
	s_waitcnt lgkmcnt(2)
	v_mul_u32_u24_sdwa v35, v9, s6 dst_sel:DWORD dst_unused:UNUSED_PAD src0_sel:WORD_0 src1_sel:DWORD
	v_mul_u32_u24_sdwa v9, v9, s6 dst_sel:DWORD dst_unused:UNUSED_PAD src0_sel:WORD_1 src1_sel:DWORD
	v_mul_u32_u24_sdwa v36, v10, s6 dst_sel:DWORD dst_unused:UNUSED_PAD src0_sel:WORD_0 src1_sel:DWORD
	v_mul_u32_u24_sdwa v10, v10, s6 dst_sel:DWORD dst_unused:UNUSED_PAD src0_sel:WORD_1 src1_sel:DWORD
	s_waitcnt lgkmcnt(1)
	v_pk_fma_f16 v29, v27, v35, v29
	v_pk_fma_f16 v9, v27, v9, v30
	;; [unrolled: 1-line block ×4, first 2 shown]
	v_mul_u32_u24_sdwa v27, v11, s6 dst_sel:DWORD dst_unused:UNUSED_PAD src0_sel:WORD_0 src1_sel:DWORD
	v_mul_u32_u24_sdwa v11, v11, s6 dst_sel:DWORD dst_unused:UNUSED_PAD src0_sel:WORD_1 src1_sel:DWORD
	v_mul_u32_u24_sdwa v31, v12, s6 dst_sel:DWORD dst_unused:UNUSED_PAD src0_sel:WORD_0 src1_sel:DWORD
	v_mul_u32_u24_sdwa v12, v12, s6 dst_sel:DWORD dst_unused:UNUSED_PAD src0_sel:WORD_1 src1_sel:DWORD
	v_pk_fma_f16 v29, v28, v27, v29
	v_pk_fma_f16 v9, v28, v11, v9
	;; [unrolled: 1-line block ×4, first 2 shown]
	ds_read2_b32 v[27:28], v34 offset0:64 offset1:96
	s_waitcnt lgkmcnt(1)
	v_mul_u32_u24_sdwa v12, v23, s6 dst_sel:DWORD dst_unused:UNUSED_PAD src0_sel:WORD_0 src1_sel:DWORD
	v_mul_u32_u24_sdwa v23, v23, s6 dst_sel:DWORD dst_unused:UNUSED_PAD src0_sel:WORD_1 src1_sel:DWORD
	v_mul_u32_u24_sdwa v30, v24, s6 dst_sel:DWORD dst_unused:UNUSED_PAD src0_sel:WORD_0 src1_sel:DWORD
	v_mul_u32_u24_sdwa v24, v24, s6 dst_sel:DWORD dst_unused:UNUSED_PAD src0_sel:WORD_1 src1_sel:DWORD
	s_waitcnt lgkmcnt(0)
	v_pk_fma_f16 v12, v27, v12, v29
	v_pk_fma_f16 v9, v27, v23, v9
	;; [unrolled: 1-line block ×4, first 2 shown]
	v_mul_u32_u24_sdwa v10, v25, s6 dst_sel:DWORD dst_unused:UNUSED_PAD src0_sel:WORD_0 src1_sel:DWORD
	v_mul_u32_u24_sdwa v11, v25, s6 dst_sel:DWORD dst_unused:UNUSED_PAD src0_sel:WORD_1 src1_sel:DWORD
	v_pk_fma_f16 v29, v28, v10, v12
	v_pk_fma_f16 v30, v28, v11, v9
	ds_read_b128 v[9:12], v21 offset:9568
	v_mul_u32_u24_sdwa v25, v26, s6 dst_sel:DWORD dst_unused:UNUSED_PAD src0_sel:WORD_0 src1_sel:DWORD
	v_mul_u32_u24_sdwa v26, v26, s6 dst_sel:DWORD dst_unused:UNUSED_PAD src0_sel:WORD_1 src1_sel:DWORD
	v_pk_fma_f16 v31, v28, v25, v23
	v_pk_fma_f16 v33, v28, v26, v24
	ds_read2_b32 v[27:28], v34 offset0:128 offset1:160
	ds_read_b128 v[23:26], v21 offset:9584
	s_waitcnt lgkmcnt(2)
	v_mul_u32_u24_sdwa v35, v9, s6 dst_sel:DWORD dst_unused:UNUSED_PAD src0_sel:WORD_0 src1_sel:DWORD
	v_mul_u32_u24_sdwa v9, v9, s6 dst_sel:DWORD dst_unused:UNUSED_PAD src0_sel:WORD_1 src1_sel:DWORD
	v_mul_u32_u24_sdwa v36, v10, s6 dst_sel:DWORD dst_unused:UNUSED_PAD src0_sel:WORD_0 src1_sel:DWORD
	v_mul_u32_u24_sdwa v10, v10, s6 dst_sel:DWORD dst_unused:UNUSED_PAD src0_sel:WORD_1 src1_sel:DWORD
	s_waitcnt lgkmcnt(1)
	v_pk_fma_f16 v29, v27, v35, v29
	v_pk_fma_f16 v9, v27, v9, v30
	;; [unrolled: 1-line block ×4, first 2 shown]
	v_mul_u32_u24_sdwa v27, v11, s6 dst_sel:DWORD dst_unused:UNUSED_PAD src0_sel:WORD_0 src1_sel:DWORD
	v_mul_u32_u24_sdwa v11, v11, s6 dst_sel:DWORD dst_unused:UNUSED_PAD src0_sel:WORD_1 src1_sel:DWORD
	v_mul_u32_u24_sdwa v31, v12, s6 dst_sel:DWORD dst_unused:UNUSED_PAD src0_sel:WORD_0 src1_sel:DWORD
	v_mul_u32_u24_sdwa v12, v12, s6 dst_sel:DWORD dst_unused:UNUSED_PAD src0_sel:WORD_1 src1_sel:DWORD
	v_pk_fma_f16 v29, v28, v27, v29
	v_pk_fma_f16 v9, v28, v11, v9
	v_pk_fma_f16 v11, v28, v31, v30
	v_pk_fma_f16 v10, v28, v12, v10
	ds_read2_b32 v[27:28], v34 offset0:192 offset1:224
	s_waitcnt lgkmcnt(1)
	v_mul_u32_u24_sdwa v12, v23, s6 dst_sel:DWORD dst_unused:UNUSED_PAD src0_sel:WORD_0 src1_sel:DWORD
	v_mul_u32_u24_sdwa v23, v23, s6 dst_sel:DWORD dst_unused:UNUSED_PAD src0_sel:WORD_1 src1_sel:DWORD
	v_mul_u32_u24_sdwa v30, v24, s6 dst_sel:DWORD dst_unused:UNUSED_PAD src0_sel:WORD_0 src1_sel:DWORD
	v_mul_u32_u24_sdwa v24, v24, s6 dst_sel:DWORD dst_unused:UNUSED_PAD src0_sel:WORD_1 src1_sel:DWORD
	s_waitcnt lgkmcnt(0)
	v_pk_fma_f16 v12, v27, v12, v29
	v_pk_fma_f16 v9, v27, v23, v9
	;; [unrolled: 1-line block ×4, first 2 shown]
	v_mul_u32_u24_sdwa v10, v25, s6 dst_sel:DWORD dst_unused:UNUSED_PAD src0_sel:WORD_0 src1_sel:DWORD
	v_mul_u32_u24_sdwa v24, v25, s6 dst_sel:DWORD dst_unused:UNUSED_PAD src0_sel:WORD_1 src1_sel:DWORD
	v_mul_u32_u24_sdwa v25, v26, s6 dst_sel:DWORD dst_unused:UNUSED_PAD src0_sel:WORD_0 src1_sel:DWORD
	v_pk_fma_f16 v29, v28, v10, v12
	v_pk_fma_f16 v30, v28, v24, v9
	;; [unrolled: 1-line block ×3, first 2 shown]
	ds_read_b128 v[9:12], v21 offset:9600
	v_mul_u32_u24_sdwa v26, v26, s6 dst_sel:DWORD dst_unused:UNUSED_PAD src0_sel:WORD_1 src1_sel:DWORD
	v_add_u32_e32 v34, 0x1800, v22
	v_pk_fma_f16 v33, v28, v26, v23
	ds_read2_b32 v[27:28], v34 offset1:32
	ds_read_b128 v[23:26], v21 offset:9616
	s_waitcnt lgkmcnt(2)
	v_mul_u32_u24_sdwa v35, v9, s6 dst_sel:DWORD dst_unused:UNUSED_PAD src0_sel:WORD_0 src1_sel:DWORD
	v_mul_u32_u24_sdwa v9, v9, s6 dst_sel:DWORD dst_unused:UNUSED_PAD src0_sel:WORD_1 src1_sel:DWORD
	v_mul_u32_u24_sdwa v36, v10, s6 dst_sel:DWORD dst_unused:UNUSED_PAD src0_sel:WORD_0 src1_sel:DWORD
	v_mul_u32_u24_sdwa v10, v10, s6 dst_sel:DWORD dst_unused:UNUSED_PAD src0_sel:WORD_1 src1_sel:DWORD
	s_waitcnt lgkmcnt(1)
	v_pk_fma_f16 v29, v27, v35, v29
	v_pk_fma_f16 v9, v27, v9, v30
	;; [unrolled: 1-line block ×4, first 2 shown]
	v_mul_u32_u24_sdwa v27, v11, s6 dst_sel:DWORD dst_unused:UNUSED_PAD src0_sel:WORD_0 src1_sel:DWORD
	v_mul_u32_u24_sdwa v11, v11, s6 dst_sel:DWORD dst_unused:UNUSED_PAD src0_sel:WORD_1 src1_sel:DWORD
	v_mul_u32_u24_sdwa v31, v12, s6 dst_sel:DWORD dst_unused:UNUSED_PAD src0_sel:WORD_0 src1_sel:DWORD
	v_mul_u32_u24_sdwa v12, v12, s6 dst_sel:DWORD dst_unused:UNUSED_PAD src0_sel:WORD_1 src1_sel:DWORD
	v_pk_fma_f16 v29, v28, v27, v29
	v_pk_fma_f16 v9, v28, v11, v9
	v_pk_fma_f16 v11, v28, v31, v30
	v_pk_fma_f16 v10, v28, v12, v10
	ds_read2_b32 v[27:28], v34 offset0:64 offset1:96
	s_waitcnt lgkmcnt(1)
	v_mul_u32_u24_sdwa v12, v23, s6 dst_sel:DWORD dst_unused:UNUSED_PAD src0_sel:WORD_0 src1_sel:DWORD
	v_mul_u32_u24_sdwa v23, v23, s6 dst_sel:DWORD dst_unused:UNUSED_PAD src0_sel:WORD_1 src1_sel:DWORD
	v_mul_u32_u24_sdwa v30, v24, s6 dst_sel:DWORD dst_unused:UNUSED_PAD src0_sel:WORD_0 src1_sel:DWORD
	v_mul_u32_u24_sdwa v24, v24, s6 dst_sel:DWORD dst_unused:UNUSED_PAD src0_sel:WORD_1 src1_sel:DWORD
	s_waitcnt lgkmcnt(0)
	v_pk_fma_f16 v12, v27, v12, v29
	v_pk_fma_f16 v9, v27, v23, v9
	;; [unrolled: 1-line block ×4, first 2 shown]
	v_mul_u32_u24_sdwa v10, v25, s6 dst_sel:DWORD dst_unused:UNUSED_PAD src0_sel:WORD_0 src1_sel:DWORD
	v_mul_u32_u24_sdwa v11, v25, s6 dst_sel:DWORD dst_unused:UNUSED_PAD src0_sel:WORD_1 src1_sel:DWORD
	v_pk_fma_f16 v29, v28, v10, v12
	v_pk_fma_f16 v30, v28, v11, v9
	ds_read_b128 v[9:12], v21 offset:9632
	v_mul_u32_u24_sdwa v25, v26, s6 dst_sel:DWORD dst_unused:UNUSED_PAD src0_sel:WORD_0 src1_sel:DWORD
	v_mul_u32_u24_sdwa v26, v26, s6 dst_sel:DWORD dst_unused:UNUSED_PAD src0_sel:WORD_1 src1_sel:DWORD
	v_pk_fma_f16 v31, v28, v25, v23
	v_pk_fma_f16 v33, v28, v26, v24
	ds_read2_b32 v[27:28], v34 offset0:128 offset1:160
	ds_read_b128 v[23:26], v21 offset:9648
	s_waitcnt lgkmcnt(2)
	v_mul_u32_u24_sdwa v35, v9, s6 dst_sel:DWORD dst_unused:UNUSED_PAD src0_sel:WORD_0 src1_sel:DWORD
	v_mul_u32_u24_sdwa v9, v9, s6 dst_sel:DWORD dst_unused:UNUSED_PAD src0_sel:WORD_1 src1_sel:DWORD
	v_mul_u32_u24_sdwa v36, v10, s6 dst_sel:DWORD dst_unused:UNUSED_PAD src0_sel:WORD_0 src1_sel:DWORD
	v_mul_u32_u24_sdwa v10, v10, s6 dst_sel:DWORD dst_unused:UNUSED_PAD src0_sel:WORD_1 src1_sel:DWORD
	s_waitcnt lgkmcnt(1)
	v_pk_fma_f16 v29, v27, v35, v29
	v_pk_fma_f16 v9, v27, v9, v30
	v_pk_fma_f16 v30, v27, v36, v31
	v_pk_fma_f16 v10, v27, v10, v33
	v_mul_u32_u24_sdwa v27, v11, s6 dst_sel:DWORD dst_unused:UNUSED_PAD src0_sel:WORD_0 src1_sel:DWORD
	v_mul_u32_u24_sdwa v11, v11, s6 dst_sel:DWORD dst_unused:UNUSED_PAD src0_sel:WORD_1 src1_sel:DWORD
	v_mul_u32_u24_sdwa v31, v12, s6 dst_sel:DWORD dst_unused:UNUSED_PAD src0_sel:WORD_0 src1_sel:DWORD
	v_mul_u32_u24_sdwa v12, v12, s6 dst_sel:DWORD dst_unused:UNUSED_PAD src0_sel:WORD_1 src1_sel:DWORD
	v_pk_fma_f16 v29, v28, v27, v29
	v_pk_fma_f16 v9, v28, v11, v9
	;; [unrolled: 1-line block ×4, first 2 shown]
	ds_read2_b32 v[27:28], v34 offset0:192 offset1:224
	s_waitcnt lgkmcnt(1)
	v_mul_u32_u24_sdwa v12, v23, s6 dst_sel:DWORD dst_unused:UNUSED_PAD src0_sel:WORD_0 src1_sel:DWORD
	v_mul_u32_u24_sdwa v23, v23, s6 dst_sel:DWORD dst_unused:UNUSED_PAD src0_sel:WORD_1 src1_sel:DWORD
	v_mul_u32_u24_sdwa v30, v24, s6 dst_sel:DWORD dst_unused:UNUSED_PAD src0_sel:WORD_0 src1_sel:DWORD
	v_mul_u32_u24_sdwa v24, v24, s6 dst_sel:DWORD dst_unused:UNUSED_PAD src0_sel:WORD_1 src1_sel:DWORD
	s_waitcnt lgkmcnt(0)
	v_pk_fma_f16 v12, v27, v12, v29
	v_pk_fma_f16 v9, v27, v23, v9
	;; [unrolled: 1-line block ×4, first 2 shown]
	v_mul_u32_u24_sdwa v10, v25, s6 dst_sel:DWORD dst_unused:UNUSED_PAD src0_sel:WORD_0 src1_sel:DWORD
	v_mul_u32_u24_sdwa v24, v25, s6 dst_sel:DWORD dst_unused:UNUSED_PAD src0_sel:WORD_1 src1_sel:DWORD
	v_mul_u32_u24_sdwa v25, v26, s6 dst_sel:DWORD dst_unused:UNUSED_PAD src0_sel:WORD_0 src1_sel:DWORD
	v_pk_fma_f16 v29, v28, v10, v12
	v_pk_fma_f16 v30, v28, v24, v9
	;; [unrolled: 1-line block ×3, first 2 shown]
	ds_read_b128 v[9:12], v21 offset:9664
	v_mul_u32_u24_sdwa v26, v26, s6 dst_sel:DWORD dst_unused:UNUSED_PAD src0_sel:WORD_1 src1_sel:DWORD
	v_add_u32_e32 v33, 0x1c00, v22
	v_pk_fma_f16 v28, v28, v26, v23
	ds_read2_b32 v[26:27], v33 offset1:32
	ds_read_b128 v[22:25], v21 offset:9680
	s_waitcnt lgkmcnt(2)
	v_mul_u32_u24_sdwa v34, v9, s6 dst_sel:DWORD dst_unused:UNUSED_PAD src0_sel:WORD_0 src1_sel:DWORD
	v_mul_u32_u24_sdwa v9, v9, s6 dst_sel:DWORD dst_unused:UNUSED_PAD src0_sel:WORD_1 src1_sel:DWORD
	v_mul_u32_u24_sdwa v35, v10, s6 dst_sel:DWORD dst_unused:UNUSED_PAD src0_sel:WORD_0 src1_sel:DWORD
	v_mul_u32_u24_sdwa v10, v10, s6 dst_sel:DWORD dst_unused:UNUSED_PAD src0_sel:WORD_1 src1_sel:DWORD
	s_waitcnt lgkmcnt(1)
	v_pk_fma_f16 v29, v26, v34, v29
	v_pk_fma_f16 v9, v26, v9, v30
	;; [unrolled: 1-line block ×4, first 2 shown]
	v_mul_u32_u24_sdwa v26, v11, s6 dst_sel:DWORD dst_unused:UNUSED_PAD src0_sel:WORD_0 src1_sel:DWORD
	v_mul_u32_u24_sdwa v11, v11, s6 dst_sel:DWORD dst_unused:UNUSED_PAD src0_sel:WORD_1 src1_sel:DWORD
	v_mul_u32_u24_sdwa v28, v12, s6 dst_sel:DWORD dst_unused:UNUSED_PAD src0_sel:WORD_0 src1_sel:DWORD
	v_mul_u32_u24_sdwa v12, v12, s6 dst_sel:DWORD dst_unused:UNUSED_PAD src0_sel:WORD_1 src1_sel:DWORD
	v_pk_fma_f16 v29, v27, v26, v29
	v_pk_fma_f16 v9, v27, v11, v9
	;; [unrolled: 1-line block ×4, first 2 shown]
	ds_read2_b32 v[26:27], v33 offset0:64 offset1:96
	s_waitcnt lgkmcnt(1)
	v_mul_u32_u24_sdwa v12, v22, s6 dst_sel:DWORD dst_unused:UNUSED_PAD src0_sel:WORD_0 src1_sel:DWORD
	v_mul_u32_u24_sdwa v22, v22, s6 dst_sel:DWORD dst_unused:UNUSED_PAD src0_sel:WORD_1 src1_sel:DWORD
	v_mul_u32_u24_sdwa v28, v23, s6 dst_sel:DWORD dst_unused:UNUSED_PAD src0_sel:WORD_0 src1_sel:DWORD
	v_mul_u32_u24_sdwa v23, v23, s6 dst_sel:DWORD dst_unused:UNUSED_PAD src0_sel:WORD_1 src1_sel:DWORD
	s_waitcnt lgkmcnt(0)
	v_pk_fma_f16 v12, v26, v12, v29
	v_pk_fma_f16 v9, v26, v22, v9
	;; [unrolled: 1-line block ×4, first 2 shown]
	v_mul_u32_u24_sdwa v10, v24, s6 dst_sel:DWORD dst_unused:UNUSED_PAD src0_sel:WORD_0 src1_sel:DWORD
	v_mul_u32_u24_sdwa v11, v24, s6 dst_sel:DWORD dst_unused:UNUSED_PAD src0_sel:WORD_1 src1_sel:DWORD
	v_pk_fma_f16 v28, v27, v10, v12
	v_pk_fma_f16 v29, v27, v11, v9
	ds_read_b128 v[9:12], v21 offset:9696
	v_mul_u32_u24_sdwa v24, v25, s6 dst_sel:DWORD dst_unused:UNUSED_PAD src0_sel:WORD_0 src1_sel:DWORD
	v_mul_u32_u24_sdwa v25, v25, s6 dst_sel:DWORD dst_unused:UNUSED_PAD src0_sel:WORD_1 src1_sel:DWORD
	v_pk_fma_f16 v30, v27, v24, v22
	v_pk_fma_f16 v27, v27, v25, v23
	ds_read2_b32 v[25:26], v33 offset0:128 offset1:160
	ds_read_b128 v[21:24], v21 offset:9712
	s_waitcnt lgkmcnt(2)
	v_mul_u32_u24_sdwa v31, v9, s6 dst_sel:DWORD dst_unused:UNUSED_PAD src0_sel:WORD_0 src1_sel:DWORD
	v_mul_u32_u24_sdwa v9, v9, s6 dst_sel:DWORD dst_unused:UNUSED_PAD src0_sel:WORD_1 src1_sel:DWORD
	v_mul_u32_u24_sdwa v34, v10, s6 dst_sel:DWORD dst_unused:UNUSED_PAD src0_sel:WORD_0 src1_sel:DWORD
	v_mul_u32_u24_sdwa v10, v10, s6 dst_sel:DWORD dst_unused:UNUSED_PAD src0_sel:WORD_1 src1_sel:DWORD
	s_waitcnt lgkmcnt(1)
	v_pk_fma_f16 v28, v25, v31, v28
	v_pk_fma_f16 v9, v25, v9, v29
	;; [unrolled: 1-line block ×4, first 2 shown]
	v_mul_u32_u24_sdwa v25, v11, s6 dst_sel:DWORD dst_unused:UNUSED_PAD src0_sel:WORD_0 src1_sel:DWORD
	v_mul_u32_u24_sdwa v11, v11, s6 dst_sel:DWORD dst_unused:UNUSED_PAD src0_sel:WORD_1 src1_sel:DWORD
	v_mul_u32_u24_sdwa v27, v12, s6 dst_sel:DWORD dst_unused:UNUSED_PAD src0_sel:WORD_0 src1_sel:DWORD
	v_mul_u32_u24_sdwa v12, v12, s6 dst_sel:DWORD dst_unused:UNUSED_PAD src0_sel:WORD_1 src1_sel:DWORD
	v_pk_fma_f16 v11, v26, v11, v9
	v_pk_fma_f16 v12, v26, v12, v10
	ds_read2_b32 v[9:10], v33 offset0:192 offset1:224
	v_pk_fma_f16 v25, v26, v25, v28
	v_pk_fma_f16 v27, v26, v27, v29
	s_waitcnt lgkmcnt(1)
	v_mul_u32_u24_sdwa v26, v21, s6 dst_sel:DWORD dst_unused:UNUSED_PAD src0_sel:WORD_0 src1_sel:DWORD
	v_mul_u32_u24_sdwa v21, v21, s6 dst_sel:DWORD dst_unused:UNUSED_PAD src0_sel:WORD_1 src1_sel:DWORD
	v_mul_u32_u24_sdwa v28, v22, s6 dst_sel:DWORD dst_unused:UNUSED_PAD src0_sel:WORD_0 src1_sel:DWORD
	v_mul_u32_u24_sdwa v22, v22, s6 dst_sel:DWORD dst_unused:UNUSED_PAD src0_sel:WORD_1 src1_sel:DWORD
	s_waitcnt lgkmcnt(0)
	v_pk_fma_f16 v25, v9, v26, v25
	v_pk_fma_f16 v11, v9, v21, v11
	v_pk_fma_f16 v21, v9, v28, v27
	v_pk_fma_f16 v9, v9, v22, v12
	v_mul_u32_u24_sdwa v12, v23, s6 dst_sel:DWORD dst_unused:UNUSED_PAD src0_sel:WORD_0 src1_sel:DWORD
	v_mul_u32_u24_sdwa v22, v23, s6 dst_sel:DWORD dst_unused:UNUSED_PAD src0_sel:WORD_1 src1_sel:DWORD
	v_mul_u32_u24_sdwa v23, v24, s6 dst_sel:DWORD dst_unused:UNUSED_PAD src0_sel:WORD_0 src1_sel:DWORD
	v_mul_u32_u24_sdwa v24, v24, s6 dst_sel:DWORD dst_unused:UNUSED_PAD src0_sel:WORD_1 src1_sel:DWORD
	v_mov_b32_e32 v36, v4
	v_mov_b32_e32 v37, v3
	;; [unrolled: 1-line block ×5, first 2 shown]
	v_pk_fma_f16 v27, v10, v12, v25
	v_pk_fma_f16 v26, v10, v22, v11
	;; [unrolled: 1-line block ×4, first 2 shown]
	v_mov_b32_e32 v2, v6
	v_mov_b32_e32 v3, v7
	;; [unrolled: 1-line block ×3, first 2 shown]
	s_barrier
.LBB56_71:
	v_cmp_lt_i32_e32 vcc, v48, v46
	v_cndmask_b32_e32 v5, v45, v48, vcc
	v_lshlrev_b32_e32 v5, 2, v5
	ds_bpermute_b32 v6, v5, v35
	ds_bpermute_b32 v12, v5, v34
	ds_bpermute_b32 v21, v5, v37
	ds_bpermute_b32 v5, v5, v36
	v_cmp_lt_i32_e32 vcc, v47, v46
	v_cndmask_b32_e32 v7, v45, v47, vcc
	v_lshlrev_b32_e32 v7, 2, v7
	s_waitcnt lgkmcnt(3)
	v_add_f32_e32 v6, v35, v6
	s_waitcnt lgkmcnt(2)
	v_add_f32_e32 v12, v34, v12
	s_waitcnt lgkmcnt(1)
	v_add_f32_e32 v21, v37, v21
	s_waitcnt lgkmcnt(0)
	v_add_f32_e32 v5, v36, v5
	ds_bpermute_b32 v8, v7, v6
	ds_bpermute_b32 v22, v7, v12
	ds_bpermute_b32 v24, v7, v21
	ds_bpermute_b32 v7, v7, v5
	v_cmp_lt_i32_e32 vcc, v49, v46
	v_cndmask_b32_e32 v9, v45, v49, vcc
	v_lshlrev_b32_e32 v9, 2, v9
	s_waitcnt lgkmcnt(3)
	v_add_f32_e32 v6, v6, v8
	s_waitcnt lgkmcnt(2)
	v_add_f32_e32 v12, v12, v22
	s_waitcnt lgkmcnt(1)
	v_add_f32_e32 v21, v21, v24
	s_waitcnt lgkmcnt(0)
	v_add_f32_e32 v5, v5, v7
	;; [unrolled: 15-line block ×4, first 2 shown]
	ds_bpermute_b32 v8, v11, v6
	ds_bpermute_b32 v10, v11, v9
	;; [unrolled: 1-line block ×4, first 2 shown]
	s_cmp_eq_u64 s[20:21], 0
	s_cselect_b64 s[6:7], -1, 0
	s_cmp_lg_u32 s9, 0
	s_cselect_b64 s[10:11], -1, 0
	s_or_b64 s[6:7], s[10:11], s[6:7]
	s_waitcnt lgkmcnt(3)
	v_add_f32_e32 v5, v6, v8
	s_waitcnt lgkmcnt(2)
	v_add_f32_e32 v6, v9, v10
	;; [unrolled: 2-line block ×4, first 2 shown]
	s_and_b64 vcc, exec, s[6:7]
	s_cbranch_vccnz .LBB56_74
; %bb.72:
	s_lshl_b64 s[6:7], s[34:35], 2
	s_add_u32 s6, s20, s6
	s_addc_u32 s7, s21, s7
	v_mov_b32_e32 v9, 0
	global_load_dword v12, v9, s[6:7]
	v_max_f32_e32 v9, v1, v1
	v_max_f32_e32 v10, v2, v2
	s_mov_b32 s8, 0x3fb8aa3b
	v_max_f32_e32 v11, v3, v3
	s_mov_b32 s7, 0xc2ce8ed0
	s_mov_b32 s6, 0x42b17218
	v_mov_b32_e32 v21, 0x7f800000
	s_waitcnt vmcnt(0)
	v_max_f32_e32 v22, v12, v12
	v_max_f32_e32 v28, v9, v22
	v_sub_f32_e32 v1, v1, v28
	v_max_f32_e32 v29, v10, v22
	v_sub_f32_e32 v9, v12, v28
	v_mul_f32_e32 v24, 0x3fb8aa3b, v1
	v_sub_f32_e32 v2, v2, v29
	v_mul_f32_e32 v31, 0x3fb8aa3b, v9
	v_fma_f32 v37, v1, s8, -v24
	v_rndne_f32_e32 v38, v24
	v_max_f32_e32 v30, v11, v22
	v_sub_f32_e32 v10, v12, v29
	v_mul_f32_e32 v33, 0x3fb8aa3b, v2
	v_fma_f32 v39, v9, s8, -v31
	v_rndne_f32_e32 v40, v31
	v_fmac_f32_e32 v37, 0x32a5705f, v1
	v_sub_f32_e32 v24, v24, v38
	v_sub_f32_e32 v3, v3, v30
	v_mul_f32_e32 v34, 0x3fb8aa3b, v10
	v_fma_f32 v41, v2, s8, -v33
	v_rndne_f32_e32 v42, v33
	v_fmac_f32_e32 v39, 0x32a5705f, v9
	v_sub_f32_e32 v31, v31, v40
	v_add_f32_e32 v24, v24, v37
	v_mul_f32_e32 v35, 0x3fb8aa3b, v3
	v_fma_f32 v43, v10, s8, -v34
	v_rndne_f32_e32 v44, v34
	v_cvt_i32_f32_e32 v38, v38
	v_fmac_f32_e32 v41, 0x32a5705f, v2
	v_sub_f32_e32 v33, v33, v42
	v_add_f32_e32 v31, v31, v39
	v_exp_f32_e32 v24, v24
	v_fma_f32 v45, v3, s8, -v35
	v_rndne_f32_e32 v46, v35
	v_cvt_i32_f32_e32 v40, v40
	v_fmac_f32_e32 v43, 0x32a5705f, v10
	v_sub_f32_e32 v34, v34, v44
	v_add_f32_e32 v33, v33, v41
	v_exp_f32_e32 v31, v31
	v_cvt_i32_f32_e32 v42, v42
	v_fmac_f32_e32 v45, 0x32a5705f, v3
	v_sub_f32_e32 v35, v35, v46
	v_add_f32_e32 v34, v34, v43
	v_exp_f32_e32 v33, v33
	v_cvt_i32_f32_e32 v44, v44
	v_add_f32_e32 v35, v35, v45
	v_exp_f32_e32 v34, v34
	v_cvt_i32_f32_e32 v46, v46
	v_exp_f32_e32 v35, v35
	v_ldexp_f32 v24, v24, v38
	v_cmp_ngt_f32_e32 vcc, s7, v1
	v_ldexp_f32 v31, v31, v40
	v_cndmask_b32_e32 v24, 0, v24, vcc
	v_cmp_ngt_f32_e32 vcc, s7, v9
	v_ldexp_f32 v33, v33, v42
	v_cndmask_b32_e32 v31, 0, v31, vcc
	;; [unrolled: 3-line block ×4, first 2 shown]
	v_cmp_ngt_f32_e32 vcc, s7, v3
	v_cndmask_b32_e32 v35, 0, v35, vcc
	v_cmp_nlt_f32_e32 vcc, s6, v1
	v_cndmask_b32_e32 v1, v21, v24, vcc
	v_cmp_nlt_f32_e32 vcc, s6, v9
	;; [unrolled: 2-line block ×3, first 2 shown]
	v_cndmask_b32_e32 v2, v21, v33, vcc
	v_sub_f32_e32 v11, v12, v30
	v_cvt_f16_f32_e32 v31, v2
	v_mul_f32_e32 v36, 0x3fb8aa3b, v11
	v_fma_f32 v47, v11, s8, -v36
	v_rndne_f32_e32 v48, v36
	v_cmp_nlt_f32_e32 vcc, s6, v10
	v_fmac_f32_e32 v47, 0x32a5705f, v11
	v_sub_f32_e32 v36, v36, v48
	v_cndmask_b32_e32 v10, v21, v34, vcc
	v_add_f32_e32 v36, v36, v47
	v_cvt_f16_f32_e32 v24, v1
	v_fmac_f32_e32 v10, v6, v2
	v_mul_u32_u24_e32 v2, 0x10001, v31
	v_cvt_i32_f32_e32 v48, v48
	v_exp_f32_e32 v36, v36
	v_pk_mul_f16 v26, v26, v2
	v_max_f32_e32 v2, v4, v4
	v_max_f32_e32 v31, v2, v22
	v_sub_f32_e32 v2, v4, v31
	v_cmp_nlt_f32_e32 vcc, s6, v3
	v_fmac_f32_e32 v9, v5, v1
	v_mul_u32_u24_e32 v1, 0x10001, v24
	v_mul_f32_e32 v4, 0x3fb8aa3b, v2
	v_cndmask_b32_e32 v3, v21, v35, vcc
	v_pk_mul_f16 v27, v27, v1
	v_ldexp_f32 v1, v36, v48
	v_cmp_ngt_f32_e32 vcc, s7, v11
	v_fma_f32 v5, v2, s8, -v4
	v_rndne_f32_e32 v6, v4
	v_cndmask_b32_e32 v1, 0, v1, vcc
	v_cmp_nlt_f32_e32 vcc, s6, v11
	v_fmac_f32_e32 v5, 0x32a5705f, v2
	v_sub_f32_e32 v4, v4, v6
	v_cndmask_b32_e32 v11, v21, v1, vcc
	v_cvt_f16_f32_e32 v1, v3
	v_add_f32_e32 v4, v4, v5
	v_exp_f32_e32 v4, v4
	v_cvt_i32_f32_e32 v5, v6
	v_fmac_f32_e32 v11, v7, v3
	v_mul_u32_u24_e32 v1, 0x10001, v1
	v_sub_f32_e32 v3, v12, v31
	v_pk_mul_f16 v25, v25, v1
	v_ldexp_f32 v1, v4, v5
	v_mul_f32_e32 v4, 0x3fb8aa3b, v3
	v_fma_f32 v5, v3, s8, -v4
	v_rndne_f32_e32 v6, v4
	v_fmac_f32_e32 v5, 0x32a5705f, v3
	v_sub_f32_e32 v4, v4, v6
	v_add_f32_e32 v4, v4, v5
	v_exp_f32_e32 v4, v4
	v_cvt_i32_f32_e32 v5, v6
	v_cmp_ngt_f32_e32 vcc, s7, v2
	v_cndmask_b32_e32 v1, 0, v1, vcc
	v_cmp_nlt_f32_e32 vcc, s6, v2
	v_cndmask_b32_e32 v1, v21, v1, vcc
	v_ldexp_f32 v2, v4, v5
	v_cvt_f16_f32_e32 v4, v1
	v_cmp_ngt_f32_e32 vcc, s7, v3
	v_cndmask_b32_e32 v2, 0, v2, vcc
	v_cmp_nlt_f32_e32 vcc, s6, v3
	v_cndmask_b32_e32 v12, v21, v2, vcc
	v_fmac_f32_e32 v12, v8, v1
	v_mul_u32_u24_e32 v1, 0x10001, v4
	v_pk_mul_f16 v23, v23, v1
	v_mov_b32_e32 v5, v9
	v_mov_b32_e32 v1, v28
	;; [unrolled: 1-line block ×8, first 2 shown]
	v_cmp_gt_i32_e32 vcc, s30, v14
	s_and_saveexec_b64 s[6:7], vcc
	s_cbranch_execnz .LBB56_75
.LBB56_73:
	s_endpgm
.LBB56_74:
	v_mov_b32_e32 v9, v5
	v_mov_b32_e32 v10, v6
	;; [unrolled: 1-line block ×4, first 2 shown]
	v_cmp_gt_i32_e32 vcc, s30, v14
	s_and_saveexec_b64 s[6:7], vcc
	s_cbranch_execz .LBB56_73
.LBB56_75:
	s_load_dword s8, s[4:5], 0xd4
	v_mov_b32_e32 v14, 1.0
	s_waitcnt lgkmcnt(0)
	s_cmp_lg_u32 s8, 1
	s_cselect_b64 s[6:7], -1, 0
	s_cmp_eq_u32 s8, 1
	s_cselect_b64 s[10:11], -1, 0
	s_and_b64 vcc, exec, s[6:7]
	s_cbranch_vccnz .LBB56_77
; %bb.76:
	v_div_scale_f32 v14, s[4:5], v9, v9, 1.0
	v_div_scale_f32 v21, vcc, 1.0, v9, 1.0
	v_rcp_f32_e32 v22, v14
	v_fma_f32 v24, -v14, v22, 1.0
	v_fmac_f32_e32 v22, v24, v22
	v_mul_f32_e32 v24, v21, v22
	v_fma_f32 v28, -v14, v24, v21
	v_fmac_f32_e32 v24, v28, v22
	v_fma_f32 v14, -v14, v24, v21
	v_div_fmas_f32 v14, v14, v22, v24
	v_div_fixup_f32 v14, v14, v9, 1.0
.LBB56_77:
	s_mul_i32 s12, s33, s30
	s_add_i32 s12, s12, s37
	v_add_u32_e32 v9, s12, v13
	v_mul_lo_u32 v9, v9, s31
	v_cvt_f32_f16_sdwa v13, v27 dst_sel:DWORD dst_unused:UNUSED_PAD src0_sel:WORD_1
	v_cmp_eq_u32_e32 vcc, 0, v0
	v_cvt_f32_f16_e32 v0, v27
	v_add_u32_e32 v9, s34, v9
	v_mul_lo_u32 v9, s8, v9
	v_mul_f32_e32 v28, v14, v13
	v_mov_b32_e32 v22, 0
	v_mul_f32_e32 v27, v14, v0
	v_add_u32_e32 v13, s9, v9
	v_lshl_add_u32 v21, v13, 6, v32
	v_lshlrev_b64 v[21:22], 2, v[21:22]
	v_mov_b32_e32 v0, s25
	v_add_co_u32_e64 v21, s[4:5], s24, v21
	v_addc_co_u32_e64 v22, s[4:5], v0, v22, s[4:5]
	s_and_b64 s[6:7], vcc, s[6:7]
	global_store_dwordx2 v[21:22], v[27:28], off
	s_and_saveexec_b64 s[4:5], s[6:7]
	s_cbranch_execz .LBB56_79
; %bb.78:
	v_ashrrev_i32_e32 v14, 31, v13
	v_lshlrev_b64 v[13:14], 3, v[13:14]
	v_mov_b32_e32 v0, s27
	v_add_co_u32_e32 v13, vcc, s26, v13
	v_addc_co_u32_e32 v14, vcc, v0, v14, vcc
	v_mov_b32_e32 v0, v1
	v_mov_b32_e32 v1, v5
	global_store_dwordx2 v[13:14], v[0:1], off
.LBB56_79:
	s_or_b64 exec, exec, s[4:5]
	v_cmp_gt_i32_e32 vcc, s30, v20
	s_and_b64 exec, exec, vcc
	s_cbranch_execz .LBB56_73
; %bb.80:
	v_cndmask_b32_e64 v0, 0, 1, s[10:11]
	v_cmp_ne_u32_e64 s[4:5], 1, v0
	s_andn2_b64 vcc, exec, s[10:11]
	v_mov_b32_e32 v0, 1.0
	s_cbranch_vccnz .LBB56_82
; %bb.81:
	v_div_scale_f32 v0, s[10:11], v10, v10, 1.0
	v_div_scale_f32 v1, vcc, 1.0, v10, 1.0
	v_rcp_f32_e32 v5, v0
	v_fma_f32 v9, -v0, v5, 1.0
	v_fmac_f32_e32 v5, v9, v5
	v_mul_f32_e32 v9, v1, v5
	v_fma_f32 v13, -v0, v9, v1
	v_fmac_f32_e32 v9, v13, v5
	v_fma_f32 v0, -v0, v9, v1
	v_div_fmas_f32 v0, v0, v5, v9
	v_div_fixup_f32 v0, v0, v10, 1.0
.LBB56_82:
	v_add_u32_e32 v1, s12, v19
	v_mul_lo_u32 v1, v1, s31
	v_cvt_f32_f16_e32 v5, v26
	v_cvt_f32_f16_sdwa v9, v26 dst_sel:DWORD dst_unused:UNUSED_PAD src0_sel:WORD_1
	v_mov_b32_e32 v10, 0
	v_add_u32_e32 v1, s34, v1
	v_mul_lo_u32 v1, s8, v1
	v_mul_f32_e32 v13, v0, v5
	v_mul_f32_e32 v14, v0, v9
	v_mov_b32_e32 v19, s25
	v_add_u32_e32 v0, s9, v1
	v_lshl_add_u32 v9, v0, 6, v32
	v_lshlrev_b64 v[9:10], 2, v[9:10]
	v_add_co_u32_e32 v9, vcc, s24, v9
	v_addc_co_u32_e32 v10, vcc, v19, v10, vcc
	global_store_dwordx2 v[9:10], v[13:14], off
	s_and_saveexec_b64 s[10:11], s[6:7]
	s_cbranch_execz .LBB56_84
; %bb.83:
	v_ashrrev_i32_e32 v1, 31, v0
	v_lshlrev_b64 v[0:1], 3, v[0:1]
	v_mov_b32_e32 v5, s27
	v_add_co_u32_e32 v0, vcc, s26, v0
	v_addc_co_u32_e32 v1, vcc, v5, v1, vcc
	v_mov_b32_e32 v5, v2
	global_store_dwordx2 v[0:1], v[5:6], off
.LBB56_84:
	s_or_b64 exec, exec, s[10:11]
	v_cmp_gt_i32_e32 vcc, s30, v18
	s_and_b64 exec, exec, vcc
	s_cbranch_execz .LBB56_73
; %bb.85:
	s_and_b64 vcc, exec, s[4:5]
	v_mov_b32_e32 v0, 1.0
	s_cbranch_vccnz .LBB56_87
; %bb.86:
	v_div_scale_f32 v0, s[10:11], v11, v11, 1.0
	v_div_scale_f32 v1, vcc, 1.0, v11, 1.0
	v_rcp_f32_e32 v2, v0
	v_fma_f32 v5, -v0, v2, 1.0
	v_fmac_f32_e32 v2, v5, v2
	v_mul_f32_e32 v5, v1, v2
	v_fma_f32 v6, -v0, v5, v1
	v_fmac_f32_e32 v5, v6, v2
	v_fma_f32 v0, -v0, v5, v1
	v_div_fmas_f32 v0, v0, v2, v5
	v_div_fixup_f32 v0, v0, v11, 1.0
.LBB56_87:
	v_add_u32_e32 v1, s12, v17
	v_mul_lo_u32 v1, v1, s31
	v_cvt_f32_f16_e32 v5, v25
	v_cvt_f32_f16_sdwa v6, v25 dst_sel:DWORD dst_unused:UNUSED_PAD src0_sel:WORD_1
	v_mov_b32_e32 v2, 0
	v_add_u32_e32 v1, s34, v1
	v_mul_lo_u32 v1, s8, v1
	v_mul_f32_e32 v5, v0, v5
	v_mul_f32_e32 v6, v0, v6
	v_mov_b32_e32 v9, s25
	v_add_u32_e32 v0, s9, v1
	v_lshl_add_u32 v1, v0, 6, v32
	v_lshlrev_b64 v[1:2], 2, v[1:2]
	v_add_co_u32_e32 v1, vcc, s24, v1
	v_addc_co_u32_e32 v2, vcc, v9, v2, vcc
	global_store_dwordx2 v[1:2], v[5:6], off
	s_and_saveexec_b64 s[10:11], s[6:7]
	s_cbranch_execz .LBB56_89
; %bb.88:
	v_ashrrev_i32_e32 v1, 31, v0
	v_lshlrev_b64 v[0:1], 3, v[0:1]
	v_mov_b32_e32 v2, s27
	v_add_co_u32_e32 v0, vcc, s26, v0
	v_addc_co_u32_e32 v1, vcc, v2, v1, vcc
	v_mov_b32_e32 v6, v3
	global_store_dwordx2 v[0:1], v[6:7], off
.LBB56_89:
	s_or_b64 exec, exec, s[10:11]
	v_cmp_gt_i32_e32 vcc, s30, v16
	s_and_b64 exec, exec, vcc
	s_cbranch_execz .LBB56_73
; %bb.90:
	s_and_b64 vcc, exec, s[4:5]
	v_mov_b32_e32 v0, 1.0
	s_cbranch_vccnz .LBB56_92
; %bb.91:
	v_div_scale_f32 v0, s[4:5], v12, v12, 1.0
	v_div_scale_f32 v1, vcc, 1.0, v12, 1.0
	v_rcp_f32_e32 v2, v0
	v_fma_f32 v3, -v0, v2, 1.0
	v_fmac_f32_e32 v2, v3, v2
	v_mul_f32_e32 v3, v1, v2
	v_fma_f32 v5, -v0, v3, v1
	v_fmac_f32_e32 v3, v5, v2
	v_fma_f32 v0, -v0, v3, v1
	v_div_fmas_f32 v0, v0, v2, v3
	v_div_fixup_f32 v0, v0, v12, 1.0
.LBB56_92:
	v_add_u32_e32 v1, s12, v15
	v_mul_lo_u32 v1, v1, s31
	v_cvt_f32_f16_e32 v3, v23
	v_cvt_f32_f16_sdwa v6, v23 dst_sel:DWORD dst_unused:UNUSED_PAD src0_sel:WORD_1
	v_mov_b32_e32 v2, 0
	v_add_u32_e32 v1, s34, v1
	v_mul_lo_u32 v1, s8, v1
	v_mul_f32_e32 v5, v0, v3
	v_mul_f32_e32 v6, v0, v6
	v_mov_b32_e32 v7, s25
	v_add_u32_e32 v0, s9, v1
	v_lshl_add_u32 v1, v0, 6, v32
	v_lshlrev_b64 v[1:2], 2, v[1:2]
	v_add_co_u32_e32 v1, vcc, s24, v1
	v_addc_co_u32_e32 v2, vcc, v7, v2, vcc
	global_store_dwordx2 v[1:2], v[5:6], off
	s_and_b64 exec, exec, s[6:7]
	s_cbranch_execz .LBB56_73
; %bb.93:
	v_ashrrev_i32_e32 v1, 31, v0
	v_lshlrev_b64 v[0:1], 3, v[0:1]
	v_mov_b32_e32 v2, s27
	v_add_co_u32_e32 v0, vcc, s26, v0
	v_addc_co_u32_e32 v1, vcc, v2, v1, vcc
	v_mov_b32_e32 v7, v4
	global_store_dwordx2 v[0:1], v[7:8], off
	s_endpgm
	.section	.rodata,"a",@progbits
	.p2align	6, 0x0
	.amdhsa_kernel _ZL15flash_attn_tileILi64ELi64ELi32ELi1ELb0EEvPKcS1_S1_S1_S1_PKiPfP15HIP_vector_typeIfLj2EEffffjfiS5_IjLj3EEiiiiiiiiiiiliiliiiiil
		.amdhsa_group_segment_fixed_size 17408
		.amdhsa_private_segment_fixed_size 32
		.amdhsa_kernarg_size 464
		.amdhsa_user_sgpr_count 8
		.amdhsa_user_sgpr_private_segment_buffer 1
		.amdhsa_user_sgpr_dispatch_ptr 0
		.amdhsa_user_sgpr_queue_ptr 0
		.amdhsa_user_sgpr_kernarg_segment_ptr 1
		.amdhsa_user_sgpr_dispatch_id 0
		.amdhsa_user_sgpr_flat_scratch_init 1
		.amdhsa_user_sgpr_private_segment_size 0
		.amdhsa_uses_dynamic_stack 0
		.amdhsa_system_sgpr_private_segment_wavefront_offset 1
		.amdhsa_system_sgpr_workgroup_id_x 1
		.amdhsa_system_sgpr_workgroup_id_y 1
		.amdhsa_system_sgpr_workgroup_id_z 1
		.amdhsa_system_sgpr_workgroup_info 0
		.amdhsa_system_vgpr_workitem_id 1
		.amdhsa_next_free_vgpr 86
		.amdhsa_next_free_sgpr 96
		.amdhsa_reserve_vcc 1
		.amdhsa_reserve_flat_scratch 1
		.amdhsa_float_round_mode_32 0
		.amdhsa_float_round_mode_16_64 0
		.amdhsa_float_denorm_mode_32 3
		.amdhsa_float_denorm_mode_16_64 3
		.amdhsa_dx10_clamp 1
		.amdhsa_ieee_mode 1
		.amdhsa_fp16_overflow 0
		.amdhsa_exception_fp_ieee_invalid_op 0
		.amdhsa_exception_fp_denorm_src 0
		.amdhsa_exception_fp_ieee_div_zero 0
		.amdhsa_exception_fp_ieee_overflow 0
		.amdhsa_exception_fp_ieee_underflow 0
		.amdhsa_exception_fp_ieee_inexact 0
		.amdhsa_exception_int_div_zero 0
	.end_amdhsa_kernel
	.section	.text._ZL15flash_attn_tileILi64ELi64ELi32ELi1ELb0EEvPKcS1_S1_S1_S1_PKiPfP15HIP_vector_typeIfLj2EEffffjfiS5_IjLj3EEiiiiiiiiiiiliiliiiiil,"axG",@progbits,_ZL15flash_attn_tileILi64ELi64ELi32ELi1ELb0EEvPKcS1_S1_S1_S1_PKiPfP15HIP_vector_typeIfLj2EEffffjfiS5_IjLj3EEiiiiiiiiiiiliiliiiiil,comdat
.Lfunc_end56:
	.size	_ZL15flash_attn_tileILi64ELi64ELi32ELi1ELb0EEvPKcS1_S1_S1_S1_PKiPfP15HIP_vector_typeIfLj2EEffffjfiS5_IjLj3EEiiiiiiiiiiiliiliiiiil, .Lfunc_end56-_ZL15flash_attn_tileILi64ELi64ELi32ELi1ELb0EEvPKcS1_S1_S1_S1_PKiPfP15HIP_vector_typeIfLj2EEffffjfiS5_IjLj3EEiiiiiiiiiiiliiliiiiil
                                        ; -- End function
	.set _ZL15flash_attn_tileILi64ELi64ELi32ELi1ELb0EEvPKcS1_S1_S1_S1_PKiPfP15HIP_vector_typeIfLj2EEffffjfiS5_IjLj3EEiiiiiiiiiiiliiliiiiil.num_vgpr, 86
	.set _ZL15flash_attn_tileILi64ELi64ELi32ELi1ELb0EEvPKcS1_S1_S1_S1_PKiPfP15HIP_vector_typeIfLj2EEffffjfiS5_IjLj3EEiiiiiiiiiiiliiliiiiil.num_agpr, 0
	.set _ZL15flash_attn_tileILi64ELi64ELi32ELi1ELb0EEvPKcS1_S1_S1_S1_PKiPfP15HIP_vector_typeIfLj2EEffffjfiS5_IjLj3EEiiiiiiiiiiiliiliiiiil.numbered_sgpr, 52
	.set _ZL15flash_attn_tileILi64ELi64ELi32ELi1ELb0EEvPKcS1_S1_S1_S1_PKiPfP15HIP_vector_typeIfLj2EEffffjfiS5_IjLj3EEiiiiiiiiiiiliiliiiiil.num_named_barrier, 0
	.set _ZL15flash_attn_tileILi64ELi64ELi32ELi1ELb0EEvPKcS1_S1_S1_S1_PKiPfP15HIP_vector_typeIfLj2EEffffjfiS5_IjLj3EEiiiiiiiiiiiliiliiiiil.private_seg_size, 32
	.set _ZL15flash_attn_tileILi64ELi64ELi32ELi1ELb0EEvPKcS1_S1_S1_S1_PKiPfP15HIP_vector_typeIfLj2EEffffjfiS5_IjLj3EEiiiiiiiiiiiliiliiiiil.uses_vcc, 1
	.set _ZL15flash_attn_tileILi64ELi64ELi32ELi1ELb0EEvPKcS1_S1_S1_S1_PKiPfP15HIP_vector_typeIfLj2EEffffjfiS5_IjLj3EEiiiiiiiiiiiliiliiiiil.uses_flat_scratch, 1
	.set _ZL15flash_attn_tileILi64ELi64ELi32ELi1ELb0EEvPKcS1_S1_S1_S1_PKiPfP15HIP_vector_typeIfLj2EEffffjfiS5_IjLj3EEiiiiiiiiiiiliiliiiiil.has_dyn_sized_stack, 0
	.set _ZL15flash_attn_tileILi64ELi64ELi32ELi1ELb0EEvPKcS1_S1_S1_S1_PKiPfP15HIP_vector_typeIfLj2EEffffjfiS5_IjLj3EEiiiiiiiiiiiliiliiiiil.has_recursion, 0
	.set _ZL15flash_attn_tileILi64ELi64ELi32ELi1ELb0EEvPKcS1_S1_S1_S1_PKiPfP15HIP_vector_typeIfLj2EEffffjfiS5_IjLj3EEiiiiiiiiiiiliiliiiiil.has_indirect_call, 0
	.section	.AMDGPU.csdata,"",@progbits
; Kernel info:
; codeLenInByte = 25920
; TotalNumSgprs: 58
; NumVgprs: 86
; ScratchSize: 32
; MemoryBound: 0
; FloatMode: 240
; IeeeMode: 1
; LDSByteSize: 17408 bytes/workgroup (compile time only)
; SGPRBlocks: 12
; VGPRBlocks: 21
; NumSGPRsForWavesPerEU: 102
; NumVGPRsForWavesPerEU: 86
; Occupancy: 2
; WaveLimiterHint : 1
; COMPUTE_PGM_RSRC2:SCRATCH_EN: 1
; COMPUTE_PGM_RSRC2:USER_SGPR: 8
; COMPUTE_PGM_RSRC2:TRAP_HANDLER: 0
; COMPUTE_PGM_RSRC2:TGID_X_EN: 1
; COMPUTE_PGM_RSRC2:TGID_Y_EN: 1
; COMPUTE_PGM_RSRC2:TGID_Z_EN: 1
; COMPUTE_PGM_RSRC2:TIDIG_COMP_CNT: 1
	.section	.text._ZL33flash_attn_stream_k_fixup_uniformILi64ELi32ELi1EEvPfPK15HIP_vector_typeIfLj2EEiiiiiiS1_IjLj3EES5_S5_,"axG",@progbits,_ZL33flash_attn_stream_k_fixup_uniformILi64ELi32ELi1EEvPfPK15HIP_vector_typeIfLj2EEiiiiiiS1_IjLj3EES5_S5_,comdat
	.globl	_ZL33flash_attn_stream_k_fixup_uniformILi64ELi32ELi1EEvPfPK15HIP_vector_typeIfLj2EEiiiiiiS1_IjLj3EES5_S5_ ; -- Begin function _ZL33flash_attn_stream_k_fixup_uniformILi64ELi32ELi1EEvPfPK15HIP_vector_typeIfLj2EEiiiiiiS1_IjLj3EES5_S5_
	.p2align	8
	.type	_ZL33flash_attn_stream_k_fixup_uniformILi64ELi32ELi1EEvPfPK15HIP_vector_typeIfLj2EEiiiiiiS1_IjLj3EES5_S5_,@function
_ZL33flash_attn_stream_k_fixup_uniformILi64ELi32ELi1EEvPfPK15HIP_vector_typeIfLj2EEiiiiiiS1_IjLj3EES5_S5_: ; @_ZL33flash_attn_stream_k_fixup_uniformILi64ELi32ELi1EEvPfPK15HIP_vector_typeIfLj2EEiiiiiiS1_IjLj3EES5_S5_
; %bb.0:
	s_load_dwordx8 s[12:19], s[4:5], 0x1c
	s_load_dwordx2 s[10:11], s[4:5], 0x10
	s_load_dwordx4 s[0:3], s[4:5], 0x3c
	s_waitcnt lgkmcnt(0)
	s_mul_hi_u32 s9, s15, s6
	s_add_i32 s9, s6, s9
	s_lshr_b32 s9, s9, s16
	s_mul_i32 s15, s9, s17
	s_sub_i32 s15, s6, s15
	s_mul_hi_u32 s16, s15, s18
	s_add_i32 s16, s15, s16
	s_lshr_b32 s16, s16, s19
	s_mul_i32 s0, s16, s0
	s_sub_i32 s0, s15, s0
	;; [unrolled: 5-line block ×3, first 2 shown]
	s_lshl_b32 s0, s17, 5
	s_add_i32 s0, s0, s7
	s_cmp_lt_i32 s0, s10
	s_cselect_b64 s[0:1], -1, 0
	s_add_i32 s2, s15, s8
	s_cmp_lt_i32 s2, s13
	s_cselect_b64 s[2:3], -1, 0
	s_and_b64 s[0:1], s[0:1], s[2:3]
	s_andn2_b64 vcc, exec, s[0:1]
	s_cbranch_vccnz .LBB57_6
; %bb.1:
	s_load_dwordx4 s[0:3], s[4:5], 0x0
	s_mul_i32 s4, s9, s10
	s_add_i32 s4, s4, s7
	s_mul_i32 s4, s4, s11
	s_mul_i32 s16, s16, s13
	s_add_i32 s4, s4, s8
	s_add_i32 s4, s4, s16
	s_mul_i32 s5, s11, s17
	s_add_i32 s4, s4, s15
	s_lshl_b32 s5, s5, 11
	s_lshl_b32 s4, s4, 6
	s_add_i32 s5, s5, s4
	v_or_b32_e32 v1, s5, v0
	v_ashrrev_i32_e32 v2, 31, v1
	v_lshlrev_b64 v[1:2], 2, v[1:2]
	s_waitcnt lgkmcnt(0)
	v_mov_b32_e32 v3, s1
	v_add_co_u32_e32 v1, vcc, s0, v1
	v_addc_co_u32_e32 v2, vcc, v3, v2, vcc
	global_load_dword v8, v[1:2], off
	s_add_i32 s4, s7, s8
	s_mul_i32 s7, s14, s6
	s_add_i32 s5, s7, s14
	s_lshl_b32 s0, s5, 5
	s_add_i32 s0, s4, s0
	s_sub_i32 s0, s0, 32
	s_ashr_i32 s1, s0, 31
	s_lshl_b64 s[0:1], s[0:1], 3
	s_add_u32 s0, s2, s0
	s_addc_u32 s1, s3, s1
	s_load_dword s10, s[0:1], 0x4
	s_add_i32 s8, s5, -2
	s_cmp_lt_i32 s8, s7
	s_cbranch_scc1 .LBB57_4
; %bb.2:
	s_lshl_b32 s8, s12, 7
	s_ashr_i32 s9, s8, 31
	s_lshl_b64 s[8:9], s[8:9], 2
	s_add_u32 s8, s2, s8
	s_addc_u32 s11, s3, s9
	s_add_i32 s6, s6, 1
	s_add_i32 s9, s5, -1
	s_mul_i32 s5, s14, s6
	s_load_dword s0, s[0:1], 0x0
	s_lshl_b32 s1, s4, 6
	s_lshl_b32 s6, s5, 11
	s_add_i32 s1, s1, s6
	v_or_b32_e32 v0, s1, v0
	s_lshl_b32 s1, s5, 5
	s_add_i32 s1, s4, s1
	s_lshl_b32 s4, s12, 5
	s_add_i32 s1, s1, s4
	v_add_u32_e32 v3, 0xfffff000, v0
	s_sub_i32 s4, s1, 64
	s_waitcnt lgkmcnt(0)
	v_mov_b32_e32 v7, s10
	v_mov_b32_e32 v6, s0
	;; [unrolled: 1-line block ×3, first 2 shown]
	s_mov_b32 s6, 0x3fb8aa3b
	s_mov_b32 s10, 0xc2ce8ed0
	s_mov_b32 s11, 0x42b17218
	v_mov_b32_e32 v5, 0x7f800000
	s_mov_b32 s12, 0xc1a00000
.LBB57_3:                               ; =>This Inner Loop Header: Depth=1
	v_ashrrev_i32_e32 v4, 31, v3
	v_lshlrev_b64 v[9:10], 2, v[3:4]
	s_ashr_i32 s5, s4, 31
	v_add_co_u32_e32 v9, vcc, s8, v9
	v_addc_co_u32_e32 v10, vcc, v0, v10, vcc
	global_load_dword v4, v[9:10], off
	s_lshl_b64 s[0:1], s[4:5], 3
	s_add_u32 s0, s2, s0
	s_addc_u32 s1, s3, s1
	s_load_dwordx2 s[14:15], s[0:1], 0x0
	s_waitcnt vmcnt(1)
	v_mov_b32_e32 v9, v8
	v_max_f32_e32 v8, v6, v6
	v_mov_b32_e32 v10, v7
	s_add_i32 s9, s9, -1
	s_waitcnt lgkmcnt(0)
	v_max_f32_e64 v7, s14, s14
	v_max_f32_e32 v7, v8, v7
	v_sub_f32_e32 v11, s14, v7
	v_sub_f32_e32 v8, v6, v7
	v_mul_f32_e32 v12, 0x3fb8aa3b, v11
	v_mov_b32_e32 v6, v7
	v_mul_f32_e32 v7, 0x3fb8aa3b, v8
	v_fma_f32 v15, v11, s6, -v12
	v_rndne_f32_e32 v16, v12
	v_fma_f32 v13, v8, s6, -v7
	v_rndne_f32_e32 v14, v7
	v_fmac_f32_e32 v15, 0x32a5705f, v11
	v_sub_f32_e32 v12, v12, v16
	v_fmac_f32_e32 v13, 0x32a5705f, v8
	v_sub_f32_e32 v7, v7, v14
	v_add_f32_e32 v12, v12, v15
	v_cvt_i32_f32_e32 v16, v16
	v_add_f32_e32 v7, v7, v13
	v_exp_f32_e32 v12, v12
	v_cvt_i32_f32_e32 v14, v14
	v_exp_f32_e32 v7, v7
	v_cmp_ngt_f32_e32 vcc, s10, v11
	v_ldexp_f32 v12, v12, v16
	v_cmp_ngt_f32_e64 s[0:1], s10, v8
	v_ldexp_f32 v7, v7, v14
	v_cndmask_b32_e32 v12, 0, v12, vcc
	v_cmp_nlt_f32_e32 vcc, s11, v11
	v_cndmask_b32_e64 v7, 0, v7, s[0:1]
	v_cmp_nlt_f32_e64 s[0:1], s11, v8
	v_cndmask_b32_e32 v12, v5, v12, vcc
	v_cmp_le_f32_e32 vcc, s12, v11
	v_cndmask_b32_e64 v7, v5, v7, s[0:1]
	v_cmp_le_f32_e64 s[0:1], s12, v8
	v_cndmask_b32_e32 v8, 0, v12, vcc
	s_sub_i32 s4, s4, 32
	v_cndmask_b32_e64 v11, 0, v7, s[0:1]
	v_mul_f32_e32 v7, s15, v8
	v_add_u32_e32 v3, 0xfffff800, v3
	s_cmp_le_i32 s9, s7
	v_fmac_f32_e32 v7, v10, v11
	s_waitcnt vmcnt(0)
	v_mul_f32_e32 v8, v4, v8
	v_fmac_f32_e32 v8, v9, v11
	s_cbranch_scc0 .LBB57_3
	s_branch .LBB57_5
.LBB57_4:
	s_waitcnt lgkmcnt(0)
	v_mov_b32_e32 v7, s10
.LBB57_5:
	s_waitcnt vmcnt(0)
	v_div_scale_f32 v0, s[0:1], v7, v7, v8
	v_div_scale_f32 v3, vcc, v8, v7, v8
	v_rcp_f32_e32 v4, v0
	v_fma_f32 v5, -v0, v4, 1.0
	v_fmac_f32_e32 v4, v5, v4
	v_mul_f32_e32 v5, v3, v4
	v_fma_f32 v6, -v0, v5, v3
	v_fmac_f32_e32 v5, v6, v4
	v_fma_f32 v0, -v0, v5, v3
	v_div_fmas_f32 v0, v0, v4, v5
	v_div_fixup_f32 v0, v0, v7, v8
	global_store_dword v[1:2], v0, off
.LBB57_6:
	s_endpgm
	.section	.rodata,"a",@progbits
	.p2align	6, 0x0
	.amdhsa_kernel _ZL33flash_attn_stream_k_fixup_uniformILi64ELi32ELi1EEvPfPK15HIP_vector_typeIfLj2EEiiiiiiS1_IjLj3EES5_S5_
		.amdhsa_group_segment_fixed_size 0
		.amdhsa_private_segment_fixed_size 0
		.amdhsa_kernarg_size 76
		.amdhsa_user_sgpr_count 6
		.amdhsa_user_sgpr_private_segment_buffer 1
		.amdhsa_user_sgpr_dispatch_ptr 0
		.amdhsa_user_sgpr_queue_ptr 0
		.amdhsa_user_sgpr_kernarg_segment_ptr 1
		.amdhsa_user_sgpr_dispatch_id 0
		.amdhsa_user_sgpr_flat_scratch_init 0
		.amdhsa_user_sgpr_private_segment_size 0
		.amdhsa_uses_dynamic_stack 0
		.amdhsa_system_sgpr_private_segment_wavefront_offset 0
		.amdhsa_system_sgpr_workgroup_id_x 1
		.amdhsa_system_sgpr_workgroup_id_y 1
		.amdhsa_system_sgpr_workgroup_id_z 1
		.amdhsa_system_sgpr_workgroup_info 0
		.amdhsa_system_vgpr_workitem_id 0
		.amdhsa_next_free_vgpr 17
		.amdhsa_next_free_sgpr 20
		.amdhsa_reserve_vcc 1
		.amdhsa_reserve_flat_scratch 0
		.amdhsa_float_round_mode_32 0
		.amdhsa_float_round_mode_16_64 0
		.amdhsa_float_denorm_mode_32 3
		.amdhsa_float_denorm_mode_16_64 3
		.amdhsa_dx10_clamp 1
		.amdhsa_ieee_mode 1
		.amdhsa_fp16_overflow 0
		.amdhsa_exception_fp_ieee_invalid_op 0
		.amdhsa_exception_fp_denorm_src 0
		.amdhsa_exception_fp_ieee_div_zero 0
		.amdhsa_exception_fp_ieee_overflow 0
		.amdhsa_exception_fp_ieee_underflow 0
		.amdhsa_exception_fp_ieee_inexact 0
		.amdhsa_exception_int_div_zero 0
	.end_amdhsa_kernel
	.section	.text._ZL33flash_attn_stream_k_fixup_uniformILi64ELi32ELi1EEvPfPK15HIP_vector_typeIfLj2EEiiiiiiS1_IjLj3EES5_S5_,"axG",@progbits,_ZL33flash_attn_stream_k_fixup_uniformILi64ELi32ELi1EEvPfPK15HIP_vector_typeIfLj2EEiiiiiiS1_IjLj3EES5_S5_,comdat
.Lfunc_end57:
	.size	_ZL33flash_attn_stream_k_fixup_uniformILi64ELi32ELi1EEvPfPK15HIP_vector_typeIfLj2EEiiiiiiS1_IjLj3EES5_S5_, .Lfunc_end57-_ZL33flash_attn_stream_k_fixup_uniformILi64ELi32ELi1EEvPfPK15HIP_vector_typeIfLj2EEiiiiiiS1_IjLj3EES5_S5_
                                        ; -- End function
	.set _ZL33flash_attn_stream_k_fixup_uniformILi64ELi32ELi1EEvPfPK15HIP_vector_typeIfLj2EEiiiiiiS1_IjLj3EES5_S5_.num_vgpr, 17
	.set _ZL33flash_attn_stream_k_fixup_uniformILi64ELi32ELi1EEvPfPK15HIP_vector_typeIfLj2EEiiiiiiS1_IjLj3EES5_S5_.num_agpr, 0
	.set _ZL33flash_attn_stream_k_fixup_uniformILi64ELi32ELi1EEvPfPK15HIP_vector_typeIfLj2EEiiiiiiS1_IjLj3EES5_S5_.numbered_sgpr, 20
	.set _ZL33flash_attn_stream_k_fixup_uniformILi64ELi32ELi1EEvPfPK15HIP_vector_typeIfLj2EEiiiiiiS1_IjLj3EES5_S5_.num_named_barrier, 0
	.set _ZL33flash_attn_stream_k_fixup_uniformILi64ELi32ELi1EEvPfPK15HIP_vector_typeIfLj2EEiiiiiiS1_IjLj3EES5_S5_.private_seg_size, 0
	.set _ZL33flash_attn_stream_k_fixup_uniformILi64ELi32ELi1EEvPfPK15HIP_vector_typeIfLj2EEiiiiiiS1_IjLj3EES5_S5_.uses_vcc, 1
	.set _ZL33flash_attn_stream_k_fixup_uniformILi64ELi32ELi1EEvPfPK15HIP_vector_typeIfLj2EEiiiiiiS1_IjLj3EES5_S5_.uses_flat_scratch, 0
	.set _ZL33flash_attn_stream_k_fixup_uniformILi64ELi32ELi1EEvPfPK15HIP_vector_typeIfLj2EEiiiiiiS1_IjLj3EES5_S5_.has_dyn_sized_stack, 0
	.set _ZL33flash_attn_stream_k_fixup_uniformILi64ELi32ELi1EEvPfPK15HIP_vector_typeIfLj2EEiiiiiiS1_IjLj3EES5_S5_.has_recursion, 0
	.set _ZL33flash_attn_stream_k_fixup_uniformILi64ELi32ELi1EEvPfPK15HIP_vector_typeIfLj2EEiiiiiiS1_IjLj3EES5_S5_.has_indirect_call, 0
	.section	.AMDGPU.csdata,"",@progbits
; Kernel info:
; codeLenInByte = 836
; TotalNumSgprs: 24
; NumVgprs: 17
; ScratchSize: 0
; MemoryBound: 0
; FloatMode: 240
; IeeeMode: 1
; LDSByteSize: 0 bytes/workgroup (compile time only)
; SGPRBlocks: 2
; VGPRBlocks: 4
; NumSGPRsForWavesPerEU: 24
; NumVGPRsForWavesPerEU: 17
; Occupancy: 10
; WaveLimiterHint : 0
; COMPUTE_PGM_RSRC2:SCRATCH_EN: 0
; COMPUTE_PGM_RSRC2:USER_SGPR: 6
; COMPUTE_PGM_RSRC2:TRAP_HANDLER: 0
; COMPUTE_PGM_RSRC2:TGID_X_EN: 1
; COMPUTE_PGM_RSRC2:TGID_Y_EN: 1
; COMPUTE_PGM_RSRC2:TGID_Z_EN: 1
; COMPUTE_PGM_RSRC2:TIDIG_COMP_CNT: 0
	.section	.text._ZL33flash_attn_stream_k_fixup_generalILi64ELi32ELi1EEvPfPK15HIP_vector_typeIfLj2EEiiiiS1_IjLj3EES5_S5_S5_,"axG",@progbits,_ZL33flash_attn_stream_k_fixup_generalILi64ELi32ELi1EEvPfPK15HIP_vector_typeIfLj2EEiiiiS1_IjLj3EES5_S5_S5_,comdat
	.globl	_ZL33flash_attn_stream_k_fixup_generalILi64ELi32ELi1EEvPfPK15HIP_vector_typeIfLj2EEiiiiS1_IjLj3EES5_S5_S5_ ; -- Begin function _ZL33flash_attn_stream_k_fixup_generalILi64ELi32ELi1EEvPfPK15HIP_vector_typeIfLj2EEiiiiS1_IjLj3EES5_S5_S5_
	.p2align	8
	.type	_ZL33flash_attn_stream_k_fixup_generalILi64ELi32ELi1EEvPfPK15HIP_vector_typeIfLj2EEiiiiS1_IjLj3EES5_S5_S5_,@function
_ZL33flash_attn_stream_k_fixup_generalILi64ELi32ELi1EEvPfPK15HIP_vector_typeIfLj2EEiiiiS1_IjLj3EES5_S5_S5_: ; @_ZL33flash_attn_stream_k_fixup_generalILi64ELi32ELi1EEvPfPK15HIP_vector_typeIfLj2EEiiiiS1_IjLj3EES5_S5_S5_
; %bb.0:
	s_load_dwordx4 s[0:3], s[4:5], 0x10
	s_load_dword s22, s[4:5], 0x50
	s_mov_b32 s12, 0
	s_waitcnt lgkmcnt(0)
	s_mul_hi_i32 s13, s3, s6
	s_cmp_lg_u64 s[12:13], 0
	s_mul_i32 s9, s3, s6
	s_cbranch_scc0 .LBB58_20
; %bb.1:
	s_add_u32 s10, s22, 0
	s_addc_u32 s11, 0, 0
	s_xor_b64 s[10:11], s[10:11], 0
	v_cvt_f32_u32_e32 v1, s10
	v_cvt_f32_u32_e32 v2, s11
	s_sub_u32 s12, 0, s10
	s_subb_u32 s18, 0, s11
	v_madmk_f32 v1, v2, 0x4f800000, v1
	v_rcp_f32_e32 v1, v1
	v_mul_f32_e32 v1, 0x5f7ffffc, v1
	v_mul_f32_e32 v2, 0x2f800000, v1
	v_trunc_f32_e32 v2, v2
	v_madmk_f32 v1, v2, 0xcf800000, v1
	v_cvt_u32_f32_e32 v2, v2
	v_cvt_u32_f32_e32 v1, v1
	v_readfirstlane_b32 s19, v2
	v_readfirstlane_b32 s14, v1
	s_mul_i32 s15, s12, s19
	s_mul_hi_u32 s21, s12, s14
	s_mul_i32 s20, s18, s14
	s_add_i32 s15, s21, s15
	s_add_i32 s15, s15, s20
	s_mul_i32 s23, s12, s14
	s_mul_i32 s21, s14, s15
	s_mul_hi_u32 s24, s14, s23
	s_mul_hi_u32 s20, s14, s15
	s_add_u32 s21, s24, s21
	s_addc_u32 s20, 0, s20
	s_mul_hi_u32 s25, s19, s23
	s_mul_i32 s23, s19, s23
	s_add_u32 s21, s21, s23
	s_mul_hi_u32 s24, s19, s15
	s_addc_u32 s20, s20, s25
	s_addc_u32 s21, s24, 0
	s_mul_i32 s15, s19, s15
	s_add_u32 s15, s20, s15
	s_addc_u32 s20, 0, s21
	s_add_u32 s21, s14, s15
	s_cselect_b64 s[14:15], -1, 0
	s_cmp_lg_u64 s[14:15], 0
	s_addc_u32 s19, s19, s20
	s_mul_i32 s14, s12, s19
	s_mul_hi_u32 s15, s12, s21
	s_add_i32 s14, s15, s14
	s_mul_i32 s18, s18, s21
	s_add_i32 s14, s14, s18
	s_mul_i32 s12, s12, s21
	s_mul_hi_u32 s18, s19, s12
	s_mul_i32 s20, s19, s12
	s_mul_i32 s24, s21, s14
	s_mul_hi_u32 s12, s21, s12
	s_mul_hi_u32 s23, s21, s14
	s_add_u32 s12, s12, s24
	s_addc_u32 s23, 0, s23
	s_add_u32 s12, s12, s20
	s_mul_hi_u32 s15, s19, s14
	s_addc_u32 s12, s23, s18
	s_addc_u32 s15, s15, 0
	s_mul_i32 s14, s19, s14
	s_add_u32 s12, s12, s14
	s_addc_u32 s18, 0, s15
	s_add_u32 s20, s21, s12
	s_cselect_b64 s[14:15], -1, 0
	s_cmp_lg_u64 s[14:15], 0
	s_addc_u32 s18, s19, s18
	s_ashr_i32 s14, s13, 31
	s_add_u32 s12, s9, s14
	s_mov_b32 s15, s14
	s_addc_u32 s13, s13, s14
	s_xor_b64 s[12:13], s[12:13], s[14:15]
	s_mul_i32 s21, s12, s18
	s_mul_hi_u32 s23, s12, s20
	s_mul_hi_u32 s19, s12, s18
	s_add_u32 s21, s23, s21
	s_addc_u32 s19, 0, s19
	s_mul_hi_u32 s24, s13, s20
	s_mul_i32 s20, s13, s20
	s_add_u32 s20, s21, s20
	s_mul_hi_u32 s23, s13, s18
	s_addc_u32 s19, s19, s24
	s_addc_u32 s20, s23, 0
	s_mul_i32 s18, s13, s18
	s_add_u32 s23, s19, s18
	s_addc_u32 s24, 0, s20
	s_mul_i32 s18, s10, s24
	s_mul_hi_u32 s19, s10, s23
	s_add_i32 s18, s19, s18
	s_mul_i32 s19, s11, s23
	s_add_i32 s25, s18, s19
	s_sub_i32 s20, s13, s25
	s_mul_i32 s18, s10, s23
	s_sub_u32 s12, s12, s18
	s_cselect_b64 s[18:19], -1, 0
	s_cmp_lg_u64 s[18:19], 0
	s_subb_u32 s26, s20, s11
	s_sub_u32 s27, s12, s10
	s_cselect_b64 s[20:21], -1, 0
	s_cmp_lg_u64 s[20:21], 0
	s_subb_u32 s20, s26, 0
	s_cmp_ge_u32 s20, s11
	s_cselect_b32 s21, -1, 0
	s_cmp_ge_u32 s27, s10
	s_cselect_b32 s26, -1, 0
	s_cmp_eq_u32 s20, s11
	s_cselect_b32 s20, s26, s21
	s_add_u32 s21, s23, 1
	s_addc_u32 s26, s24, 0
	s_add_u32 s27, s23, 2
	s_addc_u32 s28, s24, 0
	s_cmp_lg_u32 s20, 0
	s_cselect_b32 s20, s27, s21
	s_cselect_b32 s21, s28, s26
	s_cmp_lg_u64 s[18:19], 0
	s_subb_u32 s13, s13, s25
	s_cmp_ge_u32 s13, s11
	s_cselect_b32 s18, -1, 0
	s_cmp_ge_u32 s12, s10
	s_cselect_b32 s10, -1, 0
	s_cmp_eq_u32 s13, s11
	s_cselect_b32 s10, s10, s18
	s_cmp_lg_u32 s10, 0
	s_cselect_b32 s11, s21, s24
	s_cselect_b32 s10, s20, s23
	s_xor_b64 s[12:13], s[14:15], 0
	s_xor_b64 s[10:11], s[10:11], s[12:13]
	s_sub_u32 s10, s10, s12
	s_load_dwordx4 s[12:15], s[4:5], 0x44
	s_cbranch_execnz .LBB58_3
.LBB58_2:
	v_cvt_f32_u32_e32 v1, s22
	s_sub_i32 s10, 0, s22
	v_rcp_iflag_f32_e32 v1, v1
	v_mul_f32_e32 v1, 0x4f7ffffe, v1
	v_cvt_u32_f32_e32 v1, v1
	v_readfirstlane_b32 s11, v1
	s_mul_i32 s10, s10, s11
	s_mul_hi_u32 s10, s11, s10
	s_add_i32 s11, s11, s10
	s_mul_hi_u32 s10, s9, s11
	s_waitcnt lgkmcnt(0)
	s_mul_i32 s15, s10, s22
	s_sub_i32 s9, s9, s15
	s_add_i32 s11, s10, 1
	s_sub_i32 s15, s9, s22
	s_cmp_ge_u32 s9, s22
	s_cselect_b32 s10, s11, s10
	s_cselect_b32 s9, s15, s9
	s_add_i32 s11, s10, 1
	s_cmp_ge_u32 s9, s22
	s_cselect_b32 s10, s11, s10
.LBB58_3:
	s_add_i32 s9, s6, 1
	s_mul_hi_i32 s21, s3, s9
	s_mov_b32 s20, 0
	s_cmp_lg_u64 s[20:21], 0
	s_mul_i32 s9, s3, s9
	s_cbranch_scc0 .LBB58_21
; %bb.4:
	s_add_u32 s16, s22, 0
	s_addc_u32 s17, 0, 0
	s_xor_b64 s[18:19], s[16:17], 0
	v_cvt_f32_u32_e32 v1, s18
	v_cvt_f32_u32_e32 v2, s19
	s_sub_u32 s11, 0, s18
	s_waitcnt lgkmcnt(0)
	s_subb_u32 s15, 0, s19
	v_madmk_f32 v1, v2, 0x4f800000, v1
	v_rcp_f32_e32 v1, v1
	v_mul_f32_e32 v1, 0x5f7ffffc, v1
	v_mul_f32_e32 v2, 0x2f800000, v1
	v_trunc_f32_e32 v2, v2
	v_madmk_f32 v1, v2, 0xcf800000, v1
	v_cvt_u32_f32_e32 v2, v2
	v_cvt_u32_f32_e32 v1, v1
	v_readfirstlane_b32 s20, v2
	v_readfirstlane_b32 s23, v1
	s_mul_i32 s24, s11, s20
	s_mul_hi_u32 s26, s11, s23
	s_mul_i32 s25, s15, s23
	s_add_i32 s24, s26, s24
	s_add_i32 s24, s24, s25
	s_mul_i32 s27, s11, s23
	s_mul_i32 s26, s23, s24
	s_mul_hi_u32 s28, s23, s27
	s_mul_hi_u32 s25, s23, s24
	s_add_u32 s26, s28, s26
	s_addc_u32 s25, 0, s25
	s_mul_hi_u32 s29, s20, s27
	s_mul_i32 s27, s20, s27
	s_add_u32 s26, s26, s27
	s_mul_hi_u32 s28, s20, s24
	s_addc_u32 s25, s25, s29
	s_addc_u32 s26, s28, 0
	s_mul_i32 s24, s20, s24
	s_add_u32 s24, s25, s24
	s_addc_u32 s26, 0, s26
	s_add_u32 s23, s23, s24
	s_cselect_b64 s[24:25], -1, 0
	s_cmp_lg_u64 s[24:25], 0
	s_addc_u32 s20, s20, s26
	s_mul_i32 s24, s11, s20
	s_mul_hi_u32 s25, s11, s23
	s_add_i32 s24, s25, s24
	s_mul_i32 s15, s15, s23
	s_add_i32 s24, s24, s15
	s_mul_i32 s11, s11, s23
	s_mul_hi_u32 s25, s20, s11
	s_mul_i32 s26, s20, s11
	s_mul_i32 s28, s23, s24
	s_mul_hi_u32 s11, s23, s11
	s_mul_hi_u32 s27, s23, s24
	s_add_u32 s11, s11, s28
	s_addc_u32 s27, 0, s27
	s_add_u32 s11, s11, s26
	s_mul_hi_u32 s15, s20, s24
	s_addc_u32 s11, s27, s25
	s_addc_u32 s15, s15, 0
	s_mul_i32 s24, s20, s24
	s_add_u32 s11, s11, s24
	s_addc_u32 s15, 0, s15
	s_add_u32 s11, s23, s11
	s_cselect_b64 s[24:25], -1, 0
	s_cmp_lg_u64 s[24:25], 0
	s_addc_u32 s15, s20, s15
	s_ashr_i32 s24, s21, 31
	s_add_u32 s20, s9, s24
	s_mov_b32 s25, s24
	s_addc_u32 s21, s21, s24
	s_xor_b64 s[20:21], s[20:21], s[24:25]
	s_mul_i32 s26, s20, s15
	s_mul_hi_u32 s27, s20, s11
	s_mul_hi_u32 s23, s20, s15
	s_add_u32 s26, s27, s26
	s_addc_u32 s23, 0, s23
	s_mul_hi_u32 s28, s21, s11
	s_mul_i32 s11, s21, s11
	s_add_u32 s11, s26, s11
	s_mul_hi_u32 s27, s21, s15
	s_addc_u32 s11, s23, s28
	s_addc_u32 s23, s27, 0
	s_mul_i32 s15, s21, s15
	s_add_u32 s11, s11, s15
	s_addc_u32 s15, 0, s23
	s_mul_i32 s23, s18, s15
	s_mul_hi_u32 s26, s18, s11
	s_add_i32 s23, s26, s23
	s_mul_i32 s26, s19, s11
	s_add_i32 s23, s23, s26
	s_sub_i32 s28, s21, s23
	s_mul_i32 s26, s18, s11
	s_sub_u32 s20, s20, s26
	s_cselect_b64 s[26:27], -1, 0
	s_cmp_lg_u64 s[26:27], 0
	s_subb_u32 s30, s28, s19
	s_sub_u32 s31, s20, s18
	s_cselect_b64 s[28:29], -1, 0
	s_cmp_lg_u64 s[28:29], 0
	s_subb_u32 s28, s30, 0
	s_cmp_ge_u32 s28, s19
	s_cselect_b32 s29, -1, 0
	s_cmp_ge_u32 s31, s18
	s_cselect_b32 s30, -1, 0
	s_cmp_eq_u32 s28, s19
	s_cselect_b32 s28, s30, s29
	s_add_u32 s29, s11, 1
	s_addc_u32 s30, s15, 0
	s_add_u32 s31, s11, 2
	s_addc_u32 s33, s15, 0
	s_cmp_lg_u32 s28, 0
	s_cselect_b32 s28, s31, s29
	s_cselect_b32 s29, s33, s30
	s_cmp_lg_u64 s[26:27], 0
	s_subb_u32 s21, s21, s23
	s_cmp_ge_u32 s21, s19
	s_cselect_b32 s23, -1, 0
	s_cmp_ge_u32 s20, s18
	s_cselect_b32 s18, -1, 0
	s_cmp_eq_u32 s21, s19
	s_cselect_b32 s18, s18, s23
	s_cmp_lg_u32 s18, 0
	s_cselect_b32 s19, s29, s15
	s_cselect_b32 s18, s28, s11
	s_xor_b64 s[20:21], s[24:25], 0
	s_xor_b64 s[18:19], s[18:19], s[20:21]
	s_sub_u32 s18, s18, s20
	s_cbranch_execnz .LBB58_6
.LBB58_5:
	v_cvt_f32_u32_e32 v1, s22
	s_sub_i32 s11, 0, s22
	v_rcp_iflag_f32_e32 v1, v1
	v_mul_f32_e32 v1, 0x4f7ffffe, v1
	v_cvt_u32_f32_e32 v1, v1
	s_waitcnt lgkmcnt(0)
	v_readfirstlane_b32 s15, v1
	s_mul_i32 s11, s11, s15
	s_mul_hi_u32 s11, s15, s11
	s_add_i32 s15, s15, s11
	s_mul_hi_u32 s11, s9, s15
	s_mul_i32 s16, s11, s22
	s_sub_i32 s9, s9, s16
	s_add_i32 s15, s11, 1
	s_sub_i32 s16, s9, s22
	s_cmp_ge_u32 s9, s22
	s_cselect_b32 s11, s15, s11
	s_cselect_b32 s9, s16, s9
	s_add_i32 s15, s11, 1
	s_cmp_ge_u32 s9, s22
	s_cselect_b32 s18, s15, s11
.LBB58_6:
	s_cmp_eq_u32 s10, s18
	s_waitcnt lgkmcnt(0)
	s_mul_hi_u32 s9, s10, s12
	s_cselect_b64 s[16:17], -1, 0
	s_add_i32 s9, s9, s10
	s_lshr_b32 s11, s9, s13
	s_mul_i32 s9, s11, s14
	s_cmp_eq_u32 s9, s10
	s_mul_hi_u32 s9, s18, s12
	s_cselect_b64 s[20:21], -1, 0
	s_add_i32 s9, s9, s18
	s_lshr_b32 s9, s9, s13
	s_cmp_eq_u32 s11, s9
	s_mul_i32 s9, s9, s14
	s_cselect_b64 s[24:25], -1, 0
	s_cmp_lg_u32 s9, s18
	s_cselect_b64 s[18:19], -1, 0
	s_and_b64 s[18:19], s[24:25], s[18:19]
	s_or_b64 s[16:17], s[16:17], s[20:21]
	s_or_b64 s[16:17], s[16:17], s[18:19]
	s_and_b64 vcc, exec, s[16:17]
	s_cbranch_vccnz .LBB58_23
; %bb.7:
	s_load_dwordx8 s[24:31], s[4:5], 0x20
	s_load_dword s15, s[4:5], 0x40
	s_waitcnt lgkmcnt(0)
	s_mul_hi_u32 s9, s10, s24
	s_add_i32 s9, s9, s10
	s_lshr_b32 s9, s9, s25
	s_mul_i32 s16, s9, s26
	s_sub_i32 s16, s10, s16
	s_mul_hi_u32 s17, s16, s27
	s_add_i32 s17, s16, s17
	s_lshr_b32 s24, s17, s28
	s_mul_i32 s17, s24, s29
	s_sub_i32 s16, s16, s17
	;; [unrolled: 5-line block ×3, first 2 shown]
	s_mul_hi_u32 s16, s15, s12
	s_add_i32 s15, s15, s16
	s_lshr_b32 s25, s15, s13
	s_lshl_b32 s15, s25, 5
	s_add_i32 s15, s15, s7
	s_cmp_lt_i32 s15, s0
	s_cselect_b64 s[16:17], -1, 0
	s_add_i32 s15, s23, s8
	s_cmp_lt_i32 s15, s2
	s_cselect_b64 s[18:19], -1, 0
	s_and_b64 s[16:17], s[16:17], s[18:19]
	s_andn2_b64 vcc, exec, s[16:17]
	s_cbranch_vccnz .LBB58_23
; %bb.8:
	s_load_dwordx4 s[16:19], s[4:5], 0x0
	s_mov_b32 s4, 0
	s_lshl_b32 s20, s22, 7
	s_mov_b32 s21, s4
	s_add_i32 s15, s7, s8
	s_lshl_b64 s[20:21], s[20:21], 2
	s_waitcnt lgkmcnt(0)
	s_add_u32 s20, s18, s20
	s_mul_i32 s0, s9, s0
	s_addc_u32 s21, s19, s21
	s_add_i32 s0, s0, s7
	s_mul_i32 s0, s0, s1
	s_mul_i32 s24, s24, s2
	s_add_i32 s0, s0, s8
	s_add_i32 s0, s0, s24
	s_mul_i32 s2, s1, s25
	s_add_i32 s0, s0, s23
	s_lshl_b32 s2, s2, 11
	s_lshl_b32 s0, s0, 6
	s_add_i32 s2, s2, s0
	v_or_b32_e32 v1, s2, v0
	v_ashrrev_i32_e32 v2, 31, v1
	v_lshlrev_b64 v[1:2], 2, v[1:2]
	v_mov_b32_e32 v3, s17
	v_add_co_u32_e32 v1, vcc, s16, v1
	v_addc_co_u32_e32 v2, vcc, v3, v2, vcc
	global_load_dword v3, v[1:2], off
	v_cvt_f32_u32_e32 v4, s22
	s_lshl_b32 s0, s6, 5
	s_add_i32 s0, s0, s15
	s_ashr_i32 s1, s0, 31
	s_lshl_b64 s[0:1], s[0:1], 3
	v_rcp_iflag_f32_e32 v4, v4
	s_add_u32 s0, s18, s0
	s_addc_u32 s1, s19, s1
	s_load_dwordx2 s[0:1], s[0:1], 0x0
	v_mul_f32_e32 v4, 0x4f7ffffe, v4
	v_cvt_u32_f32_e32 v4, v4
	s_add_i32 s24, s6, -1
	v_lshl_or_b32 v0, s15, 6, v0
	s_waitcnt lgkmcnt(0)
	v_mov_b32_e32 v6, s1
	v_mov_b32_e32 v7, s0
	s_mov_b32 s2, 0x3fb8aa3b
	s_mov_b32 s16, 0xc2ce8ed0
	;; [unrolled: 1-line block ×4, first 2 shown]
	v_mov_b32_e32 v5, 0x7f800000
	s_mul_hi_i32 s5, s24, s3
	s_cmp_lg_u64 s[4:5], 0
	s_mul_i32 s8, s24, s3
	s_cbranch_scc0 .LBB58_19
.LBB58_9:
	s_add_u32 s0, s22, 0
	s_addc_u32 s1, 0, 0
	s_xor_b64 s[0:1], s[0:1], 0
	v_cvt_f32_u32_e32 v8, s0
	v_cvt_f32_u32_e32 v9, s1
	s_sub_u32 s9, 0, s0
	s_subb_u32 s25, 0, s1
	v_mac_f32_e32 v8, 0x4f800000, v9
	v_rcp_f32_e32 v8, v8
	v_mul_f32_e32 v8, 0x5f7ffffc, v8
	v_mul_f32_e32 v9, 0x2f800000, v8
	v_trunc_f32_e32 v9, v9
	v_mac_f32_e32 v8, 0xcf800000, v9
	v_cvt_u32_f32_e32 v9, v9
	v_cvt_u32_f32_e32 v8, v8
	v_readfirstlane_b32 s26, v9
	v_readfirstlane_b32 s6, v8
	s_mul_i32 s7, s9, s26
	s_mul_hi_u32 s28, s9, s6
	s_mul_i32 s27, s25, s6
	s_add_i32 s7, s28, s7
	s_mul_i32 s29, s9, s6
	s_add_i32 s7, s7, s27
	s_mul_i32 s28, s6, s7
	s_mul_hi_u32 s30, s6, s29
	s_mul_hi_u32 s27, s6, s7
	s_add_u32 s28, s30, s28
	s_addc_u32 s27, 0, s27
	s_mul_hi_u32 s31, s26, s29
	s_mul_i32 s29, s26, s29
	s_add_u32 s28, s28, s29
	s_mul_hi_u32 s30, s26, s7
	s_addc_u32 s27, s27, s31
	s_addc_u32 s28, s30, 0
	s_mul_i32 s7, s26, s7
	s_add_u32 s7, s27, s7
	s_addc_u32 s27, 0, s28
	s_add_u32 s28, s6, s7
	s_cselect_b64 s[6:7], -1, 0
	s_cmp_lg_u64 s[6:7], 0
	s_addc_u32 s26, s26, s27
	s_mul_i32 s6, s9, s26
	s_mul_hi_u32 s7, s9, s28
	s_add_i32 s6, s7, s6
	s_mul_i32 s25, s25, s28
	s_add_i32 s6, s6, s25
	s_mul_i32 s9, s9, s28
	s_mul_hi_u32 s25, s26, s9
	s_mul_i32 s27, s26, s9
	s_mul_i32 s30, s28, s6
	s_mul_hi_u32 s9, s28, s9
	s_mul_hi_u32 s29, s28, s6
	s_add_u32 s9, s9, s30
	s_addc_u32 s29, 0, s29
	s_add_u32 s9, s9, s27
	s_mul_hi_u32 s7, s26, s6
	s_addc_u32 s9, s29, s25
	s_addc_u32 s7, s7, 0
	s_mul_i32 s6, s26, s6
	s_add_u32 s6, s9, s6
	s_addc_u32 s9, 0, s7
	s_add_u32 s25, s28, s6
	s_cselect_b64 s[6:7], -1, 0
	s_cmp_lg_u64 s[6:7], 0
	s_addc_u32 s9, s26, s9
	s_ashr_i32 s6, s5, 31
	s_add_u32 s26, s8, s6
	s_mov_b32 s7, s6
	s_addc_u32 s27, s5, s6
	s_xor_b64 s[26:27], s[26:27], s[6:7]
	s_mul_i32 s28, s26, s9
	s_mul_hi_u32 s29, s26, s25
	s_mul_hi_u32 s5, s26, s9
	s_add_u32 s28, s29, s28
	s_addc_u32 s5, 0, s5
	s_mul_hi_u32 s30, s27, s25
	s_mul_i32 s25, s27, s25
	s_add_u32 s25, s28, s25
	s_mul_hi_u32 s29, s27, s9
	s_addc_u32 s5, s5, s30
	s_addc_u32 s25, s29, 0
	s_mul_i32 s9, s27, s9
	s_add_u32 s5, s5, s9
	s_addc_u32 s9, 0, s25
	s_mul_i32 s25, s0, s9
	s_mul_hi_u32 s28, s0, s5
	s_add_i32 s25, s28, s25
	s_mul_i32 s28, s1, s5
	s_add_i32 s25, s25, s28
	s_sub_i32 s30, s27, s25
	s_mul_i32 s28, s0, s5
	s_sub_u32 s26, s26, s28
	s_cselect_b64 s[28:29], -1, 0
	s_cmp_lg_u64 s[28:29], 0
	s_subb_u32 s33, s30, s1
	s_sub_u32 s34, s26, s0
	s_cselect_b64 s[30:31], -1, 0
	s_cmp_lg_u64 s[30:31], 0
	s_subb_u32 s30, s33, 0
	s_cmp_ge_u32 s30, s1
	s_cselect_b32 s31, -1, 0
	s_cmp_ge_u32 s34, s0
	s_cselect_b32 s33, -1, 0
	s_cmp_eq_u32 s30, s1
	s_cselect_b32 s30, s33, s31
	s_add_u32 s31, s5, 1
	s_addc_u32 s33, s9, 0
	s_add_u32 s34, s5, 2
	s_addc_u32 s35, s9, 0
	s_cmp_lg_u32 s30, 0
	s_cselect_b32 s30, s34, s31
	s_cselect_b32 s31, s35, s33
	s_cmp_lg_u64 s[28:29], 0
	s_subb_u32 s25, s27, s25
	s_cmp_ge_u32 s25, s1
	s_cselect_b32 s27, -1, 0
	s_cmp_ge_u32 s26, s0
	s_cselect_b32 s0, -1, 0
	s_cmp_eq_u32 s25, s1
	s_cselect_b32 s0, s0, s27
	s_cmp_lg_u32 s0, 0
	s_cselect_b32 s1, s31, s9
	s_cselect_b32 s0, s30, s5
	s_xor_b64 s[6:7], s[6:7], 0
	s_xor_b64 s[0:1], s[0:1], s[6:7]
	s_sub_u32 s6, s0, s6
	s_cbranch_execnz .LBB58_11
.LBB58_10:
	s_sub_i32 s0, 0, s22
	v_readfirstlane_b32 s1, v4
	s_mul_i32 s0, s0, s1
	s_mul_hi_u32 s0, s1, s0
	s_add_i32 s1, s1, s0
	s_mul_hi_u32 s0, s8, s1
	s_mul_i32 s5, s0, s22
	s_sub_i32 s5, s8, s5
	s_add_i32 s1, s0, 1
	s_sub_i32 s6, s5, s22
	s_cmp_ge_u32 s5, s22
	s_cselect_b32 s0, s1, s0
	s_cselect_b32 s5, s6, s5
	s_add_i32 s1, s0, 1
	s_cmp_ge_u32 s5, s22
	s_cselect_b32 s6, s1, s0
.LBB58_11:
	s_cmp_lg_u32 s10, s6
	s_mov_b64 s[8:9], -1
                                        ; implicit-def: $sgpr0_sgpr1
                                        ; implicit-def: $vgpr10
                                        ; implicit-def: $vgpr8
                                        ; implicit-def: $vgpr9
                                        ; implicit-def: $sgpr5
                                        ; implicit-def: $sgpr7
	s_cbranch_scc1 .LBB58_14
; %bb.12:
	s_andn2_b64 vcc, exec, s[8:9]
	s_cbranch_vccz .LBB58_17
.LBB58_13:
	s_andn2_b64 vcc, exec, s[0:1]
	s_cbranch_vccnz .LBB58_18
	s_branch .LBB58_22
.LBB58_14:
	s_add_i32 s0, s24, s22
	s_lshl_b32 s0, s0, 5
	s_add_i32 s0, s0, s15
	s_mov_b32 s1, s4
	s_lshl_b64 s[0:1], s[0:1], 3
	s_add_u32 s8, s18, s0
	s_mul_hi_u32 s0, s6, s12
	s_addc_u32 s9, s19, s1
	s_add_i32 s0, s0, s6
	s_lshr_b32 s5, s0, s13
	s_mul_i32 s0, s5, s14
	s_cmp_eq_u32 s0, s6
	s_cselect_b64 s[0:1], -1, 0
	s_cmp_lt_u32 s5, s11
	s_cselect_b64 s[26:27], -1, 0
	s_or_b64 s[26:27], s[26:27], s[0:1]
	s_mov_b64 s[0:1], -1
	s_and_b64 vcc, exec, s[26:27]
	s_mov_b32 s5, s24
	s_mov_b32 s7, s10
	s_cbranch_vccnz .LBB58_16
; %bb.15:
	s_add_i32 s5, s24, -1
	s_mov_b64 s[0:1], 0
	s_mov_b32 s7, s6
.LBB58_16:
	v_lshl_add_u32 v8, s24, 11, v0
	v_ashrrev_i32_e32 v9, 31, v8
	v_lshlrev_b64 v[8:9], 2, v[8:9]
	v_mov_b32_e32 v10, s21
	v_add_co_u32_e32 v8, vcc, s20, v8
	v_addc_co_u32_e32 v9, vcc, v10, v9, vcc
	global_load_dword v10, v[8:9], off
	s_load_dwordx2 s[8:9], s[8:9], 0x0
	v_max_f32_e32 v8, v7, v7
	s_waitcnt lgkmcnt(0)
	v_max_f32_e64 v9, s8, s8
	v_max_f32_e32 v8, v8, v9
	v_sub_f32_e32 v9, v7, v8
	v_sub_f32_e32 v11, s8, v8
	v_mul_f32_e32 v12, 0x3fb8aa3b, v9
	v_mul_f32_e32 v13, 0x3fb8aa3b, v11
	v_fma_f32 v14, v9, s2, -v12
	v_rndne_f32_e32 v15, v12
	v_fma_f32 v16, v11, s2, -v13
	v_rndne_f32_e32 v17, v13
	v_fmac_f32_e32 v14, 0x32a5705f, v9
	v_sub_f32_e32 v12, v12, v15
	v_fmac_f32_e32 v16, 0x32a5705f, v11
	v_sub_f32_e32 v13, v13, v17
	v_add_f32_e32 v12, v12, v14
	v_cvt_i32_f32_e32 v15, v15
	v_add_f32_e32 v13, v13, v16
	v_exp_f32_e32 v12, v12
	v_cvt_i32_f32_e32 v17, v17
	v_exp_f32_e32 v13, v13
	v_cmp_ngt_f32_e32 vcc, s16, v9
	v_ldexp_f32 v12, v12, v15
	v_cndmask_b32_e32 v12, 0, v12, vcc
	v_ldexp_f32 v13, v13, v17
	v_cmp_ngt_f32_e32 vcc, s16, v11
	v_cndmask_b32_e32 v13, 0, v13, vcc
	v_cmp_nlt_f32_e32 vcc, s17, v9
	v_cndmask_b32_e32 v12, v5, v12, vcc
	v_cmp_nlt_f32_e32 vcc, s17, v11
	v_cndmask_b32_e32 v13, v5, v13, vcc
	v_cmp_le_f32_e32 vcc, s23, v9
	v_cndmask_b32_e32 v12, 0, v12, vcc
	v_cmp_le_f32_e32 vcc, s23, v11
	v_cndmask_b32_e32 v11, 0, v13, vcc
	v_mul_f32_e32 v9, s9, v11
	v_fmac_f32_e32 v9, v6, v12
	s_waitcnt vmcnt(0)
	v_mul_f32_e32 v10, v10, v11
	v_fmac_f32_e32 v10, v3, v12
	s_cbranch_execnz .LBB58_13
.LBB58_17:
	s_add_i32 s5, s24, -1
	s_mov_b32 s7, s10
	v_mov_b32_e32 v9, v6
	v_mov_b32_e32 v8, v7
	s_waitcnt vmcnt(0)
	v_mov_b32_e32 v10, v3
	s_cbranch_execz .LBB58_22
.LBB58_18:
	s_mov_b32 s10, s7
	s_mov_b32 s24, s5
	v_mov_b32_e32 v6, v9
	v_mov_b32_e32 v7, v8
	s_waitcnt vmcnt(0)
	v_mov_b32_e32 v3, v10
	s_mul_hi_i32 s5, s24, s3
	s_cmp_lg_u64 s[4:5], 0
	s_mul_i32 s8, s24, s3
	s_cbranch_scc1 .LBB58_9
.LBB58_19:
                                        ; implicit-def: $sgpr6_sgpr7
	s_branch .LBB58_10
.LBB58_20:
                                        ; implicit-def: $sgpr10_sgpr11
	s_load_dwordx4 s[12:15], s[4:5], 0x44
	s_branch .LBB58_2
.LBB58_21:
                                        ; implicit-def: $sgpr18_sgpr19
	s_branch .LBB58_5
.LBB58_22:
	v_div_scale_f32 v0, s[0:1], v9, v9, v10
	s_waitcnt vmcnt(0)
	v_div_scale_f32 v3, vcc, v10, v9, v10
	v_rcp_f32_e32 v4, v0
	v_fma_f32 v5, -v0, v4, 1.0
	v_fmac_f32_e32 v4, v5, v4
	v_mul_f32_e32 v5, v3, v4
	v_fma_f32 v6, -v0, v5, v3
	v_fmac_f32_e32 v5, v6, v4
	v_fma_f32 v0, -v0, v5, v3
	v_div_fmas_f32 v0, v0, v4, v5
	v_div_fixup_f32 v0, v0, v9, v10
	global_store_dword v[1:2], v0, off
.LBB58_23:
	s_endpgm
	.section	.rodata,"a",@progbits
	.p2align	6, 0x0
	.amdhsa_kernel _ZL33flash_attn_stream_k_fixup_generalILi64ELi32ELi1EEvPfPK15HIP_vector_typeIfLj2EEiiiiS1_IjLj3EES5_S5_S5_
		.amdhsa_group_segment_fixed_size 0
		.amdhsa_private_segment_fixed_size 0
		.amdhsa_kernarg_size 336
		.amdhsa_user_sgpr_count 6
		.amdhsa_user_sgpr_private_segment_buffer 1
		.amdhsa_user_sgpr_dispatch_ptr 0
		.amdhsa_user_sgpr_queue_ptr 0
		.amdhsa_user_sgpr_kernarg_segment_ptr 1
		.amdhsa_user_sgpr_dispatch_id 0
		.amdhsa_user_sgpr_flat_scratch_init 0
		.amdhsa_user_sgpr_private_segment_size 0
		.amdhsa_uses_dynamic_stack 0
		.amdhsa_system_sgpr_private_segment_wavefront_offset 0
		.amdhsa_system_sgpr_workgroup_id_x 1
		.amdhsa_system_sgpr_workgroup_id_y 1
		.amdhsa_system_sgpr_workgroup_id_z 1
		.amdhsa_system_sgpr_workgroup_info 0
		.amdhsa_system_vgpr_workitem_id 0
		.amdhsa_next_free_vgpr 18
		.amdhsa_next_free_sgpr 36
		.amdhsa_reserve_vcc 1
		.amdhsa_reserve_flat_scratch 0
		.amdhsa_float_round_mode_32 0
		.amdhsa_float_round_mode_16_64 0
		.amdhsa_float_denorm_mode_32 3
		.amdhsa_float_denorm_mode_16_64 3
		.amdhsa_dx10_clamp 1
		.amdhsa_ieee_mode 1
		.amdhsa_fp16_overflow 0
		.amdhsa_exception_fp_ieee_invalid_op 0
		.amdhsa_exception_fp_denorm_src 0
		.amdhsa_exception_fp_ieee_div_zero 0
		.amdhsa_exception_fp_ieee_overflow 0
		.amdhsa_exception_fp_ieee_underflow 0
		.amdhsa_exception_fp_ieee_inexact 0
		.amdhsa_exception_int_div_zero 0
	.end_amdhsa_kernel
	.section	.text._ZL33flash_attn_stream_k_fixup_generalILi64ELi32ELi1EEvPfPK15HIP_vector_typeIfLj2EEiiiiS1_IjLj3EES5_S5_S5_,"axG",@progbits,_ZL33flash_attn_stream_k_fixup_generalILi64ELi32ELi1EEvPfPK15HIP_vector_typeIfLj2EEiiiiS1_IjLj3EES5_S5_S5_,comdat
.Lfunc_end58:
	.size	_ZL33flash_attn_stream_k_fixup_generalILi64ELi32ELi1EEvPfPK15HIP_vector_typeIfLj2EEiiiiS1_IjLj3EES5_S5_S5_, .Lfunc_end58-_ZL33flash_attn_stream_k_fixup_generalILi64ELi32ELi1EEvPfPK15HIP_vector_typeIfLj2EEiiiiS1_IjLj3EES5_S5_S5_
                                        ; -- End function
	.set _ZL33flash_attn_stream_k_fixup_generalILi64ELi32ELi1EEvPfPK15HIP_vector_typeIfLj2EEiiiiS1_IjLj3EES5_S5_S5_.num_vgpr, 18
	.set _ZL33flash_attn_stream_k_fixup_generalILi64ELi32ELi1EEvPfPK15HIP_vector_typeIfLj2EEiiiiS1_IjLj3EES5_S5_S5_.num_agpr, 0
	.set _ZL33flash_attn_stream_k_fixup_generalILi64ELi32ELi1EEvPfPK15HIP_vector_typeIfLj2EEiiiiS1_IjLj3EES5_S5_S5_.numbered_sgpr, 36
	.set _ZL33flash_attn_stream_k_fixup_generalILi64ELi32ELi1EEvPfPK15HIP_vector_typeIfLj2EEiiiiS1_IjLj3EES5_S5_S5_.num_named_barrier, 0
	.set _ZL33flash_attn_stream_k_fixup_generalILi64ELi32ELi1EEvPfPK15HIP_vector_typeIfLj2EEiiiiS1_IjLj3EES5_S5_S5_.private_seg_size, 0
	.set _ZL33flash_attn_stream_k_fixup_generalILi64ELi32ELi1EEvPfPK15HIP_vector_typeIfLj2EEiiiiS1_IjLj3EES5_S5_S5_.uses_vcc, 1
	.set _ZL33flash_attn_stream_k_fixup_generalILi64ELi32ELi1EEvPfPK15HIP_vector_typeIfLj2EEiiiiS1_IjLj3EES5_S5_S5_.uses_flat_scratch, 0
	.set _ZL33flash_attn_stream_k_fixup_generalILi64ELi32ELi1EEvPfPK15HIP_vector_typeIfLj2EEiiiiS1_IjLj3EES5_S5_S5_.has_dyn_sized_stack, 0
	.set _ZL33flash_attn_stream_k_fixup_generalILi64ELi32ELi1EEvPfPK15HIP_vector_typeIfLj2EEiiiiS1_IjLj3EES5_S5_S5_.has_recursion, 0
	.set _ZL33flash_attn_stream_k_fixup_generalILi64ELi32ELi1EEvPfPK15HIP_vector_typeIfLj2EEiiiiS1_IjLj3EES5_S5_S5_.has_indirect_call, 0
	.section	.AMDGPU.csdata,"",@progbits
; Kernel info:
; codeLenInByte = 2932
; TotalNumSgprs: 40
; NumVgprs: 18
; ScratchSize: 0
; MemoryBound: 0
; FloatMode: 240
; IeeeMode: 1
; LDSByteSize: 0 bytes/workgroup (compile time only)
; SGPRBlocks: 4
; VGPRBlocks: 4
; NumSGPRsForWavesPerEU: 40
; NumVGPRsForWavesPerEU: 18
; Occupancy: 10
; WaveLimiterHint : 0
; COMPUTE_PGM_RSRC2:SCRATCH_EN: 0
; COMPUTE_PGM_RSRC2:USER_SGPR: 6
; COMPUTE_PGM_RSRC2:TRAP_HANDLER: 0
; COMPUTE_PGM_RSRC2:TGID_X_EN: 1
; COMPUTE_PGM_RSRC2:TGID_Y_EN: 1
; COMPUTE_PGM_RSRC2:TGID_Z_EN: 1
; COMPUTE_PGM_RSRC2:TIDIG_COMP_CNT: 0
	.section	.text._ZL15flash_attn_tileILi64ELi64ELi16ELi1ELb0EEvPKcS1_S1_S1_S1_PKiPfP15HIP_vector_typeIfLj2EEffffjfiS5_IjLj3EEiiiiiiiiiiiliiliiiiil,"axG",@progbits,_ZL15flash_attn_tileILi64ELi64ELi16ELi1ELb0EEvPKcS1_S1_S1_S1_PKiPfP15HIP_vector_typeIfLj2EEffffjfiS5_IjLj3EEiiiiiiiiiiiliiliiiiil,comdat
	.globl	_ZL15flash_attn_tileILi64ELi64ELi16ELi1ELb0EEvPKcS1_S1_S1_S1_PKiPfP15HIP_vector_typeIfLj2EEffffjfiS5_IjLj3EEiiiiiiiiiiiliiliiiiil ; -- Begin function _ZL15flash_attn_tileILi64ELi64ELi16ELi1ELb0EEvPKcS1_S1_S1_S1_PKiPfP15HIP_vector_typeIfLj2EEffffjfiS5_IjLj3EEiiiiiiiiiiiliiliiiiil
	.p2align	8
	.type	_ZL15flash_attn_tileILi64ELi64ELi16ELi1ELb0EEvPKcS1_S1_S1_S1_PKiPfP15HIP_vector_typeIfLj2EEffffjfiS5_IjLj3EEiiiiiiiiiiiliiliiiiil,@function
_ZL15flash_attn_tileILi64ELi64ELi16ELi1ELb0EEvPKcS1_S1_S1_S1_PKiPfP15HIP_vector_typeIfLj2EEffffjfiS5_IjLj3EEiiiiiiiiiiiliiliiiiil: ; @_ZL15flash_attn_tileILi64ELi64ELi16ELi1ELb0EEvPKcS1_S1_S1_S1_PKiPfP15HIP_vector_typeIfLj2EEffffjfiS5_IjLj3EEiiiiiiiiiiiliiliiiiil
; %bb.0:
	s_load_dwordx4 s[28:31], s[4:5], 0x5c
	s_load_dwordx2 s[20:21], s[4:5], 0x80
	s_add_u32 flat_scratch_lo, s6, s11
	s_addc_u32 flat_scratch_hi, s7, 0
	s_add_u32 s0, s0, s11
	s_waitcnt lgkmcnt(0)
	v_cvt_f32_u32_e32 v2, s31
	s_addc_u32 s1, s1, 0
	s_sub_i32 s6, 0, s31
	s_load_dwordx16 s[36:51], s[4:5], 0x0
	v_rcp_iflag_f32_e32 v2, v2
	s_load_dwordx2 s[22:23], s[4:5], 0xb8
	s_mov_b64 s[34:35], 0
	v_mul_f32_e32 v2, 0x4f7ffffe, v2
	v_cvt_u32_f32_e32 v2, v2
	v_readfirstlane_b32 s7, v2
	s_mul_i32 s6, s6, s7
	s_mul_hi_u32 s6, s7, s6
	s_add_i32 s7, s7, s6
	s_mul_hi_u32 s6, s10, s7
	s_mul_i32 s7, s6, s31
	s_sub_i32 s7, s10, s7
	s_add_i32 s11, s6, 1
	s_sub_i32 s12, s7, s31
	s_cmp_ge_u32 s7, s31
	s_cselect_b32 s6, s11, s6
	s_cselect_b32 s7, s12, s7
	s_add_i32 s11, s6, 1
	s_cmp_ge_u32 s7, s31
	s_cselect_b32 s33, s11, s6
	s_abs_i32 s6, s21
	v_cvt_f32_u32_e32 v2, s6
	s_mul_i32 s12, s33, s31
	s_sub_i32 s13, 0, s6
	s_sub_i32 s26, s10, s12
	v_rcp_iflag_f32_e32 v2, v2
	s_abs_i32 s11, s31
	s_xor_b32 s7, s31, s21
	s_ashr_i32 s7, s7, 31
	v_mul_f32_e32 v2, 0x4f7ffffe, v2
	v_cvt_u32_f32_e32 v2, v2
	v_readfirstlane_b32 s10, v2
	s_mul_i32 s13, s13, s10
	s_mul_hi_u32 s12, s10, s13
	s_add_i32 s10, s10, s12
	s_mul_hi_u32 s10, s11, s10
	s_mul_i32 s12, s10, s6
	s_sub_i32 s11, s11, s12
	s_add_i32 s13, s10, 1
	s_sub_i32 s12, s11, s6
	s_cmp_ge_u32 s11, s6
	s_cselect_b32 s10, s13, s10
	s_cselect_b32 s11, s12, s11
	s_add_i32 s12, s10, 1
	s_cmp_ge_u32 s11, s6
	s_cselect_b32 s6, s12, s10
	s_xor_b32 s6, s6, s7
	s_sub_i32 s25, s6, s7
	s_abs_i32 s21, s25
	v_cvt_f32_u32_e32 v2, s21
	s_sub_i32 s6, 0, s21
	s_abs_i32 s24, s26
	v_rcp_iflag_f32_e32 v2, v2
	v_mul_f32_e32 v2, 0x4f7ffffe, v2
	v_cvt_u32_f32_e32 v2, v2
	v_readfirstlane_b32 s7, v2
	s_mul_i32 s6, s6, s7
	s_mul_hi_u32 s6, s7, s6
	s_add_i32 s6, s7, s6
	s_waitcnt lgkmcnt(0)
	s_cmp_eq_u64 s[42:43], 0
	s_cbranch_scc1 .LBB59_2
; %bb.1:
	s_abs_i32 s7, s22
	v_cvt_f32_u32_e32 v2, s7
	s_sub_i32 s14, 0, s7
	s_abs_i32 s13, s33
	s_ashr_i32 s12, s33, 31
	v_rcp_iflag_f32_e32 v2, v2
	s_load_dwordx2 s[10:11], s[4:5], 0xc8
	v_mul_f32_e32 v2, 0x4f7ffffe, v2
	v_cvt_u32_f32_e32 v2, v2
	v_readfirstlane_b32 s15, v2
	s_mul_i32 s14, s14, s15
	s_mul_hi_u32 s14, s15, s14
	s_add_i32 s15, s15, s14
	s_mul_hi_u32 s14, s13, s15
	s_mul_i32 s14, s14, s7
	s_sub_i32 s13, s13, s14
	s_sub_i32 s14, s13, s7
	s_cmp_ge_u32 s13, s7
	s_cselect_b32 s13, s14, s13
	s_sub_i32 s14, s13, s7
	s_cmp_ge_u32 s13, s7
	s_cselect_b32 s7, s14, s13
	s_xor_b32 s7, s7, s12
	s_sub_i32 s7, s7, s12
	s_ashr_i32 s12, s7, 31
	s_waitcnt lgkmcnt(0)
	s_mul_hi_u32 s13, s10, s7
	s_mul_i32 s12, s10, s12
	s_mul_i32 s11, s11, s7
	s_add_i32 s12, s13, s12
	s_add_i32 s12, s12, s11
	s_mul_i32 s7, s10, s7
	s_add_u32 s34, s42, s7
	s_addc_u32 s35, s43, s12
.LBB59_2:
	s_load_dwordx4 s[12:15], s[4:5], 0x40
	s_mul_hi_u32 s22, s24, s6
	s_load_dword s6, s[4:5], 0x50
	v_mov_b32_e32 v25, 1.0
	s_waitcnt lgkmcnt(0)
	v_cmp_le_f32_e64 s[10:11], s13, 0
	s_and_b64 vcc, exec, s[10:11]
	s_cbranch_vccnz .LBB59_4
; %bb.3:
	v_mov_b32_e32 v2, s6
	v_sub_co_u32_e32 v2, vcc, s26, v2
	v_mov_b32_e32 v3, s15
	v_mov_b32_e32 v4, s14
	s_add_i32 s6, s26, 1
	v_lshlrev_b32_e32 v2, 1, v2
	v_cndmask_b32_e32 v3, v3, v4, vcc
	v_or_b32_e32 v2, 1, v2
	v_mov_b32_e32 v4, s6
	v_cndmask_b32_e32 v2, v2, v4, vcc
	v_cvt_f32_i32_e32 v2, v2
	v_cmp_neq_f32_e32 vcc, 1.0, v3
	s_mov_b32 s6, 0x3f2aaaab
	s_movk_i32 s10, 0x204
	v_cndmask_b32_e32 v4, 1.0, v2, vcc
	v_cmp_neq_f32_e32 vcc, 0, v4
	v_cndmask_b32_e32 v5, 1.0, v3, vcc
	v_frexp_mant_f32_e64 v2, |v5|
	v_cmp_gt_f32_e32 vcc, s6, v2
	v_cndmask_b32_e64 v3, 1.0, 2.0, vcc
	v_mul_f32_e32 v2, v2, v3
	v_add_f32_e32 v3, 1.0, v2
	v_rcp_f32_e32 v6, v3
	v_add_f32_e32 v7, -1.0, v2
	v_add_f32_e32 v8, -1.0, v3
	v_sub_f32_e32 v2, v2, v8
	v_mul_f32_e32 v8, v7, v6
	v_mul_f32_e32 v9, v3, v8
	v_fma_f32 v3, v8, v3, -v9
	v_fmac_f32_e32 v3, v8, v2
	v_add_f32_e32 v2, v9, v3
	v_sub_f32_e32 v10, v7, v2
	v_sub_f32_e32 v9, v2, v9
	;; [unrolled: 1-line block ×5, first 2 shown]
	v_add_f32_e32 v2, v3, v2
	v_add_f32_e32 v2, v10, v2
	v_mul_f32_e32 v2, v6, v2
	v_add_f32_e32 v6, v8, v2
	v_sub_f32_e32 v3, v6, v8
	v_sub_f32_e32 v7, v2, v3
	v_mul_f32_e32 v2, v6, v6
	v_fma_f32 v3, v6, v6, -v2
	v_add_f32_e32 v8, v7, v7
	v_fmac_f32_e32 v3, v6, v8
	v_add_f32_e32 v8, v2, v3
	v_mov_b32_e32 v9, 0x3e91f4c4
	v_sub_f32_e32 v2, v8, v2
	v_fmac_f32_e32 v9, 0x3e76c4e1, v8
	v_mov_b32_e32 v10, 0x3ecccdef
	v_sub_f32_e32 v2, v3, v2
	v_mul_f32_e32 v3, v6, v8
	v_fmac_f32_e32 v10, v8, v9
	v_fma_f32 v9, v8, v6, -v3
	v_fmac_f32_e32 v9, v8, v7
	v_fmac_f32_e32 v9, v2, v6
	v_add_f32_e32 v11, v3, v9
	v_sub_f32_e32 v3, v11, v3
	v_sub_f32_e32 v9, v9, v3
	v_mul_f32_e32 v3, v8, v10
	v_fma_f32 v8, v8, v10, -v3
	v_fmac_f32_e32 v8, v2, v10
	v_add_f32_e32 v10, v3, v8
	v_sub_f32_e32 v2, v10, v3
	v_sub_f32_e32 v8, v8, v2
	v_cvt_f64_f32_e64 v[2:3], |v5|
	v_add_f32_e32 v12, 0x3f2aaaaa, v10
	v_add_f32_e32 v13, 0xbf2aaaaa, v12
	;; [unrolled: 1-line block ×3, first 2 shown]
	v_frexp_exp_i32_f64_e32 v2, v[2:3]
	v_sub_f32_e32 v10, v10, v13
	v_add_f32_e32 v3, v8, v10
	v_add_f32_e32 v8, v12, v3
	v_sub_f32_e32 v10, v12, v8
	v_add_f32_e32 v3, v3, v10
	v_mul_f32_e32 v10, v11, v8
	v_fma_f32 v12, v11, v8, -v10
	v_subbrev_co_u32_e32 v2, vcc, 0, v2, vcc
	v_cvt_f32_i32_e32 v2, v2
	v_fmac_f32_e32 v12, v11, v3
	s_mov_b32 s6, 0x3f317218
	v_fmac_f32_e32 v12, v9, v8
	v_mul_f32_e32 v3, 0x3f317218, v2
	v_fma_f32 v8, v2, s6, -v3
	v_fmac_f32_e32 v8, 0xb102e308, v2
	v_ldexp_f32 v2, v7, 1
	v_add_f32_e32 v7, v3, v8
	v_sub_f32_e32 v3, v7, v3
	v_ldexp_f32 v6, v6, 1
	v_sub_f32_e32 v3, v8, v3
	v_add_f32_e32 v8, v10, v12
	v_sub_f32_e32 v9, v8, v10
	v_add_f32_e32 v10, v6, v8
	v_sub_f32_e32 v9, v12, v9
	v_sub_f32_e32 v6, v10, v6
	;; [unrolled: 1-line block ×3, first 2 shown]
	v_add_f32_e32 v2, v2, v9
	v_add_f32_e32 v2, v2, v6
	;; [unrolled: 1-line block ×3, first 2 shown]
	v_sub_f32_e32 v8, v6, v10
	v_sub_f32_e32 v2, v2, v8
	v_add_f32_e32 v8, v7, v6
	v_sub_f32_e32 v9, v8, v7
	v_sub_f32_e32 v10, v8, v9
	;; [unrolled: 1-line block ×4, first 2 shown]
	v_add_f32_e32 v6, v6, v7
	v_add_f32_e32 v7, v3, v2
	v_sub_f32_e32 v9, v7, v3
	v_sub_f32_e32 v10, v7, v9
	;; [unrolled: 1-line block ×4, first 2 shown]
	v_add_f32_e32 v2, v2, v3
	v_add_f32_e32 v3, v7, v6
	;; [unrolled: 1-line block ×3, first 2 shown]
	v_sub_f32_e32 v7, v6, v8
	v_sub_f32_e32 v3, v3, v7
	v_add_f32_e32 v2, v2, v3
	v_add_f32_e32 v3, v6, v2
	v_sub_f32_e32 v6, v3, v6
	v_sub_f32_e32 v2, v2, v6
	v_mul_f32_e32 v6, v4, v3
	v_fma_f32 v3, v4, v3, -v6
	v_fmac_f32_e32 v3, v4, v2
	v_add_f32_e32 v2, v6, v3
	v_cmp_class_f32_e64 vcc, v6, s10
	v_sub_f32_e32 v7, v2, v6
	v_cndmask_b32_e32 v2, v2, v6, vcc
	s_mov_b32 s7, 0x42b17218
	v_mov_b32_e32 v6, 0x37000000
	v_cmp_eq_f32_e32 vcc, s7, v2
	v_cndmask_b32_e32 v6, 0, v6, vcc
	v_sub_f32_e32 v3, v3, v7
	v_sub_f32_e32 v7, v2, v6
	s_mov_b32 s11, 0x3fb8aa3b
	v_mul_f32_e32 v8, 0x3fb8aa3b, v7
	v_fma_f32 v9, v7, s11, -v8
	v_rndne_f32_e32 v10, v8
	v_fmac_f32_e32 v9, 0x32a5705f, v7
	v_sub_f32_e32 v8, v8, v10
	v_add_f32_e32 v8, v8, v9
	v_exp_f32_e32 v8, v8
	v_cvt_i32_f32_e32 v9, v10
	s_mov_b32 s6, 0x7f800000
	v_cmp_neq_f32_e64 vcc, |v2|, s6
	s_mov_b32 s6, 0xc2ce8ed0
	v_cndmask_b32_e32 v2, 0, v3, vcc
	v_ldexp_f32 v3, v8, v9
	v_cmp_ngt_f32_e32 vcc, s6, v7
	v_add_f32_e32 v2, v6, v2
	v_cndmask_b32_e32 v3, 0, v3, vcc
	v_mov_b32_e32 v6, 0x7f800000
	v_cmp_nlt_f32_e32 vcc, s7, v7
	v_cndmask_b32_e32 v3, v6, v3, vcc
	v_fma_f32 v2, v3, v2, v3
	v_cmp_class_f32_e64 vcc, v3, s10
	v_cndmask_b32_e32 v2, v2, v3, vcc
	v_trunc_f32_e32 v3, v4
	v_cmp_eq_f32_e32 vcc, v3, v4
	v_mul_f32_e32 v3, 0.5, v4
	v_trunc_f32_e32 v8, v3
	v_cmp_neq_f32_e64 s[6:7], v8, v3
	s_and_b64 s[6:7], vcc, s[6:7]
	v_cndmask_b32_e64 v3, 1.0, v5, s[6:7]
	s_brev_b32 s13, -2
	v_mov_b32_e32 v7, 0x7fc00000
	v_bfi_b32 v2, s13, v2, v3
	v_cndmask_b32_e32 v3, v7, v2, vcc
	v_cmp_gt_f32_e32 vcc, 0, v5
	v_cndmask_b32_e32 v2, v2, v3, vcc
	v_cmp_class_f32_e64 s[14:15], v5, s10
	v_cmp_eq_f32_e32 vcc, 0, v5
	v_cmp_gt_f32_e64 s[10:11], 0, v4
	s_xor_b64 s[10:11], s[10:11], vcc
	v_cndmask_b32_e64 v3, v6, 0, s[10:11]
	v_cndmask_b32_e64 v4, 0, v5, s[6:7]
	v_bfi_b32 v3, s13, v3, v4
	s_or_b64 vcc, vcc, s[14:15]
	v_cndmask_b32_e32 v2, v2, v3, vcc
	v_cmp_o_f32_e32 vcc, v5, v5
	v_cndmask_b32_e32 v25, v7, v2, vcc
.LBB59_4:
	s_lshl_b32 s42, s8, 4
	v_lshlrev_b32_e32 v22, 1, v1
	s_load_dwordx4 s[16:19], s[4:5], 0x70
	v_add_u32_e32 v23, s42, v22
	v_mul_hi_u32 v2, v23, s28
	v_or_b32_e32 v20, 1, v22
	v_add_u32_e32 v21, s42, v20
	s_waitcnt lgkmcnt(0)
	s_mul_i32 s7, s33, s18
	v_add_u32_e32 v2, v23, v2
	s_ashr_i32 s27, s26, 31
	s_ashr_i32 s6, s25, 31
	;; [unrolled: 1-line block ×3, first 2 shown]
	v_lshrrev_b32_e32 v2, s29, v2
	v_mul_hi_u32 v5, v21, s28
	s_add_u32 s7, s36, s7
	s_mul_i32 s11, s26, s17
	v_mul_lo_u32 v2, v2, s30
	s_addc_u32 s10, s37, s10
	s_ashr_i32 s13, s11, 31
	s_add_u32 s7, s7, s11
	s_addc_u32 s13, s10, s13
	s_ashr_i32 s17, s16, 31
	v_add_u32_e32 v5, v21, v5
	s_lshr_b64 s[10:11], s[16:17], 2
	v_sub_u32_e32 v2, v23, v2
	v_lshrrev_b32_e32 v5, s29, v5
	v_mad_u64_u32 v[3:4], s[14:15], s10, v2, 0
	v_mul_lo_u32 v6, v5, s30
	v_mov_b32_e32 v8, s13
	s_lshr_b32 s13, s17, 2
	v_mad_u64_u32 v[4:5], s[14:15], s13, v2, v[4:5]
	v_sub_u32_e32 v9, v21, v6
	v_mad_u64_u32 v[5:6], s[10:11], s10, v9, 0
	v_lshlrev_b32_e32 v7, 3, v0
	v_add_co_u32_e32 v10, vcc, s7, v7
	v_mad_u64_u32 v[6:7], s[10:11], s13, v9, v[6:7]
	v_lshlrev_b64 v[3:4], 2, v[3:4]
	v_addc_co_u32_e32 v8, vcc, 0, v8, vcc
	v_add_co_u32_e32 v3, vcc, v10, v3
	v_lshlrev_b64 v[5:6], 2, v[5:6]
	v_addc_co_u32_e32 v4, vcc, v8, v4, vcc
	v_add_co_u32_e32 v5, vcc, v10, v5
	global_load_dwordx2 v[3:4], v[3:4], off
	v_addc_co_u32_e32 v6, vcc, v8, v6, vcc
	global_load_dwordx2 v[5:6], v[5:6], off
	v_mov_b32_e32 v7, 0x5800
	v_lshlrev_b32_e32 v30, 8, v1
	v_lshl_or_b32 v7, v0, 2, v7
	v_add_u32_e32 v8, v7, v30
	v_mov_b32_e32 v33, 0
	v_lshl_add_u32 v7, v20, 7, v7
	s_cmp_eq_u64 s[46:47], 0
	s_waitcnt vmcnt(1)
	v_fma_mixlo_f16 v4, s12, v4, 0
	v_fma_mixlo_f16 v3, s12, v3, 0
	v_lshlrev_b32_e32 v4, 16, v4
	s_waitcnt vmcnt(0)
	v_fma_mixlo_f16 v6, s12, v6, 0
	v_fma_mixlo_f16 v5, s12, v5, 0
	v_or_b32_sdwa v3, v4, v3 dst_sel:DWORD dst_unused:UNUSED_PAD src0_sel:DWORD src1_sel:WORD_0
	v_lshlrev_b32_e32 v4, 16, v6
	ds_write_b32 v8, v3
	v_or_b32_sdwa v3, v4, v5 dst_sel:DWORD dst_unused:UNUSED_PAD src0_sel:DWORD src1_sel:WORD_0
	ds_write_b32 v7, v3
	s_waitcnt lgkmcnt(0)
	s_barrier
	s_cbranch_scc1 .LBB59_6
; %bb.5:
	s_load_dword s7, s[4:5], 0xd0
	s_mov_b32 s11, 0
	s_waitcnt lgkmcnt(0)
	s_mul_i32 s7, s7, s33
	s_add_i32 s10, s7, s8
	s_lshl_b64 s[10:11], s[10:11], 2
	s_add_u32 s10, s46, s10
	s_addc_u32 s11, s47, s11
	s_load_dword s20, s[10:11], 0x0
.LBB59_6:
	s_nop 0
	s_load_dwordx2 s[10:11], s[4:5], 0x8c
	s_load_dwordx4 s[16:19], s[4:5], 0x98
	s_load_dwordx2 s[36:37], s[4:5], 0xa8
	s_ashr_i32 s7, s33, 31
	s_ashr_i32 s43, s23, 1
	s_waitcnt lgkmcnt(0)
	s_ashr_i32 s12, s10, 2
	s_mul_hi_u32 s10, s16, s33
	s_mul_i32 s13, s16, s7
	s_add_i32 s10, s10, s13
	s_mul_i32 s13, s17, s33
	s_ashr_i32 s8, s18, 2
	s_add_i32 s10, s10, s13
	s_mul_i32 s13, s16, s33
	s_add_u32 s13, s38, s13
	s_mul_i32 s14, s22, s21
	s_addc_u32 s10, s39, s10
	s_sub_i32 s14, s24, s14
	s_xor_b32 s6, s27, s6
	s_add_i32 s15, s22, 1
	s_sub_i32 s16, s14, s21
	s_cmp_ge_u32 s14, s21
	s_cselect_b32 s15, s15, s22
	s_cselect_b32 s14, s16, s14
	s_add_i32 s16, s15, 1
	s_cmp_ge_u32 s14, s21
	s_cselect_b32 s14, s16, s15
	s_xor_b32 s14, s14, s6
	s_sub_i32 s6, s14, s6
	s_mul_i32 s11, s6, s11
	s_ashr_i32 s14, s11, 31
	s_add_u32 s13, s13, s11
	s_addc_u32 s14, s10, s14
	s_mul_hi_u32 s10, s36, s33
	s_mul_i32 s7, s36, s7
	s_add_i32 s7, s10, s7
	s_mul_i32 s10, s37, s33
	s_add_i32 s7, s7, s10
	s_mul_i32 s10, s36, s33
	s_add_u32 s10, s40, s10
	s_mul_i32 s6, s6, s19
	s_addc_u32 s7, s41, s7
	s_ashr_i32 s11, s6, 31
	v_mul_lo_u32 v31, v2, s43
	s_add_u32 s38, s10, s6
	s_addc_u32 s39, s7, s11
	s_lshl_b32 s40, s9, 7
	s_add_i32 s15, s20, 0xffffff80
	s_cmp_ge_i32 s40, s15
	v_lshrrev_b32_e32 v34, 3, v0
	v_lshlrev_b32_e32 v24, 2, v0
	v_or_b32_e32 v28, 1, v23
	v_mbcnt_lo_u32_b32 v29, -1, 0
	s_cbranch_scc1 .LBB59_27
; %bb.7:
	v_mul_hi_u32 v12, s28, v28
	v_lshl_add_u32 v8, v1, 2, v34
	v_mul_lo_u32 v2, s12, v8
	v_and_b32_e32 v9, 28, v24
	v_add_u32_e32 v12, v28, v12
	v_lshrrev_b32_e32 v12, s29, v12
	v_mul_lo_u32 v12, v12, s30
	v_lshlrev_b32_e32 v13, 2, v9
	s_movk_i32 s6, 0x90
	v_mad_u32_u24 v35, v8, s6, v13
	v_sub_u32_e32 v12, v28, v12
	s_lshl_b32 s6, s12, 5
	v_mul_lo_u32 v41, v12, s43
	v_mul_lo_u32 v12, s8, v8
	v_add_u32_e32 v4, s6, v2
	v_add_u32_e32 v6, s6, v4
	s_cmp_lg_u64 s[34:35], 0
	v_add_u32_e32 v10, s6, v6
	s_cselect_b64 s[6:7], -1, 0
	v_mov_b32_e32 v14, 0x4800
	s_lshl_b32 s10, s8, 5
	v_lshl_add_u32 v42, v1, 9, v14
	v_add_u32_e32 v14, s10, v12
	v_add_u32_e32 v16, s10, v14
	v_add_u32_e32 v18, s10, v16
	v_ashrrev_i32_e32 v3, 31, v2
	v_ashrrev_i32_e32 v5, 31, v4
	;; [unrolled: 1-line block ×4, first 2 shown]
	v_lshl_or_b32 v43, v8, 7, v13
	v_ashrrev_i32_e32 v13, 31, v12
	v_ashrrev_i32_e32 v15, 31, v14
	;; [unrolled: 1-line block ×4, first 2 shown]
	s_add_u32 s10, s4, 0xd0
	v_lshlrev_b64 v[2:3], 2, v[2:3]
	v_lshlrev_b32_e32 v47, 2, v9
	v_lshlrev_b64 v[4:5], 2, v[4:5]
	v_lshlrev_b64 v[8:9], 2, v[6:7]
	;; [unrolled: 1-line block ×3, first 2 shown]
	v_cndmask_b32_e64 v6, 0, 1, s[6:7]
	v_lshlrev_b64 v[12:13], 2, v[12:13]
	v_lshlrev_b64 v[14:15], 2, v[14:15]
	;; [unrolled: 1-line block ×4, first 2 shown]
	v_mov_b32_e32 v26, 0
	v_add_u32_e32 v36, 0x1200, v35
	v_add_u32_e32 v37, 0x2400, v35
	;; [unrolled: 1-line block ×4, first 2 shown]
	v_mul_u32_u24_e32 v40, 0x90, v0
	v_add_u32_e32 v44, 0x1000, v43
	v_add_u32_e32 v45, 0x2000, v43
	;; [unrolled: 1-line block ×3, first 2 shown]
	s_addc_u32 s11, s5, 0
	v_mov_b32_e32 v54, 0xfeffffff
	s_mov_b32 s16, 0x3fb8aa3b
	s_mov_b32 s17, 0xc2ce8ed0
	;; [unrolled: 1-line block ×4, first 2 shown]
	v_add_u32_e32 v48, v42, v24
	v_cmp_ne_u32_e64 s[6:7], 1, v6
	v_mbcnt_hi_u32_b32 v49, -1, v29
	v_mov_b32_e32 v50, 0x7f800000
	v_mov_b32_e32 v27, 0
	;; [unrolled: 1-line block ×5, first 2 shown]
.LBB59_8:                               ; =>This Inner Loop Header: Depth=1
	s_mul_hi_i32 s23, s40, s12
	s_mul_i32 s22, s40, s12
	s_lshl_b64 s[22:23], s[22:23], 2
	s_add_u32 s21, s13, s22
	s_addc_u32 s22, s14, s23
	v_mov_b32_e32 v6, s22
	v_add_co_u32_e32 v7, vcc, s21, v2
	v_addc_co_u32_e32 v32, vcc, v6, v3, vcc
	v_add_co_u32_e32 v6, vcc, v7, v47
	v_addc_co_u32_e32 v7, vcc, 0, v32, vcc
	v_mov_b32_e32 v32, s22
	v_add_co_u32_e32 v33, vcc, s21, v4
	v_addc_co_u32_e32 v55, vcc, v32, v5, vcc
	v_add_co_u32_e32 v32, vcc, v33, v47
	v_addc_co_u32_e32 v33, vcc, 0, v55, vcc
	global_load_dwordx4 v[61:64], v[6:7], off
	global_load_dwordx4 v[65:68], v[32:33], off
	v_mov_b32_e32 v6, s22
	v_add_co_u32_e32 v7, vcc, s21, v8
	v_addc_co_u32_e32 v32, vcc, v6, v9, vcc
	v_add_co_u32_e32 v6, vcc, v7, v47
	v_addc_co_u32_e32 v7, vcc, 0, v32, vcc
	v_mov_b32_e32 v32, s22
	v_add_co_u32_e32 v33, vcc, s21, v10
	v_addc_co_u32_e32 v55, vcc, v32, v11, vcc
	v_add_co_u32_e32 v32, vcc, v33, v47
	v_addc_co_u32_e32 v33, vcc, 0, v55, vcc
	global_load_dwordx4 v[69:72], v[6:7], off
	global_load_dwordx4 v[73:76], v[32:33], off
	v_mov_b32_e32 v57, 0
	v_mov_b32_e32 v32, 0
	;; [unrolled: 1-line block ×8, first 2 shown]
	s_and_b64 vcc, exec, s[6:7]
	s_waitcnt vmcnt(3)
	ds_write_b128 v35, v[61:64]
	s_waitcnt vmcnt(2)
	ds_write_b128 v36, v[65:68]
	;; [unrolled: 2-line block ×4, first 2 shown]
	s_waitcnt lgkmcnt(0)
	s_barrier
	ds_read_b128 v[61:64], v39
	ds_read_b128 v[65:68], v40
	ds_read_b128 v[69:72], v40 offset:4608
	ds_read_b128 v[73:76], v40 offset:9216
	;; [unrolled: 1-line block ×4, first 2 shown]
	s_waitcnt lgkmcnt(4)
	;;#ASMSTART
	v_dot2_f32_f16 v57, v65, v61, v57
	;;#ASMEND
	;;#ASMSTART
	v_dot2_f32_f16 v57, v66, v62, v57
	;;#ASMEND
	;; [unrolled: 3-line block ×4, first 2 shown]
	s_waitcnt lgkmcnt(0)
	;;#ASMSTART
	v_dot2_f32_f16 v32, v65, v81, v32
	;;#ASMEND
	;;#ASMSTART
	v_dot2_f32_f16 v32, v66, v82, v32
	;;#ASMEND
	;; [unrolled: 3-line block ×28, first 2 shown]
	ds_read_b128 v[61:64], v39 offset:16
	ds_read_b128 v[65:68], v40 offset:16
	;; [unrolled: 1-line block ×6, first 2 shown]
	s_waitcnt lgkmcnt(4)
	;;#ASMSTART
	v_dot2_f32_f16 v57, v65, v61, v57
	;;#ASMEND
	;;#ASMSTART
	v_dot2_f32_f16 v57, v66, v62, v57
	;;#ASMEND
	;; [unrolled: 3-line block ×4, first 2 shown]
	s_waitcnt lgkmcnt(0)
	;;#ASMSTART
	v_dot2_f32_f16 v32, v65, v81, v32
	;;#ASMEND
	;;#ASMSTART
	v_dot2_f32_f16 v32, v66, v82, v32
	;;#ASMEND
	;; [unrolled: 3-line block ×28, first 2 shown]
	ds_read_b128 v[61:64], v39 offset:32
	ds_read_b128 v[65:68], v40 offset:32
	;; [unrolled: 1-line block ×6, first 2 shown]
	s_waitcnt lgkmcnt(4)
	;;#ASMSTART
	v_dot2_f32_f16 v57, v65, v61, v57
	;;#ASMEND
	;;#ASMSTART
	v_dot2_f32_f16 v57, v66, v62, v57
	;;#ASMEND
	;; [unrolled: 3-line block ×4, first 2 shown]
	s_waitcnt lgkmcnt(0)
	;;#ASMSTART
	v_dot2_f32_f16 v32, v65, v81, v32
	;;#ASMEND
	;;#ASMSTART
	v_dot2_f32_f16 v32, v66, v82, v32
	;;#ASMEND
	;; [unrolled: 3-line block ×28, first 2 shown]
	ds_read_b128 v[61:64], v39 offset:48
	ds_read_b128 v[65:68], v40 offset:48
	;; [unrolled: 1-line block ×6, first 2 shown]
	s_waitcnt lgkmcnt(4)
	;;#ASMSTART
	v_dot2_f32_f16 v57, v65, v61, v57
	;;#ASMEND
	;;#ASMSTART
	v_dot2_f32_f16 v57, v66, v62, v57
	;;#ASMEND
	;; [unrolled: 3-line block ×4, first 2 shown]
	s_waitcnt lgkmcnt(0)
	;;#ASMSTART
	v_dot2_f32_f16 v32, v65, v81, v32
	;;#ASMEND
	;;#ASMSTART
	v_dot2_f32_f16 v32, v66, v82, v32
	;;#ASMEND
	;; [unrolled: 3-line block ×28, first 2 shown]
	ds_read_b128 v[61:64], v39 offset:64
	ds_read_b128 v[65:68], v40 offset:64
	;; [unrolled: 1-line block ×6, first 2 shown]
	s_waitcnt lgkmcnt(4)
	;;#ASMSTART
	v_dot2_f32_f16 v57, v65, v61, v57
	;;#ASMEND
	;;#ASMSTART
	v_dot2_f32_f16 v57, v66, v62, v57
	;;#ASMEND
	;; [unrolled: 3-line block ×4, first 2 shown]
	s_waitcnt lgkmcnt(0)
	;;#ASMSTART
	v_dot2_f32_f16 v32, v65, v81, v32
	;;#ASMEND
	;;#ASMSTART
	v_dot2_f32_f16 v32, v66, v82, v32
	;;#ASMEND
	;; [unrolled: 3-line block ×28, first 2 shown]
	ds_read_b128 v[61:64], v39 offset:80
	ds_read_b128 v[65:68], v40 offset:80
	;; [unrolled: 1-line block ×6, first 2 shown]
	s_waitcnt lgkmcnt(4)
	;;#ASMSTART
	v_dot2_f32_f16 v57, v65, v61, v57
	;;#ASMEND
	;;#ASMSTART
	v_dot2_f32_f16 v57, v66, v62, v57
	;;#ASMEND
	;; [unrolled: 3-line block ×4, first 2 shown]
	s_waitcnt lgkmcnt(0)
	;;#ASMSTART
	v_dot2_f32_f16 v32, v65, v81, v32
	;;#ASMEND
	;;#ASMSTART
	v_dot2_f32_f16 v32, v66, v82, v32
	;;#ASMEND
	;; [unrolled: 3-line block ×28, first 2 shown]
	ds_read_b128 v[61:64], v39 offset:96
	ds_read_b128 v[65:68], v40 offset:96
	;; [unrolled: 1-line block ×6, first 2 shown]
	s_waitcnt lgkmcnt(4)
	;;#ASMSTART
	v_dot2_f32_f16 v57, v65, v61, v57
	;;#ASMEND
	;;#ASMSTART
	v_dot2_f32_f16 v57, v66, v62, v57
	;;#ASMEND
	;; [unrolled: 3-line block ×4, first 2 shown]
	s_waitcnt lgkmcnt(0)
	;;#ASMSTART
	v_dot2_f32_f16 v32, v65, v81, v32
	;;#ASMEND
	;;#ASMSTART
	v_dot2_f32_f16 v32, v66, v82, v32
	;;#ASMEND
	;; [unrolled: 3-line block ×28, first 2 shown]
	ds_read_b128 v[61:64], v39 offset:112
	ds_read_b128 v[65:68], v40 offset:112
	;; [unrolled: 1-line block ×6, first 2 shown]
	s_waitcnt lgkmcnt(4)
	;;#ASMSTART
	v_dot2_f32_f16 v57, v65, v61, v57
	;;#ASMEND
	;;#ASMSTART
	v_dot2_f32_f16 v57, v66, v62, v57
	;;#ASMEND
	;; [unrolled: 3-line block ×4, first 2 shown]
	s_waitcnt lgkmcnt(0)
	;;#ASMSTART
	v_dot2_f32_f16 v32, v65, v81, v32
	;;#ASMEND
	;;#ASMSTART
	v_dot2_f32_f16 v32, v66, v82, v32
	;;#ASMEND
	;; [unrolled: 3-line block ×25, first 2 shown]
	v_add_u32_e32 v65, s40, v0
	;;#ASMSTART
	v_dot2_f32_f16 v56, v78, v82, v56
	;;#ASMEND
	v_add_u32_e32 v6, v65, v31
	;;#ASMSTART
	v_dot2_f32_f16 v56, v79, v83, v56
	;;#ASMEND
	v_ashrrev_i32_e32 v7, 31, v6
	v_mov_b32_e32 v61, 0
	;;#ASMSTART
	v_dot2_f32_f16 v56, v80, v84, v56
	;;#ASMEND
	s_cbranch_vccnz .LBB59_10
; %bb.9:                                ;   in Loop: Header=BB59_8 Depth=1
	v_lshlrev_b64 v[61:62], 1, v[6:7]
	v_mov_b32_e32 v63, s35
	v_add_co_u32_e32 v61, vcc, s34, v61
	v_addc_co_u32_e32 v62, vcc, v63, v62, vcc
	global_load_ushort v61, v[61:62], off
	s_waitcnt vmcnt(0)
	v_cvt_f32_f16_e32 v61, v61
	v_mul_f32_e32 v61, v25, v61
.LBB59_10:                              ;   in Loop: Header=BB59_8 Depth=1
	v_mov_b32_e32 v64, 0
	s_and_b64 vcc, exec, s[6:7]
	v_mov_b32_e32 v66, 0
	s_cbranch_vccnz .LBB59_12
; %bb.11:                               ;   in Loop: Header=BB59_8 Depth=1
	v_lshlrev_b64 v[62:63], 1, v[6:7]
	v_mov_b32_e32 v66, s35
	v_add_co_u32_e32 v62, vcc, s34, v62
	v_addc_co_u32_e32 v63, vcc, v66, v63, vcc
	global_load_ushort v62, v[62:63], off offset:64
	s_waitcnt vmcnt(0)
	v_cvt_f32_f16_e32 v62, v62
	v_mul_f32_e32 v66, v25, v62
.LBB59_12:                              ;   in Loop: Header=BB59_8 Depth=1
	s_and_b64 vcc, exec, s[6:7]
	s_cbranch_vccnz .LBB59_14
; %bb.13:                               ;   in Loop: Header=BB59_8 Depth=1
	v_lshlrev_b64 v[62:63], 1, v[6:7]
	v_mov_b32_e32 v64, s35
	v_add_co_u32_e32 v62, vcc, s34, v62
	v_addc_co_u32_e32 v63, vcc, v64, v63, vcc
	global_load_ushort v62, v[62:63], off offset:128
	s_waitcnt vmcnt(0)
	v_cvt_f32_f16_e32 v62, v62
	v_mul_f32_e32 v64, v25, v62
.LBB59_14:                              ;   in Loop: Header=BB59_8 Depth=1
	v_mov_b32_e32 v63, 0
	s_and_b64 vcc, exec, s[6:7]
	v_mov_b32_e32 v67, 0
	s_cbranch_vccnz .LBB59_16
; %bb.15:                               ;   in Loop: Header=BB59_8 Depth=1
	v_lshlrev_b64 v[6:7], 1, v[6:7]
	v_mov_b32_e32 v62, s35
	v_add_co_u32_e32 v6, vcc, s34, v6
	v_addc_co_u32_e32 v7, vcc, v62, v7, vcc
	global_load_ushort v6, v[6:7], off offset:192
	s_waitcnt vmcnt(0)
	v_cvt_f32_f16_e32 v6, v6
	v_mul_f32_e32 v67, v25, v6
.LBB59_16:                              ;   in Loop: Header=BB59_8 Depth=1
	v_add_f32_e32 v62, v57, v61
	v_and_b32_e32 v57, 0x60, v49
	v_add_f32_e32 v61, v58, v66
	v_add_f32_e32 v58, v59, v64
	v_add_u32_e32 v57, 32, v57
	v_xor_b32_e32 v59, 16, v49
	v_cmp_lt_i32_e32 vcc, v59, v57
	v_cndmask_b32_e32 v59, v49, v59, vcc
	v_add_f32_e32 v6, 0x40051340, v62
	v_add_f32_e32 v7, 0x40051340, v61
	v_lshlrev_b32_e32 v64, 2, v59
	v_add_f32_e32 v59, v60, v67
	v_max3_f32 v6, v54, v6, v7
	v_add_f32_e32 v7, 0x40051340, v58
	v_add_f32_e32 v60, 0x40051340, v59
	v_max3_f32 v6, v6, v7, v60
	ds_bpermute_b32 v7, v64, v6
	v_xor_b32_e32 v60, 8, v49
	v_cmp_lt_i32_e32 vcc, v60, v57
	v_cndmask_b32_e32 v60, v49, v60, vcc
	v_lshlrev_b32_e32 v67, 2, v60
	s_waitcnt lgkmcnt(0)
	v_max_f32_e32 v7, v7, v7
	v_max_f32_e32 v6, v6, v7
	ds_bpermute_b32 v7, v67, v6
	v_xor_b32_e32 v60, 4, v49
	v_cmp_lt_i32_e32 vcc, v60, v57
	v_cndmask_b32_e32 v60, v49, v60, vcc
	v_lshlrev_b32_e32 v68, 2, v60
	s_waitcnt lgkmcnt(0)
	v_max_f32_e32 v7, v7, v7
	v_max_f32_e32 v6, v6, v7
	;; [unrolled: 8-line block ×4, first 2 shown]
	ds_bpermute_b32 v70, v60, v69
	v_add_u32_e32 v6, v65, v41
	s_and_b64 vcc, exec, s[6:7]
	v_ashrrev_i32_e32 v7, 31, v6
	s_cbranch_vccnz .LBB59_18
; %bb.17:                               ;   in Loop: Header=BB59_8 Depth=1
	v_lshlrev_b64 v[71:72], 1, v[6:7]
	v_mov_b32_e32 v57, s35
	v_add_co_u32_e32 v71, vcc, s34, v71
	v_addc_co_u32_e32 v72, vcc, v57, v72, vcc
	global_load_ushort v57, v[71:72], off
	s_waitcnt vmcnt(0)
	v_cvt_f32_f16_e32 v57, v57
	v_mul_f32_e32 v63, v25, v57
.LBB59_18:                              ;   in Loop: Header=BB59_8 Depth=1
	v_mov_b32_e32 v65, 0
	s_and_b64 vcc, exec, s[6:7]
	v_mov_b32_e32 v57, 0
	s_cbranch_vccnz .LBB59_20
; %bb.19:                               ;   in Loop: Header=BB59_8 Depth=1
	v_lshlrev_b64 v[71:72], 1, v[6:7]
	v_mov_b32_e32 v57, s35
	v_add_co_u32_e32 v71, vcc, s34, v71
	v_addc_co_u32_e32 v72, vcc, v57, v72, vcc
	global_load_ushort v57, v[71:72], off offset:64
	s_waitcnt vmcnt(0)
	v_cvt_f32_f16_e32 v57, v57
	v_mul_f32_e32 v57, v25, v57
.LBB59_20:                              ;   in Loop: Header=BB59_8 Depth=1
	s_and_b64 vcc, exec, s[6:7]
	s_cbranch_vccnz .LBB59_22
; %bb.21:                               ;   in Loop: Header=BB59_8 Depth=1
	v_lshlrev_b64 v[71:72], 1, v[6:7]
	v_mov_b32_e32 v65, s35
	v_add_co_u32_e32 v71, vcc, s34, v71
	v_addc_co_u32_e32 v72, vcc, v65, v72, vcc
	global_load_ushort v65, v[71:72], off offset:128
	s_waitcnt vmcnt(0)
	v_cvt_f32_f16_e32 v65, v65
	v_mul_f32_e32 v65, v25, v65
.LBB59_22:                              ;   in Loop: Header=BB59_8 Depth=1
	s_and_b64 vcc, exec, s[6:7]
	s_cbranch_vccnz .LBB59_24
; %bb.23:                               ;   in Loop: Header=BB59_8 Depth=1
	v_lshlrev_b64 v[6:7], 1, v[6:7]
	v_mov_b32_e32 v71, s35
	v_add_co_u32_e32 v6, vcc, s34, v6
	v_addc_co_u32_e32 v7, vcc, v71, v7, vcc
	global_load_ushort v6, v[6:7], off offset:192
	s_waitcnt vmcnt(0)
	v_cvt_f32_f16_e32 v6, v6
	v_mul_f32_e32 v6, v25, v6
	s_branch .LBB59_25
.LBB59_24:                              ;   in Loop: Header=BB59_8 Depth=1
	v_mov_b32_e32 v6, 0
.LBB59_25:                              ;   in Loop: Header=BB59_8 Depth=1
	v_add_f32_e32 v63, v32, v63
	v_add_f32_e32 v57, v33, v57
	;; [unrolled: 1-line block ×6, first 2 shown]
	v_max3_f32 v7, v52, v7, v32
	v_add_f32_e32 v32, 0x40051340, v55
	v_add_f32_e32 v6, 0x40051340, v33
	v_max3_f32 v6, v7, v32, v6
	ds_bpermute_b32 v7, v64, v6
	s_waitcnt lgkmcnt(1)
	v_max_f32_e32 v32, v70, v70
	v_max_f32_e32 v56, v69, v69
	s_mul_hi_i32 s23, s40, s8
	s_mul_i32 s22, s40, s8
	s_waitcnt lgkmcnt(0)
	v_max_f32_e32 v7, v7, v7
	v_max_f32_e32 v6, v6, v7
	ds_bpermute_b32 v7, v67, v6
	s_lshl_b64 s[22:23], s[22:23], 2
	s_add_u32 s21, s38, s22
	s_addc_u32 s22, s39, s23
	s_waitcnt lgkmcnt(0)
	v_max_f32_e32 v7, v7, v7
	v_max_f32_e32 v7, v6, v7
	ds_bpermute_b32 v64, v68, v7
	v_max_f32_e32 v6, v56, v32
	v_sub_f32_e32 v32, v62, v6
	v_mul_f32_e32 v62, 0x3fb8aa3b, v32
	v_rndne_f32_e32 v65, v62
	s_waitcnt lgkmcnt(0)
	v_max_f32_e32 v56, v64, v64
	v_max_f32_e32 v7, v7, v56
	ds_bpermute_b32 v56, v66, v7
	v_fma_f32 v64, v32, s16, -v62
	v_fmac_f32_e32 v64, 0x32a5705f, v32
	v_sub_f32_e32 v58, v58, v6
	v_cmp_ngt_f32_e32 vcc, s17, v32
	s_waitcnt lgkmcnt(0)
	v_max_f32_e32 v56, v56, v56
	v_max_f32_e32 v7, v7, v56
	ds_bpermute_b32 v56, v60, v7
	v_sub_f32_e32 v60, v62, v65
	v_add_f32_e32 v60, v60, v64
	v_cvt_i32_f32_e32 v62, v65
	v_exp_f32_e32 v60, v60
	s_waitcnt lgkmcnt(0)
	v_max_f32_e32 v56, v56, v56
	v_max_f32_e32 v7, v7, v56
	v_sub_f32_e32 v56, v61, v6
	v_sub_f32_e32 v64, v54, v6
	v_ldexp_f32 v54, v60, v62
	v_mul_f32_e32 v60, 0x3fb8aa3b, v56
	v_fma_f32 v61, v56, s16, -v60
	v_rndne_f32_e32 v62, v60
	v_fmac_f32_e32 v61, 0x32a5705f, v56
	v_sub_f32_e32 v60, v60, v62
	v_add_f32_e32 v60, v60, v61
	v_exp_f32_e32 v60, v60
	v_cvt_i32_f32_e32 v61, v62
	v_cndmask_b32_e32 v54, 0, v54, vcc
	v_cmp_nlt_f32_e32 vcc, s18, v32
	v_cndmask_b32_e32 v32, v50, v54, vcc
	v_ldexp_f32 v60, v60, v61
	v_mul_f32_e32 v61, 0x3fb8aa3b, v58
	v_fma_f32 v62, v58, s16, -v61
	v_rndne_f32_e32 v65, v61
	v_fmac_f32_e32 v62, 0x32a5705f, v58
	v_sub_f32_e32 v61, v61, v65
	v_add_f32_e32 v61, v61, v62
	v_exp_f32_e32 v61, v61
	v_cvt_i32_f32_e32 v62, v65
	v_cmp_ngt_f32_e32 vcc, s17, v56
	v_cndmask_b32_e32 v60, 0, v60, vcc
	v_cmp_nlt_f32_e32 vcc, s18, v56
	v_sub_f32_e32 v59, v59, v6
	v_cndmask_b32_e32 v56, v50, v60, vcc
	v_ldexp_f32 v60, v61, v62
	v_mul_f32_e32 v61, 0x3fb8aa3b, v59
	v_fma_f32 v62, v59, s16, -v61
	v_rndne_f32_e32 v65, v61
	v_fmac_f32_e32 v62, 0x32a5705f, v59
	v_sub_f32_e32 v61, v61, v65
	v_add_f32_e32 v61, v61, v62
	v_exp_f32_e32 v61, v61
	v_cvt_i32_f32_e32 v62, v65
	v_cmp_ngt_f32_e32 vcc, s17, v58
	v_cndmask_b32_e32 v60, 0, v60, vcc
	v_cmp_nlt_f32_e32 vcc, s18, v58
	v_cvt_f16_f32_e32 v54, v32
	v_add_f32_e32 v32, v32, v56
	v_cndmask_b32_e32 v58, v50, v60, vcc
	v_mul_f32_e32 v60, 0x3fb8aa3b, v64
	v_add_f32_e32 v32, v58, v32
	v_cvt_f16_f32_e32 v74, v58
	v_ldexp_f32 v58, v61, v62
	v_fma_f32 v61, v64, s16, -v60
	v_rndne_f32_e32 v62, v60
	v_fmac_f32_e32 v61, 0x32a5705f, v64
	v_sub_f32_e32 v60, v60, v62
	v_add_f32_e32 v60, v60, v61
	v_exp_f32_e32 v60, v60
	v_cvt_i32_f32_e32 v61, v62
	v_cmp_ngt_f32_e32 vcc, s17, v59
	v_cndmask_b32_e32 v58, 0, v58, vcc
	v_cmp_nlt_f32_e32 vcc, s18, v59
	v_cndmask_b32_e32 v58, v50, v58, vcc
	v_add_f32_e32 v32, v58, v32
	v_cvt_f16_f32_e32 v75, v58
	v_ldexp_f32 v58, v60, v61
	v_cmp_ngt_f32_e32 vcc, s17, v64
	v_cndmask_b32_e32 v58, 0, v58, vcc
	v_cmp_nlt_f32_e32 vcc, s18, v64
	v_cndmask_b32_e32 v58, v50, v58, vcc
	v_sub_f32_e32 v76, v63, v7
	v_fmac_f32_e32 v32, v53, v58
	v_cvt_f16_f32_e32 v53, v58
	v_mul_f32_e32 v58, 0x3fb8aa3b, v76
	v_fma_f32 v59, v76, s16, -v58
	v_rndne_f32_e32 v60, v58
	v_fmac_f32_e32 v59, 0x32a5705f, v76
	v_sub_f32_e32 v58, v58, v60
	v_add_f32_e32 v58, v58, v59
	v_exp_f32_e32 v77, v58
	v_mov_b32_e32 v58, s22
	v_add_co_u32_e32 v59, vcc, s21, v12
	v_cvt_i32_f32_e32 v78, v60
	v_addc_co_u32_e32 v60, vcc, v58, v13, vcc
	v_add_co_u32_e32 v58, vcc, v59, v47
	v_addc_co_u32_e32 v59, vcc, 0, v60, vcc
	v_mov_b32_e32 v60, s22
	v_add_co_u32_e32 v61, vcc, s21, v14
	v_addc_co_u32_e32 v60, vcc, v60, v15, vcc
	v_add_co_u32_e32 v62, vcc, v61, v47
	v_addc_co_u32_e32 v63, vcc, 0, v60, vcc
	v_mov_b32_e32 v60, s22
	v_add_co_u32_e32 v61, vcc, s21, v16
	;; [unrolled: 5-line block ×3, first 2 shown]
	v_addc_co_u32_e32 v60, vcc, v60, v19, vcc
	v_add_co_u32_e32 v70, vcc, v61, v47
	v_addc_co_u32_e32 v71, vcc, 0, v60, vcc
	s_barrier
	global_load_dwordx4 v[58:61], v[58:59], off
	s_nop 0
	global_load_dwordx4 v[62:65], v[62:63], off
	s_nop 0
	;; [unrolled: 2-line block ×3, first 2 shown]
	global_load_dwordx4 v[70:73], v[70:71], off
	v_sub_f32_e32 v57, v57, v7
	v_mul_u32_u24_e32 v79, 0x10001, v53
	v_ldexp_f32 v53, v77, v78
	v_mul_f32_e32 v77, 0x3fb8aa3b, v57
	v_fma_f32 v78, v57, s16, -v77
	v_rndne_f32_e32 v80, v77
	v_fmac_f32_e32 v78, 0x32a5705f, v57
	v_sub_f32_e32 v77, v77, v80
	v_add_f32_e32 v77, v77, v78
	v_exp_f32_e32 v77, v77
	v_cvt_i32_f32_e32 v78, v80
	v_sub_f32_e32 v55, v55, v7
	v_cmp_ngt_f32_e32 vcc, s17, v76
	v_cndmask_b32_e32 v53, 0, v53, vcc
	v_ldexp_f32 v77, v77, v78
	v_mul_f32_e32 v78, 0x3fb8aa3b, v55
	v_fma_f32 v80, v55, s16, -v78
	v_rndne_f32_e32 v81, v78
	v_fmac_f32_e32 v80, 0x32a5705f, v55
	v_sub_f32_e32 v78, v78, v81
	v_add_f32_e32 v78, v78, v80
	v_exp_f32_e32 v78, v78
	v_cvt_i32_f32_e32 v80, v81
	v_cmp_nlt_f32_e32 vcc, s18, v76
	v_cndmask_b32_e32 v53, v50, v53, vcc
	v_cmp_ngt_f32_e32 vcc, s17, v57
	v_cndmask_b32_e32 v77, 0, v77, vcc
	v_cmp_nlt_f32_e32 vcc, s18, v57
	v_sub_f32_e32 v33, v33, v7
	v_cndmask_b32_e32 v57, v50, v77, vcc
	v_ldexp_f32 v77, v78, v80
	v_mul_f32_e32 v78, 0x3fb8aa3b, v33
	v_fma_f32 v80, v33, s16, -v78
	v_rndne_f32_e32 v81, v78
	v_fmac_f32_e32 v80, 0x32a5705f, v33
	v_sub_f32_e32 v78, v78, v81
	v_add_f32_e32 v78, v78, v80
	v_exp_f32_e32 v78, v78
	v_cvt_i32_f32_e32 v80, v81
	v_cmp_ngt_f32_e32 vcc, s17, v55
	v_sub_f32_e32 v52, v52, v7
	v_cndmask_b32_e32 v77, 0, v77, vcc
	v_cmp_nlt_f32_e32 vcc, s18, v55
	v_cndmask_b32_e32 v55, v50, v77, vcc
	v_ldexp_f32 v77, v78, v80
	v_mul_f32_e32 v78, 0x3fb8aa3b, v52
	v_fma_f32 v80, v52, s16, -v78
	v_rndne_f32_e32 v81, v78
	v_fmac_f32_e32 v80, 0x32a5705f, v52
	v_sub_f32_e32 v78, v78, v81
	v_cmp_ngt_f32_e32 vcc, s17, v33
	v_add_f32_e32 v78, v78, v80
	v_cvt_f16_f32_e32 v76, v53
	v_add_f32_e32 v53, v53, v57
	v_cndmask_b32_e32 v77, 0, v77, vcc
	v_exp_f32_e32 v78, v78
	v_cvt_i32_f32_e32 v80, v81
	v_cmp_nlt_f32_e32 vcc, s18, v33
	v_cvt_f16_f32_e32 v56, v56
	v_cvt_f16_f32_e32 v57, v57
	v_add_f32_e32 v53, v55, v53
	v_cndmask_b32_e32 v77, v50, v77, vcc
	v_cvt_f16_f32_e32 v55, v55
	v_add_f32_e32 v33, v77, v53
	v_cvt_f16_f32_e32 v53, v77
	v_ldexp_f32 v77, v78, v80
	v_cmp_ngt_f32_e32 vcc, s17, v52
	v_cndmask_b32_e32 v77, 0, v77, vcc
	v_cmp_nlt_f32_e32 vcc, s18, v52
	v_pack_b32_f16 v52, v54, v76
	v_pack_b32_f16 v54, v56, v57
	ds_write2_b32 v48, v52, v54 offset1:32
	v_pack_b32_f16 v52, v74, v55
	v_pack_b32_f16 v53, v75, v53
	ds_write2_b32 v48, v52, v53 offset0:64 offset1:96
	s_waitcnt vmcnt(3)
	ds_write_b128 v43, v[58:61]
	s_waitcnt vmcnt(2)
	ds_write_b128 v44, v[62:65]
	;; [unrolled: 2-line block ×4, first 2 shown]
	s_waitcnt lgkmcnt(0)
	s_barrier
	ds_read_b128 v[52:55], v42
	ds_read_b128 v[56:59], v42 offset:16
	ds_read2_b32 v[60:61], v24 offset1:32
	v_cndmask_b32_e32 v77, v50, v77, vcc
	v_cvt_f16_f32_e32 v78, v77
	s_waitcnt lgkmcnt(2)
	v_mul_u32_u24_sdwa v62, v52, s19 dst_sel:DWORD dst_unused:UNUSED_PAD src0_sel:WORD_0 src1_sel:DWORD
	v_mul_u32_u24_sdwa v52, v52, s19 dst_sel:DWORD dst_unused:UNUSED_PAD src0_sel:WORD_1 src1_sel:DWORD
	s_waitcnt lgkmcnt(0)
	v_pk_mul_f16 v62, v60, v62
	v_fmac_f32_e32 v33, v51, v77
	v_mul_u32_u24_e32 v51, 0x10001, v78
	v_pk_fma_f16 v62, v27, v79, v62
	v_pk_mul_f16 v27, v60, v52
	v_pk_fma_f16 v51, v26, v51, v27
	ds_read2_b32 v[26:27], v24 offset0:64 offset1:96
	v_mul_u32_u24_sdwa v52, v53, s19 dst_sel:DWORD dst_unused:UNUSED_PAD src0_sel:WORD_0 src1_sel:DWORD
	v_mul_u32_u24_sdwa v53, v53, s19 dst_sel:DWORD dst_unused:UNUSED_PAD src0_sel:WORD_1 src1_sel:DWORD
	v_pk_fma_f16 v52, v61, v52, v62
	v_pk_fma_f16 v51, v61, v53, v51
	v_mul_u32_u24_sdwa v53, v54, s19 dst_sel:DWORD dst_unused:UNUSED_PAD src0_sel:WORD_0 src1_sel:DWORD
	v_mul_u32_u24_sdwa v54, v54, s19 dst_sel:DWORD dst_unused:UNUSED_PAD src0_sel:WORD_1 src1_sel:DWORD
	s_waitcnt lgkmcnt(0)
	v_pk_fma_f16 v53, v26, v53, v52
	v_pk_fma_f16 v26, v26, v54, v51
	ds_read2_b32 v[51:52], v24 offset0:128 offset1:160
	v_mul_u32_u24_sdwa v54, v55, s19 dst_sel:DWORD dst_unused:UNUSED_PAD src0_sel:WORD_0 src1_sel:DWORD
	v_mul_u32_u24_sdwa v55, v55, s19 dst_sel:DWORD dst_unused:UNUSED_PAD src0_sel:WORD_1 src1_sel:DWORD
	v_pk_fma_f16 v53, v27, v54, v53
	v_pk_fma_f16 v26, v27, v55, v26
	v_mul_u32_u24_sdwa v27, v56, s19 dst_sel:DWORD dst_unused:UNUSED_PAD src0_sel:WORD_0 src1_sel:DWORD
	v_mul_u32_u24_sdwa v54, v56, s19 dst_sel:DWORD dst_unused:UNUSED_PAD src0_sel:WORD_1 src1_sel:DWORD
	s_waitcnt lgkmcnt(0)
	v_pk_fma_f16 v53, v51, v27, v53
	;; [unrolled: 10-line block ×3, first 2 shown]
	v_pk_fma_f16 v26, v26, v54, v51
	v_mul_u32_u24_sdwa v51, v59, s19 dst_sel:DWORD dst_unused:UNUSED_PAD src0_sel:WORD_0 src1_sel:DWORD
	v_pk_fma_f16 v61, v27, v51, v52
	ds_read_b128 v[51:54], v42 offset:32
	v_add_u32_e32 v62, 0x400, v24
	v_mul_u32_u24_sdwa v55, v59, s19 dst_sel:DWORD dst_unused:UNUSED_PAD src0_sel:WORD_1 src1_sel:DWORD
	ds_read2_b32 v[59:60], v62 offset1:32
	v_pk_fma_f16 v26, v27, v55, v26
	ds_read_b128 v[55:58], v42 offset:48
	s_waitcnt lgkmcnt(2)
	v_mul_u32_u24_sdwa v27, v51, s19 dst_sel:DWORD dst_unused:UNUSED_PAD src0_sel:WORD_0 src1_sel:DWORD
	v_mul_u32_u24_sdwa v51, v51, s19 dst_sel:DWORD dst_unused:UNUSED_PAD src0_sel:WORD_1 src1_sel:DWORD
	s_waitcnt lgkmcnt(1)
	v_pk_fma_f16 v61, v59, v27, v61
	v_pk_fma_f16 v51, v59, v51, v26
	ds_read2_b32 v[26:27], v62 offset0:64 offset1:96
	v_mul_u32_u24_sdwa v59, v52, s19 dst_sel:DWORD dst_unused:UNUSED_PAD src0_sel:WORD_0 src1_sel:DWORD
	v_mul_u32_u24_sdwa v52, v52, s19 dst_sel:DWORD dst_unused:UNUSED_PAD src0_sel:WORD_1 src1_sel:DWORD
	v_pk_fma_f16 v59, v60, v59, v61
	v_pk_fma_f16 v51, v60, v52, v51
	v_mul_u32_u24_sdwa v52, v53, s19 dst_sel:DWORD dst_unused:UNUSED_PAD src0_sel:WORD_0 src1_sel:DWORD
	v_mul_u32_u24_sdwa v53, v53, s19 dst_sel:DWORD dst_unused:UNUSED_PAD src0_sel:WORD_1 src1_sel:DWORD
	s_waitcnt lgkmcnt(0)
	v_pk_fma_f16 v59, v26, v52, v59
	v_pk_fma_f16 v26, v26, v53, v51
	ds_read2_b32 v[51:52], v62 offset0:128 offset1:160
	v_mul_u32_u24_sdwa v53, v54, s19 dst_sel:DWORD dst_unused:UNUSED_PAD src0_sel:WORD_0 src1_sel:DWORD
	v_mul_u32_u24_sdwa v54, v54, s19 dst_sel:DWORD dst_unused:UNUSED_PAD src0_sel:WORD_1 src1_sel:DWORD
	v_pk_fma_f16 v53, v27, v53, v59
	v_pk_fma_f16 v26, v27, v54, v26
	v_mul_u32_u24_sdwa v27, v55, s19 dst_sel:DWORD dst_unused:UNUSED_PAD src0_sel:WORD_0 src1_sel:DWORD
	v_mul_u32_u24_sdwa v54, v55, s19 dst_sel:DWORD dst_unused:UNUSED_PAD src0_sel:WORD_1 src1_sel:DWORD
	s_waitcnt lgkmcnt(0)
	v_pk_fma_f16 v53, v51, v27, v53
	v_pk_fma_f16 v51, v51, v54, v26
	ds_read2_b32 v[26:27], v62 offset0:192 offset1:224
	v_mul_u32_u24_sdwa v54, v56, s19 dst_sel:DWORD dst_unused:UNUSED_PAD src0_sel:WORD_0 src1_sel:DWORD
	v_mul_u32_u24_sdwa v55, v56, s19 dst_sel:DWORD dst_unused:UNUSED_PAD src0_sel:WORD_1 src1_sel:DWORD
	v_pk_fma_f16 v53, v52, v54, v53
	v_pk_fma_f16 v51, v52, v55, v51
	v_mul_u32_u24_sdwa v52, v57, s19 dst_sel:DWORD dst_unused:UNUSED_PAD src0_sel:WORD_0 src1_sel:DWORD
	v_mul_u32_u24_sdwa v54, v57, s19 dst_sel:DWORD dst_unused:UNUSED_PAD src0_sel:WORD_1 src1_sel:DWORD
	s_waitcnt lgkmcnt(0)
	v_pk_fma_f16 v52, v26, v52, v53
	v_pk_fma_f16 v26, v26, v54, v51
	v_mul_u32_u24_sdwa v51, v58, s19 dst_sel:DWORD dst_unused:UNUSED_PAD src0_sel:WORD_0 src1_sel:DWORD
	v_pk_fma_f16 v61, v27, v51, v52
	ds_read_b128 v[51:54], v42 offset:64
	v_add_u32_e32 v62, 0x800, v24
	ds_read2_b32 v[59:60], v62 offset1:32
	v_mul_u32_u24_sdwa v55, v58, s19 dst_sel:DWORD dst_unused:UNUSED_PAD src0_sel:WORD_1 src1_sel:DWORD
	v_pk_fma_f16 v26, v27, v55, v26
	ds_read_b128 v[55:58], v42 offset:80
	s_waitcnt lgkmcnt(2)
	v_mul_u32_u24_sdwa v27, v51, s19 dst_sel:DWORD dst_unused:UNUSED_PAD src0_sel:WORD_0 src1_sel:DWORD
	v_mul_u32_u24_sdwa v51, v51, s19 dst_sel:DWORD dst_unused:UNUSED_PAD src0_sel:WORD_1 src1_sel:DWORD
	s_waitcnt lgkmcnt(1)
	v_pk_fma_f16 v61, v59, v27, v61
	v_pk_fma_f16 v51, v59, v51, v26
	ds_read2_b32 v[26:27], v62 offset0:64 offset1:96
	v_mul_u32_u24_sdwa v59, v52, s19 dst_sel:DWORD dst_unused:UNUSED_PAD src0_sel:WORD_0 src1_sel:DWORD
	v_mul_u32_u24_sdwa v52, v52, s19 dst_sel:DWORD dst_unused:UNUSED_PAD src0_sel:WORD_1 src1_sel:DWORD
	v_pk_fma_f16 v59, v60, v59, v61
	v_pk_fma_f16 v51, v60, v52, v51
	v_mul_u32_u24_sdwa v52, v53, s19 dst_sel:DWORD dst_unused:UNUSED_PAD src0_sel:WORD_0 src1_sel:DWORD
	v_mul_u32_u24_sdwa v53, v53, s19 dst_sel:DWORD dst_unused:UNUSED_PAD src0_sel:WORD_1 src1_sel:DWORD
	s_waitcnt lgkmcnt(0)
	v_pk_fma_f16 v59, v26, v52, v59
	v_pk_fma_f16 v26, v26, v53, v51
	ds_read2_b32 v[51:52], v62 offset0:128 offset1:160
	v_mul_u32_u24_sdwa v53, v54, s19 dst_sel:DWORD dst_unused:UNUSED_PAD src0_sel:WORD_0 src1_sel:DWORD
	v_mul_u32_u24_sdwa v54, v54, s19 dst_sel:DWORD dst_unused:UNUSED_PAD src0_sel:WORD_1 src1_sel:DWORD
	v_pk_fma_f16 v53, v27, v53, v59
	v_pk_fma_f16 v26, v27, v54, v26
	v_mul_u32_u24_sdwa v27, v55, s19 dst_sel:DWORD dst_unused:UNUSED_PAD src0_sel:WORD_0 src1_sel:DWORD
	v_mul_u32_u24_sdwa v54, v55, s19 dst_sel:DWORD dst_unused:UNUSED_PAD src0_sel:WORD_1 src1_sel:DWORD
	s_waitcnt lgkmcnt(0)
	v_pk_fma_f16 v53, v51, v27, v53
	v_pk_fma_f16 v51, v51, v54, v26
	ds_read2_b32 v[26:27], v62 offset0:192 offset1:224
	v_mul_u32_u24_sdwa v54, v56, s19 dst_sel:DWORD dst_unused:UNUSED_PAD src0_sel:WORD_0 src1_sel:DWORD
	v_mul_u32_u24_sdwa v55, v56, s19 dst_sel:DWORD dst_unused:UNUSED_PAD src0_sel:WORD_1 src1_sel:DWORD
	v_pk_fma_f16 v53, v52, v54, v53
	v_pk_fma_f16 v51, v52, v55, v51
	v_mul_u32_u24_sdwa v52, v57, s19 dst_sel:DWORD dst_unused:UNUSED_PAD src0_sel:WORD_0 src1_sel:DWORD
	v_mul_u32_u24_sdwa v54, v57, s19 dst_sel:DWORD dst_unused:UNUSED_PAD src0_sel:WORD_1 src1_sel:DWORD
	s_waitcnt lgkmcnt(0)
	v_pk_fma_f16 v52, v26, v52, v53
	v_pk_fma_f16 v26, v26, v54, v51
	v_mul_u32_u24_sdwa v51, v58, s19 dst_sel:DWORD dst_unused:UNUSED_PAD src0_sel:WORD_0 src1_sel:DWORD
	v_pk_fma_f16 v61, v27, v51, v52
	ds_read_b128 v[51:54], v42 offset:96
	v_add_u32_e32 v62, 0xc00, v24
	ds_read2_b32 v[59:60], v62 offset1:32
	v_mul_u32_u24_sdwa v55, v58, s19 dst_sel:DWORD dst_unused:UNUSED_PAD src0_sel:WORD_1 src1_sel:DWORD
	;; [unrolled: 44-line block ×14, first 2 shown]
	v_pk_fma_f16 v26, v27, v55, v26
	ds_read_b128 v[55:58], v42 offset:496
	s_waitcnt lgkmcnt(2)
	v_mul_u32_u24_sdwa v27, v51, s19 dst_sel:DWORD dst_unused:UNUSED_PAD src0_sel:WORD_0 src1_sel:DWORD
	v_mul_u32_u24_sdwa v51, v51, s19 dst_sel:DWORD dst_unused:UNUSED_PAD src0_sel:WORD_1 src1_sel:DWORD
	s_waitcnt lgkmcnt(1)
	v_pk_fma_f16 v61, v59, v27, v61
	v_pk_fma_f16 v51, v59, v51, v26
	ds_read2_b32 v[26:27], v62 offset0:64 offset1:96
	v_mul_u32_u24_sdwa v59, v52, s19 dst_sel:DWORD dst_unused:UNUSED_PAD src0_sel:WORD_0 src1_sel:DWORD
	v_mul_u32_u24_sdwa v52, v52, s19 dst_sel:DWORD dst_unused:UNUSED_PAD src0_sel:WORD_1 src1_sel:DWORD
	v_pk_fma_f16 v59, v60, v59, v61
	v_pk_fma_f16 v51, v60, v52, v51
	v_mul_u32_u24_sdwa v52, v53, s19 dst_sel:DWORD dst_unused:UNUSED_PAD src0_sel:WORD_0 src1_sel:DWORD
	v_mul_u32_u24_sdwa v53, v53, s19 dst_sel:DWORD dst_unused:UNUSED_PAD src0_sel:WORD_1 src1_sel:DWORD
	s_waitcnt lgkmcnt(0)
	v_pk_fma_f16 v59, v26, v52, v59
	v_pk_fma_f16 v26, v26, v53, v51
	ds_read2_b32 v[51:52], v62 offset0:128 offset1:160
	v_mul_u32_u24_sdwa v53, v54, s19 dst_sel:DWORD dst_unused:UNUSED_PAD src0_sel:WORD_0 src1_sel:DWORD
	v_mul_u32_u24_sdwa v54, v54, s19 dst_sel:DWORD dst_unused:UNUSED_PAD src0_sel:WORD_1 src1_sel:DWORD
	v_pk_fma_f16 v53, v27, v53, v59
	v_pk_fma_f16 v26, v27, v54, v26
	v_mul_u32_u24_sdwa v27, v55, s19 dst_sel:DWORD dst_unused:UNUSED_PAD src0_sel:WORD_0 src1_sel:DWORD
	v_mul_u32_u24_sdwa v54, v55, s19 dst_sel:DWORD dst_unused:UNUSED_PAD src0_sel:WORD_1 src1_sel:DWORD
	s_waitcnt lgkmcnt(0)
	v_pk_fma_f16 v27, v51, v27, v53
	v_pk_fma_f16 v26, v51, v54, v26
	ds_read2_b32 v[53:54], v62 offset0:192 offset1:224
	s_waitcnt lgkmcnt(0)
	s_barrier
	s_load_dword s21, s[10:11], 0x4
	v_mul_u32_u24_sdwa v51, v56, s19 dst_sel:DWORD dst_unused:UNUSED_PAD src0_sel:WORD_0 src1_sel:DWORD
	v_mul_u32_u24_sdwa v55, v56, s19 dst_sel:DWORD dst_unused:UNUSED_PAD src0_sel:WORD_1 src1_sel:DWORD
	v_pk_fma_f16 v27, v52, v51, v27
	v_pk_fma_f16 v26, v52, v55, v26
	v_mul_u32_u24_sdwa v51, v57, s19 dst_sel:DWORD dst_unused:UNUSED_PAD src0_sel:WORD_0 src1_sel:DWORD
	v_mul_u32_u24_sdwa v52, v57, s19 dst_sel:DWORD dst_unused:UNUSED_PAD src0_sel:WORD_1 src1_sel:DWORD
	s_waitcnt lgkmcnt(0)
	s_lshl_b32 s21, s21, 7
	v_pk_fma_f16 v27, v53, v51, v27
	v_pk_fma_f16 v26, v53, v52, v26
	v_mul_u32_u24_sdwa v51, v58, s19 dst_sel:DWORD dst_unused:UNUSED_PAD src0_sel:WORD_0 src1_sel:DWORD
	v_mul_u32_u24_sdwa v52, v58, s19 dst_sel:DWORD dst_unused:UNUSED_PAD src0_sel:WORD_1 src1_sel:DWORD
	s_add_i32 s40, s21, s40
	v_pk_fma_f16 v27, v54, v51, v27
	s_cmp_lt_i32 s40, s15
	v_pk_fma_f16 v26, v54, v52, v26
	s_cbranch_scc0 .LBB59_28
; %bb.26:                               ;   in Loop: Header=BB59_8 Depth=1
	v_mov_b32_e32 v54, v6
	v_mov_b32_e32 v52, v7
	v_mov_b32_e32 v53, v32
	v_mov_b32_e32 v51, v33
	s_branch .LBB59_8
.LBB59_27:
	v_mov_b32_e32 v6, 0xfeffffff
	v_mov_b32_e32 v7, v6
	;; [unrolled: 1-line block ×5, first 2 shown]
.LBB59_28:
	v_lshlrev_b32_e32 v10, 1, v0
	s_cmp_gt_i32 s20, s40
	s_cbranch_scc1 .LBB59_30
; %bb.29:
	v_mbcnt_hi_u32_b32 v4, -1, v29
	v_and_b32_e32 v2, 0x60, v4
	v_add_u32_e32 v5, 32, v2
	v_xor_b32_e32 v39, 16, v4
	v_xor_b32_e32 v36, 8, v4
	v_xor_b32_e32 v37, 4, v4
	v_xor_b32_e32 v38, 2, v4
	v_xor_b32_e32 v40, 1, v4
	s_cbranch_execz .LBB59_31
	s_branch .LBB59_71
.LBB59_30:
                                        ; implicit-def: $vgpr4
                                        ; implicit-def: $vgpr5
                                        ; implicit-def: $vgpr39
                                        ; implicit-def: $vgpr36
                                        ; implicit-def: $vgpr37
                                        ; implicit-def: $vgpr38
                                        ; implicit-def: $vgpr40
.LBB59_31:
	v_lshl_add_u32 v9, v1, 2, v34
	v_mul_lo_u32 v12, s12, v9
	s_mul_hi_i32 s11, s40, s12
	s_mul_i32 s10, s40, s12
	s_sub_i32 s41, s20, s40
	s_lshl_b64 s[10:11], s[10:11], 2
	v_and_b32_e32 v2, 28, v24
	v_ashrrev_i32_e32 v13, 31, v12
	s_add_u32 s13, s13, s10
	v_lshlrev_b32_e32 v8, 2, v2
	v_lshlrev_b64 v[2:3], 2, v[12:13]
	s_addc_u32 s14, s14, s11
	v_mov_b32_e32 v4, s14
	v_add_co_u32_e32 v2, vcc, s13, v2
	v_addc_co_u32_e32 v3, vcc, v4, v3, vcc
	s_mov_b64 s[6:7], src_private_base
	v_add_co_u32_e32 v2, vcc, v2, v8
	v_mov_b32_e32 v36, 0
	v_addc_co_u32_e32 v3, vcc, 0, v3, vcc
	v_mov_b32_e32 v17, s7
	v_cmp_gt_i32_e64 s[6:7], s41, v9
	v_mov_b32_e32 v18, 0
	buffer_store_dword v36, off, s[0:3], 0
	buffer_store_dword v36, off, s[0:3], 0 offset:4
	buffer_store_dword v36, off, s[0:3], 0 offset:8
	buffer_store_dword v36, off, s[0:3], 0 offset:12
	v_cndmask_b32_e64 v3, v17, v3, s[6:7]
	v_cndmask_b32_e64 v2, v18, v2, s[6:7]
	flat_load_dwordx4 v[2:5], v[2:3]
	s_lshl_b32 s12, s12, 5
	v_add_u32_e32 v12, s12, v12
	v_ashrrev_i32_e32 v13, 31, v12
	v_lshlrev_b64 v[13:14], 2, v[12:13]
	v_mov_b32_e32 v15, s14
	v_add_co_u32_e32 v13, vcc, s13, v13
	v_addc_co_u32_e32 v14, vcc, v15, v14, vcc
	s_movk_i32 s10, 0x90
	v_add_u32_e32 v11, 32, v9
	v_add_co_u32_e32 v13, vcc, v13, v8
	v_mad_u32_u24 v38, v9, s10, v8
	v_addc_co_u32_e32 v14, vcc, 0, v14, vcc
	v_cmp_gt_i32_e64 s[24:25], s41, v11
	buffer_store_dword v36, off, s[0:3], 0
	buffer_store_dword v36, off, s[0:3], 0 offset:4
	buffer_store_dword v36, off, s[0:3], 0 offset:8
	;; [unrolled: 1-line block ×3, first 2 shown]
	v_cndmask_b32_e64 v14, v17, v14, s[24:25]
	v_cndmask_b32_e64 v13, v18, v13, s[24:25]
	v_mov_b32_e32 v19, s14
	v_mul_u32_u24_e32 v37, 0x90, v0
	v_mov_b32_e32 v34, 0
	v_mov_b32_e32 v35, 0
	s_cmp_lg_u64 s[34:35], 0
	v_add_u32_e32 v39, s40, v31
	v_cmp_gt_i32_e64 s[16:17], s41, v0
	s_waitcnt vmcnt(0) lgkmcnt(0)
	ds_write_b128 v38, v[2:5]
	flat_load_dwordx4 v[2:5], v[13:14]
	v_add_u32_e32 v14, s12, v12
	v_ashrrev_i32_e32 v15, 31, v14
	v_lshlrev_b64 v[15:16], 2, v[14:15]
	v_add_u32_e32 v13, 64, v9
	v_add_co_u32_e32 v12, vcc, s13, v15
	v_addc_co_u32_e32 v15, vcc, v19, v16, vcc
	v_add_co_u32_e32 v12, vcc, v12, v8
	v_addc_co_u32_e32 v15, vcc, 0, v15, vcc
	v_cmp_gt_i32_e64 s[10:11], s41, v13
	v_cndmask_b32_e64 v16, v17, v15, s[10:11]
	v_cndmask_b32_e64 v15, v18, v12, s[10:11]
	buffer_store_dword v36, off, s[0:3], 0
	buffer_store_dword v36, off, s[0:3], 0 offset:4
	buffer_store_dword v36, off, s[0:3], 0 offset:8
	;; [unrolled: 1-line block ×3, first 2 shown]
	v_add_u32_e32 v14, s12, v14
	v_add_u32_e32 v12, 0x60, v9
	v_mov_b32_e32 v19, 0
	s_waitcnt vmcnt(0) lgkmcnt(0)
	ds_write_b128 v38, v[2:5] offset:4608
	flat_load_dwordx4 v[2:5], v[15:16]
	v_ashrrev_i32_e32 v15, 31, v14
	v_lshlrev_b64 v[14:15], 2, v[14:15]
	v_mov_b32_e32 v16, s14
	v_add_co_u32_e32 v14, vcc, s13, v14
	v_addc_co_u32_e32 v15, vcc, v16, v15, vcc
	v_add_co_u32_e32 v14, vcc, v14, v8
	v_addc_co_u32_e32 v15, vcc, 0, v15, vcc
	v_cmp_gt_i32_e64 s[12:13], s41, v12
	v_cndmask_b32_e64 v15, v17, v15, s[12:13]
	v_cndmask_b32_e64 v14, v18, v14, s[12:13]
	buffer_store_dword v36, off, s[0:3], 0
	buffer_store_dword v36, off, s[0:3], 0 offset:4
	buffer_store_dword v36, off, s[0:3], 0 offset:8
	;; [unrolled: 1-line block ×3, first 2 shown]
	v_mov_b32_e32 v18, 0
	v_mov_b32_e32 v16, 0
	;; [unrolled: 1-line block ×3, first 2 shown]
	s_cselect_b64 s[14:15], -1, 0
	v_cndmask_b32_e64 v31, 0, 1, s[14:15]
	v_cmp_ne_u32_e64 s[14:15], 1, v31
	s_waitcnt vmcnt(0) lgkmcnt(0)
	ds_write_b128 v38, v[2:5] offset:9216
	flat_load_dwordx4 v[2:5], v[14:15]
	v_mov_b32_e32 v14, 0
	v_mov_b32_e32 v15, 0
	s_waitcnt vmcnt(0) lgkmcnt(0)
	ds_write_b128 v38, v[2:5] offset:13824
	s_waitcnt lgkmcnt(0)
	s_barrier
	ds_read_b128 v[2:5], v30 offset:22528
	ds_read_b128 v[40:43], v37
	ds_read_b128 v[44:47], v37 offset:4608
	ds_read_b128 v[48:51], v37 offset:9216
	;; [unrolled: 1-line block ×4, first 2 shown]
	s_waitcnt lgkmcnt(4)
	;;#ASMSTART
	v_dot2_f32_f16 v34, v40, v2, v34
	;;#ASMEND
	;;#ASMSTART
	v_dot2_f32_f16 v34, v41, v3, v34
	;;#ASMEND
	;; [unrolled: 3-line block ×4, first 2 shown]
	s_waitcnt lgkmcnt(0)
	;;#ASMSTART
	v_dot2_f32_f16 v14, v40, v56, v14
	;;#ASMEND
	;;#ASMSTART
	v_dot2_f32_f16 v14, v41, v57, v14
	;;#ASMEND
	;; [unrolled: 3-line block ×28, first 2 shown]
	ds_read_b128 v[2:5], v30 offset:22544
	ds_read_b128 v[40:43], v37 offset:16
	;; [unrolled: 1-line block ×6, first 2 shown]
	s_waitcnt lgkmcnt(4)
	;;#ASMSTART
	v_dot2_f32_f16 v34, v40, v2, v34
	;;#ASMEND
	;;#ASMSTART
	v_dot2_f32_f16 v34, v41, v3, v34
	;;#ASMEND
	;; [unrolled: 3-line block ×4, first 2 shown]
	s_waitcnt lgkmcnt(0)
	;;#ASMSTART
	v_dot2_f32_f16 v14, v40, v56, v14
	;;#ASMEND
	;;#ASMSTART
	v_dot2_f32_f16 v14, v41, v57, v14
	;;#ASMEND
	;; [unrolled: 3-line block ×28, first 2 shown]
	ds_read_b128 v[2:5], v30 offset:22560
	ds_read_b128 v[40:43], v37 offset:32
	;; [unrolled: 1-line block ×6, first 2 shown]
	s_waitcnt lgkmcnt(4)
	;;#ASMSTART
	v_dot2_f32_f16 v34, v40, v2, v34
	;;#ASMEND
	;;#ASMSTART
	v_dot2_f32_f16 v34, v41, v3, v34
	;;#ASMEND
	;; [unrolled: 3-line block ×4, first 2 shown]
	s_waitcnt lgkmcnt(0)
	;;#ASMSTART
	v_dot2_f32_f16 v14, v40, v56, v14
	;;#ASMEND
	;;#ASMSTART
	v_dot2_f32_f16 v14, v41, v57, v14
	;;#ASMEND
	;; [unrolled: 3-line block ×28, first 2 shown]
	ds_read_b128 v[2:5], v30 offset:22576
	ds_read_b128 v[40:43], v37 offset:48
	ds_read_b128 v[44:47], v37 offset:4656
	ds_read_b128 v[48:51], v37 offset:9264
	ds_read_b128 v[52:55], v37 offset:13872
	ds_read_b128 v[56:59], v30 offset:22704
	s_waitcnt lgkmcnt(4)
	;;#ASMSTART
	v_dot2_f32_f16 v34, v40, v2, v34
	;;#ASMEND
	;;#ASMSTART
	v_dot2_f32_f16 v34, v41, v3, v34
	;;#ASMEND
	;; [unrolled: 3-line block ×4, first 2 shown]
	s_waitcnt lgkmcnt(0)
	;;#ASMSTART
	v_dot2_f32_f16 v14, v40, v56, v14
	;;#ASMEND
	;;#ASMSTART
	v_dot2_f32_f16 v14, v41, v57, v14
	;;#ASMEND
	;; [unrolled: 3-line block ×28, first 2 shown]
	ds_read_b128 v[2:5], v30 offset:22592
	ds_read_b128 v[40:43], v37 offset:64
	;; [unrolled: 1-line block ×6, first 2 shown]
	s_waitcnt lgkmcnt(4)
	;;#ASMSTART
	v_dot2_f32_f16 v34, v40, v2, v34
	;;#ASMEND
	;;#ASMSTART
	v_dot2_f32_f16 v34, v41, v3, v34
	;;#ASMEND
	;; [unrolled: 3-line block ×4, first 2 shown]
	s_waitcnt lgkmcnt(0)
	;;#ASMSTART
	v_dot2_f32_f16 v14, v40, v56, v14
	;;#ASMEND
	;;#ASMSTART
	v_dot2_f32_f16 v14, v41, v57, v14
	;;#ASMEND
	;; [unrolled: 3-line block ×28, first 2 shown]
	ds_read_b128 v[2:5], v30 offset:22608
	ds_read_b128 v[40:43], v37 offset:80
	;; [unrolled: 1-line block ×6, first 2 shown]
	s_waitcnt lgkmcnt(4)
	;;#ASMSTART
	v_dot2_f32_f16 v34, v40, v2, v34
	;;#ASMEND
	;;#ASMSTART
	v_dot2_f32_f16 v34, v41, v3, v34
	;;#ASMEND
	;; [unrolled: 3-line block ×4, first 2 shown]
	s_waitcnt lgkmcnt(0)
	;;#ASMSTART
	v_dot2_f32_f16 v14, v40, v56, v14
	;;#ASMEND
	;;#ASMSTART
	v_dot2_f32_f16 v14, v41, v57, v14
	;;#ASMEND
	;; [unrolled: 3-line block ×28, first 2 shown]
	ds_read_b128 v[2:5], v30 offset:22624
	ds_read_b128 v[40:43], v37 offset:96
	;; [unrolled: 1-line block ×6, first 2 shown]
	s_waitcnt lgkmcnt(4)
	;;#ASMSTART
	v_dot2_f32_f16 v34, v40, v2, v34
	;;#ASMEND
	;;#ASMSTART
	v_dot2_f32_f16 v34, v41, v3, v34
	;;#ASMEND
	;; [unrolled: 3-line block ×4, first 2 shown]
	s_waitcnt lgkmcnt(0)
	;;#ASMSTART
	v_dot2_f32_f16 v14, v40, v56, v14
	;;#ASMEND
	;;#ASMSTART
	v_dot2_f32_f16 v14, v41, v57, v14
	;;#ASMEND
	;; [unrolled: 3-line block ×28, first 2 shown]
	ds_read_b128 v[2:5], v30 offset:22640
	ds_read_b128 v[40:43], v37 offset:112
	;; [unrolled: 1-line block ×6, first 2 shown]
	s_waitcnt lgkmcnt(4)
	;;#ASMSTART
	v_dot2_f32_f16 v34, v40, v2, v34
	;;#ASMEND
	;;#ASMSTART
	v_dot2_f32_f16 v34, v41, v3, v34
	;;#ASMEND
	;; [unrolled: 3-line block ×4, first 2 shown]
	s_waitcnt lgkmcnt(0)
	;;#ASMSTART
	v_dot2_f32_f16 v14, v40, v56, v14
	;;#ASMEND
	;;#ASMSTART
	v_dot2_f32_f16 v14, v41, v57, v14
	;;#ASMEND
	;; [unrolled: 3-line block ×26, first 2 shown]
	v_mov_b32_e32 v2, v6
	;;#ASMSTART
	v_dot2_f32_f16 v17, v54, v58, v17
	;;#ASMEND
	v_mov_b32_e32 v3, v7
	;;#ASMSTART
	v_dot2_f32_f16 v17, v55, v59, v17
	;;#ASMEND
	s_and_saveexec_b64 s[18:19], s[16:17]
	s_cbranch_execz .LBB59_35
; %bb.32:
	s_and_b64 vcc, exec, s[14:15]
	s_cbranch_vccnz .LBB59_34
; %bb.33:
	v_add_u32_e32 v2, v39, v0
	v_ashrrev_i32_e32 v3, 31, v2
	v_lshlrev_b64 v[2:3], 1, v[2:3]
	v_mov_b32_e32 v4, s35
	v_add_co_u32_e32 v2, vcc, s34, v2
	v_addc_co_u32_e32 v3, vcc, v4, v3, vcc
	global_load_ushort v2, v[2:3], off
	s_waitcnt vmcnt(0)
	v_cvt_f32_f16_e32 v2, v2
	v_mul_f32_e32 v36, v25, v2
.LBB59_34:
	v_add_f32_e32 v34, v34, v36
	v_add_f32_e32 v2, 0x40051340, v34
	v_max_f32_e32 v3, v6, v6
	v_max_f32_e32 v2, v3, v2
	v_mov_b32_e32 v3, v7
.LBB59_35:
	s_or_b64 exec, exec, s[18:19]
	v_add_u32_e32 v30, 32, v0
	v_cmp_gt_i32_e64 s[18:19], s41, v30
	s_and_saveexec_b64 s[20:21], s[18:19]
	s_cbranch_execz .LBB59_40
; %bb.36:
	s_and_b64 vcc, exec, s[14:15]
	s_cbranch_vccnz .LBB59_38
; %bb.37:
	v_ashrrev_i32_e32 v5, 31, v39
	v_add_co_u32_e32 v4, vcc, v39, v0
	v_addc_co_u32_e32 v5, vcc, 0, v5, vcc
	v_lshlrev_b64 v[4:5], 1, v[4:5]
	v_mov_b32_e32 v31, s35
	v_add_co_u32_e32 v4, vcc, s34, v4
	v_addc_co_u32_e32 v5, vcc, v31, v5, vcc
	global_load_ushort v4, v[4:5], off offset:64
	s_waitcnt vmcnt(0)
	v_cvt_f32_f16_e32 v4, v4
	v_mul_f32_e32 v4, v25, v4
	s_branch .LBB59_39
.LBB59_38:
	v_mov_b32_e32 v4, 0
.LBB59_39:
	v_add_f32_e32 v18, v18, v4
	v_add_f32_e32 v4, 0x40051340, v18
	v_max_f32_e32 v2, v2, v2
	v_max_f32_e32 v2, v2, v4
.LBB59_40:
	s_or_b64 exec, exec, s[20:21]
	v_add_u32_e32 v31, 64, v0
	v_cmp_gt_i32_e64 s[20:21], s41, v31
	s_and_saveexec_b64 s[22:23], s[20:21]
	s_cbranch_execz .LBB59_45
; %bb.41:
	s_and_b64 vcc, exec, s[14:15]
	s_cbranch_vccnz .LBB59_43
; %bb.42:
	v_ashrrev_i32_e32 v5, 31, v39
	v_add_co_u32_e32 v4, vcc, v39, v0
	v_addc_co_u32_e32 v5, vcc, 0, v5, vcc
	v_lshlrev_b64 v[4:5], 1, v[4:5]
	v_mov_b32_e32 v36, s35
	v_add_co_u32_e32 v4, vcc, s34, v4
	v_addc_co_u32_e32 v5, vcc, v36, v5, vcc
	global_load_ushort v4, v[4:5], off offset:128
	s_waitcnt vmcnt(0)
	v_cvt_f32_f16_e32 v4, v4
	v_mul_f32_e32 v4, v25, v4
	s_branch .LBB59_44
.LBB59_43:
	v_mov_b32_e32 v4, 0
.LBB59_44:
	v_add_f32_e32 v19, v19, v4
	v_add_f32_e32 v4, 0x40051340, v19
	v_max_f32_e32 v2, v2, v2
	v_max_f32_e32 v2, v2, v4
.LBB59_45:
	s_or_b64 exec, exec, s[22:23]
	v_add_u32_e32 v41, 0x60, v0
	v_cmp_gt_i32_e64 s[22:23], s41, v41
	s_and_saveexec_b64 s[36:37], s[22:23]
	s_cbranch_execz .LBB59_50
; %bb.46:
	s_and_b64 vcc, exec, s[14:15]
	s_cbranch_vccnz .LBB59_48
; %bb.47:
	v_ashrrev_i32_e32 v5, 31, v39
	v_add_co_u32_e32 v4, vcc, v39, v0
	v_addc_co_u32_e32 v5, vcc, 0, v5, vcc
	v_lshlrev_b64 v[4:5], 1, v[4:5]
	v_mov_b32_e32 v36, s35
	v_add_co_u32_e32 v4, vcc, s34, v4
	v_addc_co_u32_e32 v5, vcc, v36, v5, vcc
	global_load_ushort v4, v[4:5], off offset:192
	s_waitcnt vmcnt(0)
	v_cvt_f32_f16_e32 v4, v4
	v_mul_f32_e32 v4, v25, v4
	s_branch .LBB59_49
.LBB59_48:
	v_mov_b32_e32 v4, 0
.LBB59_49:
	v_add_f32_e32 v35, v35, v4
	v_add_f32_e32 v4, 0x40051340, v35
	v_max_f32_e32 v2, v2, v2
	v_max_f32_e32 v2, v2, v4
.LBB59_50:
	s_or_b64 exec, exec, s[36:37]
	v_mbcnt_hi_u32_b32 v4, -1, v29
	v_and_b32_e32 v5, 0x60, v4
	v_add_u32_e32 v5, 32, v5
	v_xor_b32_e32 v39, 16, v4
	v_cmp_lt_i32_e32 vcc, v39, v5
	v_cndmask_b32_e32 v29, v4, v39, vcc
	v_lshlrev_b32_e32 v43, 2, v29
	ds_bpermute_b32 v29, v43, v2
	v_xor_b32_e32 v36, 8, v4
	v_cmp_lt_i32_e32 vcc, v36, v5
	v_cndmask_b32_e32 v37, v4, v36, vcc
	v_max_f32_e32 v2, v2, v2
	s_waitcnt lgkmcnt(0)
	v_max_f32_e32 v29, v29, v29
	v_lshlrev_b32_e32 v44, 2, v37
	v_max_f32_e32 v2, v2, v29
	ds_bpermute_b32 v29, v44, v2
	v_xor_b32_e32 v37, 4, v4
	v_cmp_lt_i32_e32 vcc, v37, v5
	v_cndmask_b32_e32 v38, v4, v37, vcc
	v_lshlrev_b32_e32 v42, 2, v38
	s_waitcnt lgkmcnt(0)
	v_max_f32_e32 v29, v29, v29
	v_max_f32_e32 v2, v2, v29
	ds_bpermute_b32 v45, v42, v2
	v_xor_b32_e32 v38, 2, v4
	v_cmp_lt_i32_e32 vcc, v38, v5
	v_cndmask_b32_e32 v29, v4, v38, vcc
	v_mul_hi_u32 v47, s28, v28
	s_waitcnt lgkmcnt(0)
	v_max_f32_e32 v45, v45, v45
	v_lshlrev_b32_e32 v29, 2, v29
	v_max_f32_e32 v2, v2, v45
	ds_bpermute_b32 v46, v29, v2
	v_add_u32_e32 v47, v28, v47
	v_xor_b32_e32 v40, 1, v4
	v_lshrrev_b32_e32 v47, s29, v47
	v_cmp_lt_i32_e32 vcc, v40, v5
	v_mul_lo_u32 v47, v47, s30
	v_cndmask_b32_e32 v45, v4, v40, vcc
	s_waitcnt lgkmcnt(0)
	v_max_f32_e32 v46, v46, v46
	v_lshlrev_b32_e32 v45, 2, v45
	v_max_f32_e32 v2, v2, v46
	ds_bpermute_b32 v46, v45, v2
	v_sub_u32_e32 v28, v28, v47
	v_mul_lo_u32 v28, v28, s43
	s_waitcnt lgkmcnt(0)
	v_max_f32_e32 v46, v46, v46
	v_max_f32_e32 v2, v2, v46
	v_add_u32_e32 v28, s40, v28
	s_and_saveexec_b64 s[28:29], s[16:17]
	s_cbranch_execnz .LBB59_54
; %bb.51:
	s_or_b64 exec, exec, s[28:29]
	s_and_saveexec_b64 s[16:17], s[18:19]
	s_cbranch_execnz .LBB59_58
.LBB59_52:
	s_or_b64 exec, exec, s[16:17]
	s_and_saveexec_b64 s[16:17], s[20:21]
	s_cbranch_execnz .LBB59_62
.LBB59_53:
	s_or_b64 exec, exec, s[16:17]
	s_and_saveexec_b64 s[16:17], s[22:23]
	s_cbranch_execnz .LBB59_66
	s_branch .LBB59_70
.LBB59_54:
	s_and_b64 vcc, exec, s[14:15]
	s_cbranch_vccnz .LBB59_56
; %bb.55:
	v_add_u32_e32 v46, v28, v0
	v_ashrrev_i32_e32 v47, 31, v46
	v_lshlrev_b64 v[46:47], 1, v[46:47]
	v_mov_b32_e32 v48, s35
	v_add_co_u32_e32 v46, vcc, s34, v46
	v_addc_co_u32_e32 v47, vcc, v48, v47, vcc
	global_load_ushort v46, v[46:47], off
	s_waitcnt vmcnt(0)
	v_cvt_f32_f16_e32 v46, v46
	v_mul_f32_e32 v46, v25, v46
	s_branch .LBB59_57
.LBB59_56:
	v_mov_b32_e32 v46, 0
.LBB59_57:
	v_add_f32_e32 v14, v14, v46
	v_add_f32_e32 v46, 0x40051340, v14
	v_max_f32_e32 v3, v3, v3
	v_max_f32_e32 v3, v3, v46
	s_or_b64 exec, exec, s[28:29]
	s_and_saveexec_b64 s[16:17], s[18:19]
	s_cbranch_execz .LBB59_52
.LBB59_58:
	s_and_b64 vcc, exec, s[14:15]
	s_cbranch_vccnz .LBB59_60
; %bb.59:
	v_ashrrev_i32_e32 v47, 31, v28
	v_add_co_u32_e32 v46, vcc, v28, v0
	v_addc_co_u32_e32 v47, vcc, 0, v47, vcc
	v_lshlrev_b64 v[46:47], 1, v[46:47]
	v_mov_b32_e32 v48, s35
	v_add_co_u32_e32 v46, vcc, s34, v46
	v_addc_co_u32_e32 v47, vcc, v48, v47, vcc
	global_load_ushort v46, v[46:47], off offset:64
	s_waitcnt vmcnt(0)
	v_cvt_f32_f16_e32 v46, v46
	v_mul_f32_e32 v46, v25, v46
	s_branch .LBB59_61
.LBB59_60:
	v_mov_b32_e32 v46, 0
.LBB59_61:
	v_add_f32_e32 v15, v15, v46
	v_add_f32_e32 v46, 0x40051340, v15
	v_max_f32_e32 v3, v3, v3
	v_max_f32_e32 v3, v3, v46
	s_or_b64 exec, exec, s[16:17]
	s_and_saveexec_b64 s[16:17], s[20:21]
	s_cbranch_execz .LBB59_53
.LBB59_62:
	s_and_b64 vcc, exec, s[14:15]
	s_cbranch_vccnz .LBB59_64
; %bb.63:
	v_ashrrev_i32_e32 v47, 31, v28
	v_add_co_u32_e32 v46, vcc, v28, v0
	v_addc_co_u32_e32 v47, vcc, 0, v47, vcc
	v_lshlrev_b64 v[46:47], 1, v[46:47]
	v_mov_b32_e32 v48, s35
	v_add_co_u32_e32 v46, vcc, s34, v46
	v_addc_co_u32_e32 v47, vcc, v48, v47, vcc
	global_load_ushort v46, v[46:47], off offset:128
	s_waitcnt vmcnt(0)
	v_cvt_f32_f16_e32 v46, v46
	v_mul_f32_e32 v46, v25, v46
	s_branch .LBB59_65
.LBB59_64:
	v_mov_b32_e32 v46, 0
.LBB59_65:
	v_add_f32_e32 v16, v16, v46
	v_add_f32_e32 v46, 0x40051340, v16
	v_max_f32_e32 v3, v3, v3
	v_max_f32_e32 v3, v3, v46
	s_or_b64 exec, exec, s[16:17]
	s_and_saveexec_b64 s[16:17], s[22:23]
	s_cbranch_execz .LBB59_70
.LBB59_66:
	s_and_b64 vcc, exec, s[14:15]
	s_cbranch_vccnz .LBB59_68
; %bb.67:
	v_ashrrev_i32_e32 v47, 31, v28
	v_add_co_u32_e32 v46, vcc, v28, v0
	v_addc_co_u32_e32 v47, vcc, 0, v47, vcc
	v_lshlrev_b64 v[46:47], 1, v[46:47]
	v_mov_b32_e32 v28, s35
	v_add_co_u32_e32 v46, vcc, s34, v46
	v_addc_co_u32_e32 v47, vcc, v28, v47, vcc
	global_load_ushort v28, v[46:47], off offset:192
	s_waitcnt vmcnt(0)
	v_cvt_f32_f16_e32 v28, v28
	v_mul_f32_e32 v25, v25, v28
	s_branch .LBB59_69
.LBB59_68:
	v_mov_b32_e32 v25, 0
.LBB59_69:
	v_add_f32_e32 v17, v17, v25
	v_add_f32_e32 v25, 0x40051340, v17
	v_max_f32_e32 v3, v3, v3
	v_max_f32_e32 v3, v3, v25
.LBB59_70:
	s_or_b64 exec, exec, s[16:17]
	ds_bpermute_b32 v25, v43, v3
	v_max_f32_e32 v3, v3, v3
	s_mov_b64 s[22:23], src_private_base
	v_sub_f32_e32 v28, v34, v2
	s_mov_b32 s22, 0x3fb8aa3b
	s_waitcnt lgkmcnt(0)
	v_max_f32_e32 v25, v25, v25
	v_max_f32_e32 v3, v3, v25
	ds_bpermute_b32 v25, v44, v3
	v_mul_f32_e32 v34, 0x3fb8aa3b, v28
	v_rndne_f32_e32 v43, v34
	s_mov_b32 s28, 0xc2ce8ed0
	v_cmp_ngt_f32_e32 vcc, s28, v28
	s_waitcnt lgkmcnt(0)
	v_max_f32_e32 v25, v25, v25
	v_max_f32_e32 v3, v3, v25
	ds_bpermute_b32 v25, v42, v3
	v_fma_f32 v42, v28, s22, -v34
	v_fmac_f32_e32 v42, 0x32a5705f, v28
	s_mov_b32 s29, 0x42b17218
	v_lshlrev_b32_e32 v1, 9, v1
	s_waitcnt lgkmcnt(0)
	v_max_f32_e32 v25, v25, v25
	v_max_f32_e32 v3, v3, v25
	ds_bpermute_b32 v25, v29, v3
	v_sub_f32_e32 v29, v34, v43
	v_add_f32_e32 v29, v29, v42
	v_cvt_i32_f32_e32 v34, v43
	v_exp_f32_e32 v29, v29
	s_waitcnt lgkmcnt(0)
	v_max_f32_e32 v25, v25, v25
	v_max_f32_e32 v3, v3, v25
	ds_bpermute_b32 v25, v45, v3
	v_ldexp_f32 v29, v29, v34
	v_cndmask_b32_e32 v29, 0, v29, vcc
	v_cmp_nlt_f32_e32 vcc, s29, v28
	s_waitcnt lgkmcnt(0)
	v_max_f32_e32 v25, v25, v25
	v_max_f32_e32 v3, v3, v25
	v_mov_b32_e32 v25, 0x7f800000
	v_cndmask_b32_e32 v28, v25, v29, vcc
	v_sub_f32_e32 v29, v18, v2
	v_mul_f32_e32 v18, 0x3fb8aa3b, v29
	v_fma_f32 v34, v29, s22, -v18
	v_rndne_f32_e32 v42, v18
	v_fmac_f32_e32 v34, 0x32a5705f, v29
	v_sub_f32_e32 v18, v18, v42
	v_add_f32_e32 v18, v18, v34
	v_exp_f32_e32 v34, v18
	v_cvt_i32_f32_e32 v42, v42
	v_cmp_gt_u32_e32 vcc, s41, v0
	v_cndmask_b32_e32 v18, 0, v28, vcc
	v_cmp_ngt_f32_e64 s[14:15], s28, v29
	v_ldexp_f32 v28, v34, v42
	v_cndmask_b32_e64 v28, 0, v28, s[14:15]
	v_cmp_nlt_f32_e64 s[14:15], s29, v29
	v_sub_f32_e32 v29, v19, v2
	v_mul_f32_e32 v19, 0x3fb8aa3b, v29
	v_fma_f32 v34, v29, s22, -v19
	v_rndne_f32_e32 v42, v19
	v_fmac_f32_e32 v34, 0x32a5705f, v29
	v_sub_f32_e32 v19, v19, v42
	v_add_f32_e32 v19, v19, v34
	v_exp_f32_e32 v34, v19
	v_cvt_i32_f32_e32 v42, v42
	v_cndmask_b32_e64 v28, v25, v28, s[14:15]
	v_cmp_gt_u32_e64 s[14:15], s41, v30
	v_cndmask_b32_e64 v19, 0, v28, s[14:15]
	v_ldexp_f32 v28, v34, v42
	v_cmp_ngt_f32_e64 s[16:17], s28, v29
	v_cndmask_b32_e64 v28, 0, v28, s[16:17]
	v_cmp_nlt_f32_e64 s[16:17], s29, v29
	v_sub_f32_e32 v29, v35, v2
	v_mul_f32_e32 v34, 0x3fb8aa3b, v29
	v_fma_f32 v35, v29, s22, -v34
	v_rndne_f32_e32 v42, v34
	v_fmac_f32_e32 v35, 0x32a5705f, v29
	v_sub_f32_e32 v34, v34, v42
	v_add_f32_e32 v34, v34, v35
	v_exp_f32_e32 v34, v34
	v_cvt_i32_f32_e32 v35, v42
	v_cmp_ngt_f32_e64 s[18:19], s28, v29
	v_cvt_f16_f32_e32 v43, v18
	v_cndmask_b32_e64 v28, v25, v28, s[16:17]
	v_ldexp_f32 v34, v34, v35
	v_cndmask_b32_e64 v34, 0, v34, s[18:19]
	v_cmp_nlt_f32_e64 s[18:19], s29, v29
	v_cndmask_b32_e64 v29, v25, v34, s[18:19]
	v_sub_f32_e32 v34, v14, v3
	v_mul_f32_e32 v14, 0x3fb8aa3b, v34
	v_fma_f32 v35, v34, s22, -v14
	v_rndne_f32_e32 v45, v14
	v_fmac_f32_e32 v35, 0x32a5705f, v34
	v_sub_f32_e32 v14, v14, v45
	v_add_f32_e32 v14, v14, v35
	v_exp_f32_e32 v35, v14
	v_cvt_i32_f32_e32 v45, v45
	v_cmp_gt_u32_e64 s[18:19], s41, v41
	v_cndmask_b32_e64 v14, 0, v29, s[18:19]
	v_cmp_ngt_f32_e64 s[20:21], s28, v34
	v_ldexp_f32 v29, v35, v45
	v_sub_f32_e32 v35, v15, v3
	v_mul_f32_e32 v15, 0x3fb8aa3b, v35
	v_fma_f32 v45, v35, s22, -v15
	v_rndne_f32_e32 v47, v15
	v_fmac_f32_e32 v45, 0x32a5705f, v35
	v_sub_f32_e32 v15, v15, v47
	v_add_f32_e32 v15, v15, v45
	v_exp_f32_e32 v45, v15
	v_cvt_i32_f32_e32 v47, v47
	v_cndmask_b32_e64 v29, 0, v29, s[20:21]
	v_cmp_nlt_f32_e64 s[20:21], s29, v34
	v_cndmask_b32_e64 v15, v25, v29, s[20:21]
	v_ldexp_f32 v29, v45, v47
	v_sub_f32_e32 v45, v16, v3
	v_mul_f32_e32 v16, 0x3fb8aa3b, v45
	v_fma_f32 v47, v45, s22, -v16
	v_rndne_f32_e32 v48, v16
	v_fmac_f32_e32 v47, 0x32a5705f, v45
	v_sub_f32_e32 v16, v16, v48
	v_add_f32_e32 v16, v16, v47
	v_exp_f32_e32 v47, v16
	v_cvt_i32_f32_e32 v48, v48
	v_cndmask_b32_e32 v15, 0, v15, vcc
	v_cmp_ngt_f32_e32 vcc, s28, v35
	v_cndmask_b32_e32 v29, 0, v29, vcc
	v_cmp_nlt_f32_e32 vcc, s29, v35
	v_cndmask_b32_e32 v16, v25, v29, vcc
	v_ldexp_f32 v29, v47, v48
	v_sub_f32_e32 v47, v17, v3
	v_mul_f32_e32 v17, 0x3fb8aa3b, v47
	v_fma_f32 v48, v47, s22, -v17
	v_rndne_f32_e32 v49, v17
	v_fmac_f32_e32 v48, 0x32a5705f, v47
	v_sub_f32_e32 v17, v17, v49
	v_add_f32_e32 v17, v17, v48
	v_exp_f32_e32 v48, v17
	v_cvt_i32_f32_e32 v49, v49
	v_cmp_ngt_f32_e32 vcc, s28, v45
	v_cndmask_b32_e32 v29, 0, v29, vcc
	v_cmp_nlt_f32_e32 vcc, s29, v45
	v_cndmask_b32_e32 v17, v25, v29, vcc
	v_ldexp_f32 v29, v48, v49
	v_cmp_ngt_f32_e32 vcc, s28, v47
	v_cmp_gt_u32_e64 s[16:17], s41, v31
	v_cvt_f16_f32_e32 v34, v15
	v_cndmask_b32_e64 v16, 0, v16, s[14:15]
	v_cndmask_b32_e32 v29, 0, v29, vcc
	v_cmp_nlt_f32_e32 vcc, s29, v47
	v_cvt_f16_f32_e32 v44, v19
	v_cndmask_b32_e64 v28, 0, v28, s[16:17]
	v_cvt_f16_f32_e32 v35, v16
	v_cndmask_b32_e64 v17, 0, v17, s[16:17]
	v_cndmask_b32_e32 v29, v25, v29, vcc
	v_cvt_f16_f32_e32 v42, v28
	v_cvt_f16_f32_e32 v45, v17
	v_cndmask_b32_e64 v29, 0, v29, s[18:19]
	v_cvt_f16_f32_e32 v46, v14
	v_cvt_f16_f32_e32 v47, v29
	v_add_u32_e32 v48, 0x4800, v1
	v_add_u32_e32 v49, v48, v24
	v_pack_b32_f16 v34, v43, v34
	s_barrier
	ds_write_b32 v49, v34
	v_lshl_add_u32 v30, v30, 2, v48
	v_pack_b32_f16 v34, v44, v35
	ds_write_b32 v30, v34
	v_lshl_add_u32 v30, v31, 2, v48
	v_pack_b32_f16 v31, v42, v45
	;; [unrolled: 3-line block ×3, first 2 shown]
	ds_write_b32 v30, v31
	v_mul_lo_u32 v30, s8, v9
	s_mul_hi_i32 s15, s40, s8
	s_mul_i32 s14, s40, s8
	s_lshl_b64 s[14:15], s[14:15], 2
	v_ashrrev_i32_e32 v31, 31, v30
	s_add_u32 s14, s38, s14
	v_lshlrev_b64 v[34:35], 2, v[30:31]
	s_addc_u32 s15, s39, s15
	v_mov_b32_e32 v31, s15
	v_add_co_u32_e32 v34, vcc, s14, v34
	v_addc_co_u32_e32 v31, vcc, v31, v35, vcc
	v_add_co_u32_e32 v34, vcc, v34, v8
	v_mov_b32_e32 v45, 0
	v_addc_co_u32_e32 v31, vcc, 0, v31, vcc
	v_mov_b32_e32 v46, s23
	v_mov_b32_e32 v47, 0
	buffer_store_dword v45, off, s[0:3], 0
	buffer_store_dword v45, off, s[0:3], 0 offset:4
	buffer_store_dword v45, off, s[0:3], 0 offset:8
	;; [unrolled: 1-line block ×3, first 2 shown]
	v_cndmask_b32_e64 v35, v46, v31, s[6:7]
	v_cndmask_b32_e64 v34, v47, v34, s[6:7]
	flat_load_dwordx4 v[41:44], v[34:35]
	s_lshl_b32 s6, s8, 5
	v_add_u32_e32 v30, s6, v30
	v_ashrrev_i32_e32 v31, 31, v30
	v_lshlrev_b64 v[34:35], 2, v[30:31]
	v_mov_b32_e32 v31, s15
	v_add_co_u32_e32 v34, vcc, s14, v34
	v_addc_co_u32_e32 v31, vcc, v31, v35, vcc
	v_add_co_u32_e32 v34, vcc, v34, v8
	v_lshl_or_b32 v9, v9, 7, v8
	v_addc_co_u32_e32 v31, vcc, 0, v31, vcc
	v_cndmask_b32_e64 v35, v46, v31, s[24:25]
	v_cndmask_b32_e64 v34, v47, v34, s[24:25]
	v_add_u32_e32 v30, s6, v30
	v_ashrrev_i32_e32 v31, 31, v30
	v_sub_f32_e32 v6, v6, v2
	v_sub_f32_e32 v7, v7, v3
	v_add_u32_e32 v67, 0x800, v24
	s_waitcnt vmcnt(0) lgkmcnt(0)
	ds_write_b128 v9, v[41:44]
	buffer_store_dword v45, off, s[0:3], 0
	buffer_store_dword v45, off, s[0:3], 0 offset:4
	buffer_store_dword v45, off, s[0:3], 0 offset:8
	;; [unrolled: 1-line block ×3, first 2 shown]
	flat_load_dwordx4 v[41:44], v[34:35]
	v_lshlrev_b64 v[34:35], 2, v[30:31]
	v_lshl_or_b32 v9, v11, 7, v8
	v_mov_b32_e32 v11, s15
	v_add_co_u32_e32 v31, vcc, s14, v34
	v_addc_co_u32_e32 v11, vcc, v11, v35, vcc
	v_add_co_u32_e32 v31, vcc, v31, v8
	v_addc_co_u32_e32 v11, vcc, 0, v11, vcc
	v_cndmask_b32_e64 v35, v46, v11, s[10:11]
	v_cndmask_b32_e64 v34, v47, v31, s[10:11]
	v_add_u32_e32 v30, s6, v30
	v_ashrrev_i32_e32 v31, 31, v30
	v_lshlrev_b64 v[30:31], 2, v[30:31]
	v_mov_b32_e32 v11, s15
	s_mov_b32 s6, 0x10001
	s_waitcnt vmcnt(0) lgkmcnt(0)
	ds_write_b128 v9, v[41:44]
	buffer_store_dword v45, off, s[0:3], 0
	buffer_store_dword v45, off, s[0:3], 0 offset:4
	buffer_store_dword v45, off, s[0:3], 0 offset:8
	;; [unrolled: 1-line block ×3, first 2 shown]
	flat_load_dwordx4 v[41:44], v[34:35]
	v_lshl_or_b32 v9, v13, 7, v8
	v_add_co_u32_e32 v13, vcc, s14, v30
	v_addc_co_u32_e32 v11, vcc, v11, v31, vcc
	v_add_co_u32_e32 v13, vcc, v13, v8
	v_addc_co_u32_e32 v11, vcc, 0, v11, vcc
	v_cndmask_b32_e64 v31, v46, v11, s[12:13]
	v_cndmask_b32_e64 v30, v47, v13, s[12:13]
	buffer_store_dword v45, off, s[0:3], 0
	buffer_store_dword v45, off, s[0:3], 0 offset:4
	buffer_store_dword v45, off, s[0:3], 0 offset:8
	;; [unrolled: 1-line block ×3, first 2 shown]
	v_lshl_or_b32 v8, v12, 7, v8
	v_cmp_ngt_f32_e32 vcc, s28, v6
	v_mul_f32_e32 v12, 0x3fb8aa3b, v7
	v_add_u32_e32 v45, 0x400, v24
	s_waitcnt vmcnt(0) lgkmcnt(0)
	ds_write_b128 v9, v[41:44]
	flat_load_dwordx4 v[41:44], v[30:31]
	v_mul_f32_e32 v9, 0x3fb8aa3b, v6
	v_fma_f32 v11, v6, s22, -v9
	v_rndne_f32_e32 v13, v9
	v_fmac_f32_e32 v11, 0x32a5705f, v6
	v_sub_f32_e32 v9, v9, v13
	v_add_f32_e32 v9, v9, v11
	v_cvt_i32_f32_e32 v13, v13
	v_exp_f32_e32 v9, v9
	v_ldexp_f32 v9, v9, v13
	v_cndmask_b32_e32 v9, 0, v9, vcc
	v_cmp_nlt_f32_e32 vcc, s29, v6
	v_add_f32_e32 v6, v18, v19
	v_fma_f32 v13, v7, s22, -v12
	v_rndne_f32_e32 v18, v12
	v_fmac_f32_e32 v13, 0x32a5705f, v7
	v_sub_f32_e32 v12, v12, v18
	v_add_f32_e32 v12, v12, v13
	v_cvt_i32_f32_e32 v18, v18
	v_exp_f32_e32 v12, v12
	v_cndmask_b32_e32 v9, v25, v9, vcc
	v_add_f32_e32 v6, v28, v6
	v_cvt_f16_f32_e32 v11, v9
	v_add_f32_e32 v6, v14, v6
	v_fmac_f32_e32 v6, v32, v9
	v_ldexp_f32 v9, v12, v18
	v_cmp_ngt_f32_e32 vcc, s28, v7
	v_cndmask_b32_e32 v9, 0, v9, vcc
	v_cmp_nlt_f32_e32 vcc, s29, v7
	v_cndmask_b32_e32 v9, v25, v9, vcc
	v_mul_u32_u24_e32 v19, 0x10001, v11
	v_cvt_f16_f32_e32 v11, v9
	v_add_f32_e32 v7, v15, v16
	v_add_f32_e32 v7, v17, v7
	v_add_f32_e32 v7, v29, v7
	v_fmac_f32_e32 v7, v33, v9
	v_mul_u32_u24_e32 v25, 0x10001, v11
	s_waitcnt vmcnt(0) lgkmcnt(0)
	ds_write_b128 v8, v[41:44]
	s_waitcnt lgkmcnt(0)
	s_barrier
	ds_read2_b32 v[8:9], v24 offset1:32
	ds_read2_b32 v[49:50], v24 offset0:64 offset1:96
	ds_read2_b32 v[51:52], v24 offset0:128 offset1:160
	ds_read_b128 v[11:14], v1 offset:18432
	ds_read_b128 v[15:18], v1 offset:18448
	ds_read2_b32 v[53:54], v24 offset0:192 offset1:224
	ds_read2_b32 v[55:56], v45 offset1:32
	ds_read2_b32 v[57:58], v45 offset0:64 offset1:96
	ds_read2_b32 v[59:60], v45 offset0:128 offset1:160
	ds_read_b128 v[28:31], v1 offset:18464
	ds_read_b128 v[32:35], v1 offset:18480
	ds_read2_b32 v[61:62], v45 offset0:192 offset1:224
	ds_read2_b32 v[63:64], v67 offset1:32
	ds_read2_b32 v[65:66], v67 offset0:64 offset1:96
	ds_read_b128 v[41:44], v1 offset:18496
	ds_read_b128 v[45:48], v1 offset:18512
	s_waitcnt lgkmcnt(12)
	v_mul_u32_u24_sdwa v68, v11, s6 dst_sel:DWORD dst_unused:UNUSED_PAD src0_sel:WORD_0 src1_sel:DWORD
	v_mul_u32_u24_sdwa v11, v11, s6 dst_sel:DWORD dst_unused:UNUSED_PAD src0_sel:WORD_1 src1_sel:DWORD
	v_pk_mul_f16 v68, v8, v68
	v_pk_mul_f16 v8, v8, v11
	v_mul_u32_u24_sdwa v69, v12, s6 dst_sel:DWORD dst_unused:UNUSED_PAD src0_sel:WORD_0 src1_sel:DWORD
	v_mul_u32_u24_sdwa v12, v12, s6 dst_sel:DWORD dst_unused:UNUSED_PAD src0_sel:WORD_1 src1_sel:DWORD
	v_pk_fma_f16 v11, v27, v19, v68
	v_pk_fma_f16 v8, v26, v25, v8
	v_mul_u32_u24_sdwa v70, v13, s6 dst_sel:DWORD dst_unused:UNUSED_PAD src0_sel:WORD_0 src1_sel:DWORD
	v_mul_u32_u24_sdwa v13, v13, s6 dst_sel:DWORD dst_unused:UNUSED_PAD src0_sel:WORD_1 src1_sel:DWORD
	v_pk_fma_f16 v11, v9, v69, v11
	v_pk_fma_f16 v8, v9, v12, v8
	v_mul_u32_u24_sdwa v71, v14, s6 dst_sel:DWORD dst_unused:UNUSED_PAD src0_sel:WORD_0 src1_sel:DWORD
	v_mul_u32_u24_sdwa v14, v14, s6 dst_sel:DWORD dst_unused:UNUSED_PAD src0_sel:WORD_1 src1_sel:DWORD
	v_pk_fma_f16 v9, v49, v70, v11
	v_pk_fma_f16 v8, v49, v13, v8
	s_waitcnt lgkmcnt(11)
	v_mul_u32_u24_sdwa v72, v15, s6 dst_sel:DWORD dst_unused:UNUSED_PAD src0_sel:WORD_0 src1_sel:DWORD
	v_mul_u32_u24_sdwa v15, v15, s6 dst_sel:DWORD dst_unused:UNUSED_PAD src0_sel:WORD_1 src1_sel:DWORD
	v_pk_fma_f16 v9, v50, v71, v9
	v_pk_fma_f16 v8, v50, v14, v8
	v_mul_u32_u24_sdwa v73, v16, s6 dst_sel:DWORD dst_unused:UNUSED_PAD src0_sel:WORD_0 src1_sel:DWORD
	v_mul_u32_u24_sdwa v16, v16, s6 dst_sel:DWORD dst_unused:UNUSED_PAD src0_sel:WORD_1 src1_sel:DWORD
	v_pk_fma_f16 v9, v51, v72, v9
	v_pk_fma_f16 v8, v51, v15, v8
	;; [unrolled: 4-line block ×3, first 2 shown]
	v_mul_u32_u24_sdwa v75, v18, s6 dst_sel:DWORD dst_unused:UNUSED_PAD src0_sel:WORD_0 src1_sel:DWORD
	v_mul_u32_u24_sdwa v18, v18, s6 dst_sel:DWORD dst_unused:UNUSED_PAD src0_sel:WORD_1 src1_sel:DWORD
	s_waitcnt lgkmcnt(10)
	v_pk_fma_f16 v9, v53, v74, v9
	v_pk_fma_f16 v8, v53, v17, v8
	s_waitcnt lgkmcnt(6)
	v_mul_u32_u24_sdwa v76, v28, s6 dst_sel:DWORD dst_unused:UNUSED_PAD src0_sel:WORD_0 src1_sel:DWORD
	v_mul_u32_u24_sdwa v28, v28, s6 dst_sel:DWORD dst_unused:UNUSED_PAD src0_sel:WORD_1 src1_sel:DWORD
	v_pk_fma_f16 v9, v54, v75, v9
	v_pk_fma_f16 v8, v54, v18, v8
	v_mul_u32_u24_sdwa v77, v29, s6 dst_sel:DWORD dst_unused:UNUSED_PAD src0_sel:WORD_0 src1_sel:DWORD
	v_mul_u32_u24_sdwa v29, v29, s6 dst_sel:DWORD dst_unused:UNUSED_PAD src0_sel:WORD_1 src1_sel:DWORD
	v_pk_fma_f16 v9, v55, v76, v9
	v_pk_fma_f16 v8, v55, v28, v8
	;; [unrolled: 4-line block ×4, first 2 shown]
	s_waitcnt lgkmcnt(5)
	v_mul_u32_u24_sdwa v80, v32, s6 dst_sel:DWORD dst_unused:UNUSED_PAD src0_sel:WORD_0 src1_sel:DWORD
	v_mul_u32_u24_sdwa v32, v32, s6 dst_sel:DWORD dst_unused:UNUSED_PAD src0_sel:WORD_1 src1_sel:DWORD
	v_pk_fma_f16 v9, v58, v79, v9
	v_pk_fma_f16 v8, v58, v31, v8
	v_mul_u32_u24_sdwa v81, v33, s6 dst_sel:DWORD dst_unused:UNUSED_PAD src0_sel:WORD_0 src1_sel:DWORD
	v_mul_u32_u24_sdwa v33, v33, s6 dst_sel:DWORD dst_unused:UNUSED_PAD src0_sel:WORD_1 src1_sel:DWORD
	v_pk_fma_f16 v9, v59, v80, v9
	v_pk_fma_f16 v8, v59, v32, v8
	;; [unrolled: 4-line block ×3, first 2 shown]
	v_mul_u32_u24_sdwa v83, v35, s6 dst_sel:DWORD dst_unused:UNUSED_PAD src0_sel:WORD_0 src1_sel:DWORD
	v_mul_u32_u24_sdwa v35, v35, s6 dst_sel:DWORD dst_unused:UNUSED_PAD src0_sel:WORD_1 src1_sel:DWORD
	s_waitcnt lgkmcnt(4)
	v_pk_fma_f16 v9, v61, v82, v9
	v_pk_fma_f16 v8, v61, v34, v8
	s_waitcnt lgkmcnt(1)
	v_mul_u32_u24_sdwa v84, v41, s6 dst_sel:DWORD dst_unused:UNUSED_PAD src0_sel:WORD_0 src1_sel:DWORD
	v_mul_u32_u24_sdwa v41, v41, s6 dst_sel:DWORD dst_unused:UNUSED_PAD src0_sel:WORD_1 src1_sel:DWORD
	v_pk_fma_f16 v9, v62, v83, v9
	v_pk_fma_f16 v8, v62, v35, v8
	v_mul_u32_u24_sdwa v85, v42, s6 dst_sel:DWORD dst_unused:UNUSED_PAD src0_sel:WORD_0 src1_sel:DWORD
	v_mul_u32_u24_sdwa v42, v42, s6 dst_sel:DWORD dst_unused:UNUSED_PAD src0_sel:WORD_1 src1_sel:DWORD
	v_pk_fma_f16 v9, v63, v84, v9
	v_pk_fma_f16 v8, v63, v41, v8
	;; [unrolled: 4-line block ×3, first 2 shown]
	v_pk_fma_f16 v11, v65, v86, v9
	v_pk_fma_f16 v12, v65, v43, v8
	ds_read2_b32 v[8:9], v67 offset0:128 offset1:160
	v_mul_u32_u24_sdwa v13, v44, s6 dst_sel:DWORD dst_unused:UNUSED_PAD src0_sel:WORD_0 src1_sel:DWORD
	v_mul_u32_u24_sdwa v14, v44, s6 dst_sel:DWORD dst_unused:UNUSED_PAD src0_sel:WORD_1 src1_sel:DWORD
	v_pk_fma_f16 v11, v66, v13, v11
	v_pk_fma_f16 v12, v66, v14, v12
	s_waitcnt lgkmcnt(1)
	v_mul_u32_u24_sdwa v13, v45, s6 dst_sel:DWORD dst_unused:UNUSED_PAD src0_sel:WORD_0 src1_sel:DWORD
	v_mul_u32_u24_sdwa v14, v45, s6 dst_sel:DWORD dst_unused:UNUSED_PAD src0_sel:WORD_1 src1_sel:DWORD
	s_waitcnt lgkmcnt(0)
	v_pk_fma_f16 v11, v8, v13, v11
	v_pk_fma_f16 v8, v8, v14, v12
	ds_read2_b32 v[14:15], v67 offset0:192 offset1:224
	v_mul_u32_u24_sdwa v12, v46, s6 dst_sel:DWORD dst_unused:UNUSED_PAD src0_sel:WORD_0 src1_sel:DWORD
	v_mul_u32_u24_sdwa v13, v46, s6 dst_sel:DWORD dst_unused:UNUSED_PAD src0_sel:WORD_1 src1_sel:DWORD
	v_pk_fma_f16 v11, v9, v12, v11
	v_pk_fma_f16 v8, v9, v13, v8
	v_mul_u32_u24_sdwa v9, v47, s6 dst_sel:DWORD dst_unused:UNUSED_PAD src0_sel:WORD_0 src1_sel:DWORD
	v_mul_u32_u24_sdwa v12, v47, s6 dst_sel:DWORD dst_unused:UNUSED_PAD src0_sel:WORD_1 src1_sel:DWORD
	s_waitcnt lgkmcnt(0)
	v_pk_fma_f16 v9, v14, v9, v11
	v_pk_fma_f16 v16, v14, v12, v8
	v_mul_u32_u24_sdwa v8, v48, s6 dst_sel:DWORD dst_unused:UNUSED_PAD src0_sel:WORD_0 src1_sel:DWORD
	ds_read_b128 v[11:14], v1 offset:18528
	v_add_u32_e32 v25, 0xc00, v24
	v_pk_fma_f16 v19, v15, v8, v9
	ds_read2_b32 v[8:9], v25 offset1:32
	v_mul_u32_u24_sdwa v17, v48, s6 dst_sel:DWORD dst_unused:UNUSED_PAD src0_sel:WORD_1 src1_sel:DWORD
	v_pk_fma_f16 v26, v15, v17, v16
	ds_read_b128 v[15:18], v1 offset:18544
	s_waitcnt lgkmcnt(2)
	v_mul_u32_u24_sdwa v27, v11, s6 dst_sel:DWORD dst_unused:UNUSED_PAD src0_sel:WORD_0 src1_sel:DWORD
	v_mul_u32_u24_sdwa v11, v11, s6 dst_sel:DWORD dst_unused:UNUSED_PAD src0_sel:WORD_1 src1_sel:DWORD
	s_waitcnt lgkmcnt(1)
	v_pk_fma_f16 v19, v8, v27, v19
	v_pk_fma_f16 v8, v8, v11, v26
	v_mul_u32_u24_sdwa v26, v12, s6 dst_sel:DWORD dst_unused:UNUSED_PAD src0_sel:WORD_0 src1_sel:DWORD
	v_mul_u32_u24_sdwa v27, v12, s6 dst_sel:DWORD dst_unused:UNUSED_PAD src0_sel:WORD_1 src1_sel:DWORD
	ds_read2_b32 v[11:12], v25 offset0:64 offset1:96
	v_pk_fma_f16 v19, v9, v26, v19
	v_pk_fma_f16 v8, v9, v27, v8
	v_mul_u32_u24_sdwa v9, v13, s6 dst_sel:DWORD dst_unused:UNUSED_PAD src0_sel:WORD_0 src1_sel:DWORD
	v_mul_u32_u24_sdwa v13, v13, s6 dst_sel:DWORD dst_unused:UNUSED_PAD src0_sel:WORD_1 src1_sel:DWORD
	s_waitcnt lgkmcnt(0)
	v_pk_fma_f16 v19, v11, v9, v19
	v_pk_fma_f16 v11, v11, v13, v8
	ds_read2_b32 v[8:9], v25 offset0:128 offset1:160
	v_mul_u32_u24_sdwa v13, v14, s6 dst_sel:DWORD dst_unused:UNUSED_PAD src0_sel:WORD_0 src1_sel:DWORD
	v_mul_u32_u24_sdwa v14, v14, s6 dst_sel:DWORD dst_unused:UNUSED_PAD src0_sel:WORD_1 src1_sel:DWORD
	v_pk_fma_f16 v13, v12, v13, v19
	v_pk_fma_f16 v11, v12, v14, v11
	v_mul_u32_u24_sdwa v12, v15, s6 dst_sel:DWORD dst_unused:UNUSED_PAD src0_sel:WORD_0 src1_sel:DWORD
	v_mul_u32_u24_sdwa v14, v15, s6 dst_sel:DWORD dst_unused:UNUSED_PAD src0_sel:WORD_1 src1_sel:DWORD
	s_waitcnt lgkmcnt(0)
	v_pk_fma_f16 v12, v8, v12, v13
	v_pk_fma_f16 v8, v8, v14, v11
	ds_read2_b32 v[14:15], v25 offset0:192 offset1:224
	v_mul_u32_u24_sdwa v11, v16, s6 dst_sel:DWORD dst_unused:UNUSED_PAD src0_sel:WORD_0 src1_sel:DWORD
	v_mul_u32_u24_sdwa v13, v16, s6 dst_sel:DWORD dst_unused:UNUSED_PAD src0_sel:WORD_1 src1_sel:DWORD
	v_pk_fma_f16 v11, v9, v11, v12
	v_pk_fma_f16 v8, v9, v13, v8
	v_mul_u32_u24_sdwa v9, v17, s6 dst_sel:DWORD dst_unused:UNUSED_PAD src0_sel:WORD_0 src1_sel:DWORD
	v_mul_u32_u24_sdwa v12, v17, s6 dst_sel:DWORD dst_unused:UNUSED_PAD src0_sel:WORD_1 src1_sel:DWORD
	s_waitcnt lgkmcnt(0)
	v_pk_fma_f16 v9, v14, v9, v11
	v_pk_fma_f16 v16, v14, v12, v8
	v_mul_u32_u24_sdwa v8, v18, s6 dst_sel:DWORD dst_unused:UNUSED_PAD src0_sel:WORD_0 src1_sel:DWORD
	ds_read_b128 v[11:14], v1 offset:18560
	v_add_u32_e32 v25, 0x1000, v24
	v_pk_fma_f16 v19, v15, v8, v9
	ds_read2_b32 v[8:9], v25 offset1:32
	v_mul_u32_u24_sdwa v17, v18, s6 dst_sel:DWORD dst_unused:UNUSED_PAD src0_sel:WORD_1 src1_sel:DWORD
	v_pk_fma_f16 v26, v15, v17, v16
	ds_read_b128 v[15:18], v1 offset:18576
	s_waitcnt lgkmcnt(2)
	v_mul_u32_u24_sdwa v27, v11, s6 dst_sel:DWORD dst_unused:UNUSED_PAD src0_sel:WORD_0 src1_sel:DWORD
	v_mul_u32_u24_sdwa v11, v11, s6 dst_sel:DWORD dst_unused:UNUSED_PAD src0_sel:WORD_1 src1_sel:DWORD
	s_waitcnt lgkmcnt(1)
	v_pk_fma_f16 v19, v8, v27, v19
	v_pk_fma_f16 v8, v8, v11, v26
	v_mul_u32_u24_sdwa v26, v12, s6 dst_sel:DWORD dst_unused:UNUSED_PAD src0_sel:WORD_0 src1_sel:DWORD
	v_mul_u32_u24_sdwa v27, v12, s6 dst_sel:DWORD dst_unused:UNUSED_PAD src0_sel:WORD_1 src1_sel:DWORD
	ds_read2_b32 v[11:12], v25 offset0:64 offset1:96
	v_pk_fma_f16 v19, v9, v26, v19
	v_pk_fma_f16 v8, v9, v27, v8
	v_mul_u32_u24_sdwa v9, v13, s6 dst_sel:DWORD dst_unused:UNUSED_PAD src0_sel:WORD_0 src1_sel:DWORD
	v_mul_u32_u24_sdwa v13, v13, s6 dst_sel:DWORD dst_unused:UNUSED_PAD src0_sel:WORD_1 src1_sel:DWORD
	s_waitcnt lgkmcnt(0)
	v_pk_fma_f16 v19, v11, v9, v19
	v_pk_fma_f16 v11, v11, v13, v8
	ds_read2_b32 v[8:9], v25 offset0:128 offset1:160
	v_mul_u32_u24_sdwa v13, v14, s6 dst_sel:DWORD dst_unused:UNUSED_PAD src0_sel:WORD_0 src1_sel:DWORD
	v_mul_u32_u24_sdwa v14, v14, s6 dst_sel:DWORD dst_unused:UNUSED_PAD src0_sel:WORD_1 src1_sel:DWORD
	v_pk_fma_f16 v13, v12, v13, v19
	v_pk_fma_f16 v11, v12, v14, v11
	;; [unrolled: 44-line block ×13, first 2 shown]
	v_mul_u32_u24_sdwa v12, v15, s6 dst_sel:DWORD dst_unused:UNUSED_PAD src0_sel:WORD_0 src1_sel:DWORD
	v_mul_u32_u24_sdwa v13, v15, s6 dst_sel:DWORD dst_unused:UNUSED_PAD src0_sel:WORD_1 src1_sel:DWORD
	s_waitcnt lgkmcnt(0)
	v_pk_fma_f16 v1, v8, v12, v1
	v_pk_fma_f16 v8, v8, v13, v11
	ds_read2_b32 v[11:12], v24 offset0:192 offset1:224
	v_mul_u32_u24_sdwa v13, v16, s6 dst_sel:DWORD dst_unused:UNUSED_PAD src0_sel:WORD_0 src1_sel:DWORD
	v_mul_u32_u24_sdwa v14, v16, s6 dst_sel:DWORD dst_unused:UNUSED_PAD src0_sel:WORD_1 src1_sel:DWORD
	v_pk_fma_f16 v1, v9, v13, v1
	v_pk_fma_f16 v8, v9, v14, v8
	v_mul_u32_u24_sdwa v9, v17, s6 dst_sel:DWORD dst_unused:UNUSED_PAD src0_sel:WORD_0 src1_sel:DWORD
	v_mul_u32_u24_sdwa v13, v17, s6 dst_sel:DWORD dst_unused:UNUSED_PAD src0_sel:WORD_1 src1_sel:DWORD
	s_waitcnt lgkmcnt(0)
	v_pk_fma_f16 v1, v11, v9, v1
	v_pk_fma_f16 v8, v11, v13, v8
	v_mul_u32_u24_sdwa v9, v18, s6 dst_sel:DWORD dst_unused:UNUSED_PAD src0_sel:WORD_0 src1_sel:DWORD
	v_mul_u32_u24_sdwa v11, v18, s6 dst_sel:DWORD dst_unused:UNUSED_PAD src0_sel:WORD_1 src1_sel:DWORD
	v_mov_b32_e32 v33, v7
	v_mov_b32_e32 v32, v6
	;; [unrolled: 1-line block ×3, first 2 shown]
	v_pk_fma_f16 v27, v12, v9, v1
	v_pk_fma_f16 v26, v12, v11, v8
	v_mov_b32_e32 v6, v2
	s_barrier
.LBB59_71:
	v_cmp_lt_i32_e32 vcc, v39, v5
	v_cndmask_b32_e32 v1, v4, v39, vcc
	v_lshlrev_b32_e32 v1, 2, v1
	ds_bpermute_b32 v2, v1, v32
	ds_bpermute_b32 v1, v1, v33
	v_cmp_lt_i32_e32 vcc, v36, v5
	v_cndmask_b32_e32 v3, v4, v36, vcc
	v_lshlrev_b32_e32 v3, 2, v3
	s_waitcnt lgkmcnt(1)
	v_add_f32_e32 v2, v32, v2
	s_waitcnt lgkmcnt(0)
	v_add_f32_e32 v1, v33, v1
	ds_bpermute_b32 v8, v3, v2
	ds_bpermute_b32 v3, v3, v1
	v_cmp_lt_i32_e32 vcc, v37, v5
	v_cndmask_b32_e32 v9, v4, v37, vcc
	v_lshlrev_b32_e32 v9, 2, v9
	s_waitcnt lgkmcnt(1)
	v_add_f32_e32 v2, v2, v8
	s_waitcnt lgkmcnt(0)
	v_add_f32_e32 v1, v1, v3
	;; [unrolled: 9-line block ×4, first 2 shown]
	ds_bpermute_b32 v5, v4, v2
	ds_bpermute_b32 v4, v4, v3
	s_cmp_eq_u64 s[44:45], 0
	s_cselect_b64 s[6:7], -1, 0
	s_cmp_lg_u32 s9, 0
	s_cselect_b64 s[10:11], -1, 0
	s_or_b64 s[6:7], s[10:11], s[6:7]
	s_waitcnt lgkmcnt(1)
	v_add_f32_e32 v1, v2, v5
	s_waitcnt lgkmcnt(0)
	v_add_f32_e32 v2, v3, v4
	s_and_b64 vcc, exec, s[6:7]
	s_cbranch_vccnz .LBB59_74
; %bb.72:
	s_lshl_b64 s[6:7], s[26:27], 2
	s_add_u32 s6, s44, s6
	s_addc_u32 s7, s45, s7
	v_mov_b32_e32 v3, 0
	global_load_dword v3, v3, s[6:7]
	v_max_f32_e32 v4, v6, v6
	v_max_f32_e32 v9, v7, v7
	s_mov_b32 s6, 0x3fb8aa3b
	s_mov_b32 s7, 0xc2ce8ed0
	;; [unrolled: 1-line block ×3, first 2 shown]
	v_mov_b32_e32 v5, 0x7f800000
	s_waitcnt vmcnt(0)
	v_max_f32_e32 v11, v3, v3
	v_max_f32_e32 v8, v4, v11
	;; [unrolled: 1-line block ×3, first 2 shown]
	v_sub_f32_e32 v4, v6, v8
	v_sub_f32_e32 v6, v3, v8
	;; [unrolled: 1-line block ×3, first 2 shown]
	v_mul_f32_e32 v3, 0x3fb8aa3b, v4
	v_sub_f32_e32 v7, v7, v9
	v_mul_f32_e32 v12, 0x3fb8aa3b, v6
	v_fma_f32 v15, v4, s6, -v3
	v_rndne_f32_e32 v16, v3
	v_mul_f32_e32 v13, 0x3fb8aa3b, v7
	v_fma_f32 v17, v6, s6, -v12
	v_rndne_f32_e32 v18, v12
	v_fmac_f32_e32 v15, 0x32a5705f, v4
	v_sub_f32_e32 v3, v3, v16
	v_mul_f32_e32 v14, 0x3fb8aa3b, v11
	v_fma_f32 v19, v7, s6, -v13
	v_rndne_f32_e32 v24, v13
	v_fmac_f32_e32 v17, 0x32a5705f, v6
	v_sub_f32_e32 v12, v12, v18
	v_add_f32_e32 v3, v3, v15
	v_fma_f32 v25, v11, s6, -v14
	v_rndne_f32_e32 v28, v14
	v_cvt_i32_f32_e32 v16, v16
	v_fmac_f32_e32 v19, 0x32a5705f, v7
	v_sub_f32_e32 v13, v13, v24
	v_add_f32_e32 v12, v12, v17
	v_exp_f32_e32 v3, v3
	v_cvt_i32_f32_e32 v18, v18
	v_fmac_f32_e32 v25, 0x32a5705f, v11
	v_sub_f32_e32 v14, v14, v28
	v_add_f32_e32 v13, v13, v19
	v_exp_f32_e32 v12, v12
	v_cvt_i32_f32_e32 v24, v24
	v_add_f32_e32 v14, v14, v25
	v_exp_f32_e32 v13, v13
	v_cvt_i32_f32_e32 v28, v28
	v_exp_f32_e32 v14, v14
	v_ldexp_f32 v3, v3, v16
	v_cmp_ngt_f32_e32 vcc, s7, v4
	v_ldexp_f32 v12, v12, v18
	v_cndmask_b32_e32 v3, 0, v3, vcc
	v_cmp_ngt_f32_e32 vcc, s7, v6
	v_ldexp_f32 v13, v13, v24
	v_cndmask_b32_e32 v12, 0, v12, vcc
	;; [unrolled: 3-line block ×3, first 2 shown]
	v_cmp_ngt_f32_e32 vcc, s7, v11
	v_cndmask_b32_e32 v14, 0, v14, vcc
	v_cmp_nlt_f32_e32 vcc, s8, v4
	v_cndmask_b32_e32 v15, v5, v3, vcc
	v_cmp_nlt_f32_e32 vcc, s8, v6
	v_cndmask_b32_e32 v3, v5, v12, vcc
	v_cmp_nlt_f32_e32 vcc, s8, v7
	v_cndmask_b32_e32 v6, v5, v13, vcc
	v_cmp_nlt_f32_e32 vcc, s8, v11
	v_cvt_f16_f32_e32 v7, v6
	v_cndmask_b32_e32 v4, v5, v14, vcc
	v_cvt_f16_f32_e32 v5, v15
	v_fmac_f32_e32 v3, v1, v15
	v_fmac_f32_e32 v4, v2, v6
	v_mul_u32_u24_e32 v6, 0x10001, v7
	v_mov_b32_e32 v1, v3
	v_mul_u32_u24_e32 v5, 0x10001, v5
	v_pk_mul_f16 v26, v26, v6
	v_mov_b32_e32 v6, v8
	v_mov_b32_e32 v2, v4
	v_pk_mul_f16 v27, v27, v5
	v_mov_b32_e32 v7, v9
	v_cmp_gt_i32_e32 vcc, s30, v23
	s_and_saveexec_b64 s[6:7], vcc
	s_cbranch_execnz .LBB59_75
.LBB59_73:
	s_endpgm
.LBB59_74:
	v_mov_b32_e32 v3, v1
	v_mov_b32_e32 v4, v2
	v_cmp_gt_i32_e32 vcc, s30, v23
	s_and_saveexec_b64 s[6:7], vcc
	s_cbranch_execz .LBB59_73
.LBB59_75:
	s_load_dword s8, s[4:5], 0xd4
	v_mov_b32_e32 v5, 1.0
	s_waitcnt lgkmcnt(0)
	s_cmp_lg_u32 s8, 1
	s_cselect_b64 s[10:11], -1, 0
	s_cmp_eq_u32 s8, 1
	s_cselect_b64 s[6:7], -1, 0
	s_and_b64 vcc, exec, s[10:11]
	s_cbranch_vccnz .LBB59_77
; %bb.76:
	v_div_scale_f32 v5, s[4:5], v3, v3, 1.0
	v_div_scale_f32 v8, vcc, 1.0, v3, 1.0
	v_rcp_f32_e32 v9, v5
	v_fma_f32 v11, -v5, v9, 1.0
	v_fmac_f32_e32 v9, v11, v9
	v_mul_f32_e32 v11, v8, v9
	v_fma_f32 v12, -v5, v11, v8
	v_fmac_f32_e32 v11, v12, v9
	v_fma_f32 v5, -v5, v11, v8
	v_div_fmas_f32 v5, v5, v9, v11
	v_div_fixup_f32 v5, v5, v3, 1.0
.LBB59_77:
	s_mul_i32 s12, s33, s30
	s_add_i32 s12, s12, s42
	v_add_u32_e32 v3, s12, v22
	v_mul_lo_u32 v3, v3, s31
	v_cvt_f32_f16_sdwa v8, v27 dst_sel:DWORD dst_unused:UNUSED_PAD src0_sel:WORD_1
	v_cmp_eq_u32_e32 vcc, 0, v0
	v_cvt_f32_f16_e32 v0, v27
	v_add_u32_e32 v3, s26, v3
	v_mul_lo_u32 v3, s8, v3
	v_mul_f32_e32 v14, v5, v8
	v_mov_b32_e32 v12, 0
	v_mul_f32_e32 v13, v5, v0
	v_add_u32_e32 v8, s9, v3
	v_lshl_add_u32 v11, v8, 6, v10
	v_lshlrev_b64 v[11:12], 2, v[11:12]
	v_mov_b32_e32 v0, s49
	v_add_co_u32_e64 v11, s[4:5], s48, v11
	v_addc_co_u32_e64 v12, s[4:5], v0, v12, s[4:5]
	s_and_b64 s[4:5], vcc, s[10:11]
	global_store_dwordx2 v[11:12], v[13:14], off
	s_and_saveexec_b64 s[10:11], s[4:5]
	s_cbranch_execz .LBB59_79
; %bb.78:
	v_ashrrev_i32_e32 v9, 31, v8
	v_lshlrev_b64 v[8:9], 3, v[8:9]
	v_mov_b32_e32 v0, s51
	v_add_co_u32_e32 v8, vcc, s50, v8
	v_addc_co_u32_e32 v9, vcc, v0, v9, vcc
	v_mov_b32_e32 v0, v6
	global_store_dwordx2 v[8:9], v[0:1], off
.LBB59_79:
	s_or_b64 exec, exec, s[10:11]
	v_cmp_gt_i32_e32 vcc, s30, v21
	s_and_b64 exec, exec, vcc
	s_cbranch_execz .LBB59_73
; %bb.80:
	s_andn2_b64 vcc, exec, s[6:7]
	v_mov_b32_e32 v0, 1.0
	s_cbranch_vccnz .LBB59_82
; %bb.81:
	v_div_scale_f32 v0, s[6:7], v4, v4, 1.0
	v_div_scale_f32 v1, vcc, 1.0, v4, 1.0
	v_rcp_f32_e32 v3, v0
	v_fma_f32 v5, -v0, v3, 1.0
	v_fmac_f32_e32 v3, v5, v3
	v_mul_f32_e32 v5, v1, v3
	v_fma_f32 v6, -v0, v5, v1
	v_fmac_f32_e32 v5, v6, v3
	v_fma_f32 v0, -v0, v5, v1
	v_div_fmas_f32 v0, v0, v3, v5
	v_div_fixup_f32 v0, v0, v4, 1.0
.LBB59_82:
	v_add_u32_e32 v1, s12, v20
	v_mul_lo_u32 v1, v1, s31
	v_cvt_f32_f16_e32 v3, v26
	v_cvt_f32_f16_sdwa v6, v26 dst_sel:DWORD dst_unused:UNUSED_PAD src0_sel:WORD_1
	v_mov_b32_e32 v4, 0
	v_add_u32_e32 v1, s26, v1
	v_mul_lo_u32 v1, s8, v1
	v_mul_f32_e32 v5, v0, v3
	v_mul_f32_e32 v6, v0, v6
	v_mov_b32_e32 v8, s49
	v_add_u32_e32 v0, s9, v1
	v_lshl_add_u32 v3, v0, 6, v10
	v_lshlrev_b64 v[3:4], 2, v[3:4]
	v_add_co_u32_e32 v3, vcc, s48, v3
	v_addc_co_u32_e32 v4, vcc, v8, v4, vcc
	global_store_dwordx2 v[3:4], v[5:6], off
	s_and_b64 exec, exec, s[4:5]
	s_cbranch_execz .LBB59_73
; %bb.83:
	v_ashrrev_i32_e32 v1, 31, v0
	v_lshlrev_b64 v[0:1], 3, v[0:1]
	v_mov_b32_e32 v4, s51
	v_add_co_u32_e32 v3, vcc, s50, v0
	v_addc_co_u32_e32 v4, vcc, v4, v1, vcc
	v_mov_b32_e32 v1, v7
	global_store_dwordx2 v[3:4], v[1:2], off
	s_endpgm
	.section	.rodata,"a",@progbits
	.p2align	6, 0x0
	.amdhsa_kernel _ZL15flash_attn_tileILi64ELi64ELi16ELi1ELb0EEvPKcS1_S1_S1_S1_PKiPfP15HIP_vector_typeIfLj2EEffffjfiS5_IjLj3EEiiiiiiiiiiiliiliiiiil
		.amdhsa_group_segment_fixed_size 24576
		.amdhsa_private_segment_fixed_size 32
		.amdhsa_kernarg_size 464
		.amdhsa_user_sgpr_count 8
		.amdhsa_user_sgpr_private_segment_buffer 1
		.amdhsa_user_sgpr_dispatch_ptr 0
		.amdhsa_user_sgpr_queue_ptr 0
		.amdhsa_user_sgpr_kernarg_segment_ptr 1
		.amdhsa_user_sgpr_dispatch_id 0
		.amdhsa_user_sgpr_flat_scratch_init 1
		.amdhsa_user_sgpr_private_segment_size 0
		.amdhsa_uses_dynamic_stack 0
		.amdhsa_system_sgpr_private_segment_wavefront_offset 1
		.amdhsa_system_sgpr_workgroup_id_x 1
		.amdhsa_system_sgpr_workgroup_id_y 1
		.amdhsa_system_sgpr_workgroup_id_z 1
		.amdhsa_system_sgpr_workgroup_info 0
		.amdhsa_system_vgpr_workitem_id 1
		.amdhsa_next_free_vgpr 87
		.amdhsa_next_free_sgpr 96
		.amdhsa_reserve_vcc 1
		.amdhsa_reserve_flat_scratch 1
		.amdhsa_float_round_mode_32 0
		.amdhsa_float_round_mode_16_64 0
		.amdhsa_float_denorm_mode_32 3
		.amdhsa_float_denorm_mode_16_64 3
		.amdhsa_dx10_clamp 1
		.amdhsa_ieee_mode 1
		.amdhsa_fp16_overflow 0
		.amdhsa_exception_fp_ieee_invalid_op 0
		.amdhsa_exception_fp_denorm_src 0
		.amdhsa_exception_fp_ieee_div_zero 0
		.amdhsa_exception_fp_ieee_overflow 0
		.amdhsa_exception_fp_ieee_underflow 0
		.amdhsa_exception_fp_ieee_inexact 0
		.amdhsa_exception_int_div_zero 0
	.end_amdhsa_kernel
	.section	.text._ZL15flash_attn_tileILi64ELi64ELi16ELi1ELb0EEvPKcS1_S1_S1_S1_PKiPfP15HIP_vector_typeIfLj2EEffffjfiS5_IjLj3EEiiiiiiiiiiiliiliiiiil,"axG",@progbits,_ZL15flash_attn_tileILi64ELi64ELi16ELi1ELb0EEvPKcS1_S1_S1_S1_PKiPfP15HIP_vector_typeIfLj2EEffffjfiS5_IjLj3EEiiiiiiiiiiiliiliiiiil,comdat
.Lfunc_end59:
	.size	_ZL15flash_attn_tileILi64ELi64ELi16ELi1ELb0EEvPKcS1_S1_S1_S1_PKiPfP15HIP_vector_typeIfLj2EEffffjfiS5_IjLj3EEiiiiiiiiiiiliiliiiiil, .Lfunc_end59-_ZL15flash_attn_tileILi64ELi64ELi16ELi1ELb0EEvPKcS1_S1_S1_S1_PKiPfP15HIP_vector_typeIfLj2EEffffjfiS5_IjLj3EEiiiiiiiiiiiliiliiiiil
                                        ; -- End function
	.set _ZL15flash_attn_tileILi64ELi64ELi16ELi1ELb0EEvPKcS1_S1_S1_S1_PKiPfP15HIP_vector_typeIfLj2EEffffjfiS5_IjLj3EEiiiiiiiiiiiliiliiiiil.num_vgpr, 87
	.set _ZL15flash_attn_tileILi64ELi64ELi16ELi1ELb0EEvPKcS1_S1_S1_S1_PKiPfP15HIP_vector_typeIfLj2EEffffjfiS5_IjLj3EEiiiiiiiiiiiliiliiiiil.num_agpr, 0
	.set _ZL15flash_attn_tileILi64ELi64ELi16ELi1ELb0EEvPKcS1_S1_S1_S1_PKiPfP15HIP_vector_typeIfLj2EEffffjfiS5_IjLj3EEiiiiiiiiiiiliiliiiiil.numbered_sgpr, 52
	.set _ZL15flash_attn_tileILi64ELi64ELi16ELi1ELb0EEvPKcS1_S1_S1_S1_PKiPfP15HIP_vector_typeIfLj2EEffffjfiS5_IjLj3EEiiiiiiiiiiiliiliiiiil.num_named_barrier, 0
	.set _ZL15flash_attn_tileILi64ELi64ELi16ELi1ELb0EEvPKcS1_S1_S1_S1_PKiPfP15HIP_vector_typeIfLj2EEffffjfiS5_IjLj3EEiiiiiiiiiiiliiliiiiil.private_seg_size, 32
	.set _ZL15flash_attn_tileILi64ELi64ELi16ELi1ELb0EEvPKcS1_S1_S1_S1_PKiPfP15HIP_vector_typeIfLj2EEffffjfiS5_IjLj3EEiiiiiiiiiiiliiliiiiil.uses_vcc, 1
	.set _ZL15flash_attn_tileILi64ELi64ELi16ELi1ELb0EEvPKcS1_S1_S1_S1_PKiPfP15HIP_vector_typeIfLj2EEffffjfiS5_IjLj3EEiiiiiiiiiiiliiliiiiil.uses_flat_scratch, 1
	.set _ZL15flash_attn_tileILi64ELi64ELi16ELi1ELb0EEvPKcS1_S1_S1_S1_PKiPfP15HIP_vector_typeIfLj2EEffffjfiS5_IjLj3EEiiiiiiiiiiiliiliiiiil.has_dyn_sized_stack, 0
	.set _ZL15flash_attn_tileILi64ELi64ELi16ELi1ELb0EEvPKcS1_S1_S1_S1_PKiPfP15HIP_vector_typeIfLj2EEffffjfiS5_IjLj3EEiiiiiiiiiiiliiliiiiil.has_recursion, 0
	.set _ZL15flash_attn_tileILi64ELi64ELi16ELi1ELb0EEvPKcS1_S1_S1_S1_PKiPfP15HIP_vector_typeIfLj2EEffffjfiS5_IjLj3EEiiiiiiiiiiiliiliiiiil.has_indirect_call, 0
	.section	.AMDGPU.csdata,"",@progbits
; Kernel info:
; codeLenInByte = 25072
; TotalNumSgprs: 58
; NumVgprs: 87
; ScratchSize: 32
; MemoryBound: 0
; FloatMode: 240
; IeeeMode: 1
; LDSByteSize: 24576 bytes/workgroup (compile time only)
; SGPRBlocks: 12
; VGPRBlocks: 21
; NumSGPRsForWavesPerEU: 102
; NumVGPRsForWavesPerEU: 87
; Occupancy: 2
; WaveLimiterHint : 1
; COMPUTE_PGM_RSRC2:SCRATCH_EN: 1
; COMPUTE_PGM_RSRC2:USER_SGPR: 8
; COMPUTE_PGM_RSRC2:TRAP_HANDLER: 0
; COMPUTE_PGM_RSRC2:TGID_X_EN: 1
; COMPUTE_PGM_RSRC2:TGID_Y_EN: 1
; COMPUTE_PGM_RSRC2:TGID_Z_EN: 1
; COMPUTE_PGM_RSRC2:TIDIG_COMP_CNT: 1
	.section	.text._ZL33flash_attn_stream_k_fixup_uniformILi64ELi16ELi1EEvPfPK15HIP_vector_typeIfLj2EEiiiiiiS1_IjLj3EES5_S5_,"axG",@progbits,_ZL33flash_attn_stream_k_fixup_uniformILi64ELi16ELi1EEvPfPK15HIP_vector_typeIfLj2EEiiiiiiS1_IjLj3EES5_S5_,comdat
	.globl	_ZL33flash_attn_stream_k_fixup_uniformILi64ELi16ELi1EEvPfPK15HIP_vector_typeIfLj2EEiiiiiiS1_IjLj3EES5_S5_ ; -- Begin function _ZL33flash_attn_stream_k_fixup_uniformILi64ELi16ELi1EEvPfPK15HIP_vector_typeIfLj2EEiiiiiiS1_IjLj3EES5_S5_
	.p2align	8
	.type	_ZL33flash_attn_stream_k_fixup_uniformILi64ELi16ELi1EEvPfPK15HIP_vector_typeIfLj2EEiiiiiiS1_IjLj3EES5_S5_,@function
_ZL33flash_attn_stream_k_fixup_uniformILi64ELi16ELi1EEvPfPK15HIP_vector_typeIfLj2EEiiiiiiS1_IjLj3EES5_S5_: ; @_ZL33flash_attn_stream_k_fixup_uniformILi64ELi16ELi1EEvPfPK15HIP_vector_typeIfLj2EEiiiiiiS1_IjLj3EES5_S5_
; %bb.0:
	s_load_dwordx8 s[12:19], s[4:5], 0x1c
	s_load_dwordx2 s[10:11], s[4:5], 0x10
	s_load_dwordx4 s[0:3], s[4:5], 0x3c
	s_waitcnt lgkmcnt(0)
	s_mul_hi_u32 s9, s15, s6
	s_add_i32 s9, s6, s9
	s_lshr_b32 s9, s9, s16
	s_mul_i32 s15, s9, s17
	s_sub_i32 s15, s6, s15
	s_mul_hi_u32 s16, s15, s18
	s_add_i32 s16, s15, s16
	s_lshr_b32 s16, s16, s19
	s_mul_i32 s0, s16, s0
	s_sub_i32 s0, s15, s0
	s_mul_hi_u32 s1, s0, s1
	s_add_i32 s1, s0, s1
	s_lshr_b32 s15, s1, s2
	s_mul_i32 s1, s15, s3
	s_sub_i32 s17, s0, s1
	s_lshl_b32 s0, s17, 4
	s_add_i32 s0, s0, s7
	s_cmp_lt_i32 s0, s10
	s_cselect_b64 s[0:1], -1, 0
	s_add_i32 s2, s15, s8
	s_cmp_lt_i32 s2, s13
	s_cselect_b64 s[2:3], -1, 0
	s_and_b64 s[0:1], s[0:1], s[2:3]
	s_andn2_b64 vcc, exec, s[0:1]
	s_cbranch_vccnz .LBB60_6
; %bb.1:
	s_load_dwordx4 s[0:3], s[4:5], 0x0
	s_mul_i32 s4, s9, s10
	s_add_i32 s4, s4, s7
	s_mul_i32 s4, s4, s11
	s_mul_i32 s16, s16, s13
	s_add_i32 s4, s4, s8
	s_add_i32 s4, s4, s16
	s_mul_i32 s5, s11, s17
	s_add_i32 s4, s4, s15
	s_lshl_b32 s5, s5, 10
	s_lshl_b32 s4, s4, 6
	s_add_i32 s5, s5, s4
	v_or_b32_e32 v1, s5, v0
	v_ashrrev_i32_e32 v2, 31, v1
	v_lshlrev_b64 v[1:2], 2, v[1:2]
	s_waitcnt lgkmcnt(0)
	v_mov_b32_e32 v3, s1
	v_add_co_u32_e32 v1, vcc, s0, v1
	v_addc_co_u32_e32 v2, vcc, v3, v2, vcc
	global_load_dword v8, v[1:2], off
	s_add_i32 s4, s7, s8
	s_mul_i32 s7, s14, s6
	s_add_i32 s5, s7, s14
	s_lshl_b32 s0, s5, 4
	s_add_i32 s0, s4, s0
	s_add_i32 s0, s0, -16
	s_ashr_i32 s1, s0, 31
	s_lshl_b64 s[0:1], s[0:1], 3
	s_add_u32 s0, s2, s0
	s_addc_u32 s1, s3, s1
	s_load_dword s10, s[0:1], 0x4
	s_add_i32 s8, s5, -2
	s_cmp_lt_i32 s8, s7
	s_cbranch_scc1 .LBB60_4
; %bb.2:
	s_lshl_b32 s8, s12, 6
	s_ashr_i32 s9, s8, 31
	s_lshl_b64 s[8:9], s[8:9], 2
	s_add_u32 s8, s2, s8
	s_addc_u32 s11, s3, s9
	s_add_i32 s6, s6, 1
	s_add_i32 s9, s5, -1
	s_mul_i32 s5, s14, s6
	s_load_dword s0, s[0:1], 0x0
	s_lshl_b32 s1, s4, 6
	s_lshl_b32 s6, s5, 10
	s_add_i32 s1, s1, s6
	v_or_b32_e32 v0, s1, v0
	s_lshl_b32 s1, s5, 4
	s_add_i32 s1, s4, s1
	s_lshl_b32 s4, s12, 4
	s_add_i32 s1, s1, s4
	v_add_u32_e32 v3, 0xfffff800, v0
	s_sub_i32 s4, s1, 32
	s_waitcnt lgkmcnt(0)
	v_mov_b32_e32 v7, s10
	v_mov_b32_e32 v6, s0
	;; [unrolled: 1-line block ×3, first 2 shown]
	s_mov_b32 s6, 0x3fb8aa3b
	s_mov_b32 s10, 0xc2ce8ed0
	;; [unrolled: 1-line block ×3, first 2 shown]
	v_mov_b32_e32 v5, 0x7f800000
	s_mov_b32 s12, 0xc1a00000
.LBB60_3:                               ; =>This Inner Loop Header: Depth=1
	v_ashrrev_i32_e32 v4, 31, v3
	v_lshlrev_b64 v[9:10], 2, v[3:4]
	s_ashr_i32 s5, s4, 31
	v_add_co_u32_e32 v9, vcc, s8, v9
	v_addc_co_u32_e32 v10, vcc, v0, v10, vcc
	global_load_dword v4, v[9:10], off
	s_lshl_b64 s[0:1], s[4:5], 3
	s_add_u32 s0, s2, s0
	s_addc_u32 s1, s3, s1
	s_load_dwordx2 s[14:15], s[0:1], 0x0
	s_waitcnt vmcnt(1)
	v_mov_b32_e32 v9, v8
	v_max_f32_e32 v8, v6, v6
	v_mov_b32_e32 v10, v7
	s_add_i32 s9, s9, -1
	s_waitcnt lgkmcnt(0)
	v_max_f32_e64 v7, s14, s14
	v_max_f32_e32 v7, v8, v7
	v_sub_f32_e32 v11, s14, v7
	v_sub_f32_e32 v8, v6, v7
	v_mul_f32_e32 v12, 0x3fb8aa3b, v11
	v_mov_b32_e32 v6, v7
	v_mul_f32_e32 v7, 0x3fb8aa3b, v8
	v_fma_f32 v15, v11, s6, -v12
	v_rndne_f32_e32 v16, v12
	v_fma_f32 v13, v8, s6, -v7
	v_rndne_f32_e32 v14, v7
	v_fmac_f32_e32 v15, 0x32a5705f, v11
	v_sub_f32_e32 v12, v12, v16
	v_fmac_f32_e32 v13, 0x32a5705f, v8
	v_sub_f32_e32 v7, v7, v14
	v_add_f32_e32 v12, v12, v15
	v_cvt_i32_f32_e32 v16, v16
	v_add_f32_e32 v7, v7, v13
	v_exp_f32_e32 v12, v12
	v_cvt_i32_f32_e32 v14, v14
	v_exp_f32_e32 v7, v7
	v_cmp_ngt_f32_e32 vcc, s10, v11
	v_ldexp_f32 v12, v12, v16
	v_cmp_ngt_f32_e64 s[0:1], s10, v8
	v_ldexp_f32 v7, v7, v14
	v_cndmask_b32_e32 v12, 0, v12, vcc
	v_cmp_nlt_f32_e32 vcc, s11, v11
	v_cndmask_b32_e64 v7, 0, v7, s[0:1]
	v_cmp_nlt_f32_e64 s[0:1], s11, v8
	v_cndmask_b32_e32 v12, v5, v12, vcc
	v_cmp_le_f32_e32 vcc, s12, v11
	v_cndmask_b32_e64 v7, v5, v7, s[0:1]
	v_cmp_le_f32_e64 s[0:1], s12, v8
	v_cndmask_b32_e32 v8, 0, v12, vcc
	s_add_i32 s4, s4, -16
	v_cndmask_b32_e64 v11, 0, v7, s[0:1]
	v_mul_f32_e32 v7, s15, v8
	v_add_u32_e32 v3, 0xfffffc00, v3
	s_cmp_le_i32 s9, s7
	v_fmac_f32_e32 v7, v10, v11
	s_waitcnt vmcnt(0)
	v_mul_f32_e32 v8, v4, v8
	v_fmac_f32_e32 v8, v9, v11
	s_cbranch_scc0 .LBB60_3
	s_branch .LBB60_5
.LBB60_4:
	s_waitcnt lgkmcnt(0)
	v_mov_b32_e32 v7, s10
.LBB60_5:
	s_waitcnt vmcnt(0)
	v_div_scale_f32 v0, s[0:1], v7, v7, v8
	v_div_scale_f32 v3, vcc, v8, v7, v8
	v_rcp_f32_e32 v4, v0
	v_fma_f32 v5, -v0, v4, 1.0
	v_fmac_f32_e32 v4, v5, v4
	v_mul_f32_e32 v5, v3, v4
	v_fma_f32 v6, -v0, v5, v3
	v_fmac_f32_e32 v5, v6, v4
	v_fma_f32 v0, -v0, v5, v3
	v_div_fmas_f32 v0, v0, v4, v5
	v_div_fixup_f32 v0, v0, v7, v8
	global_store_dword v[1:2], v0, off
.LBB60_6:
	s_endpgm
	.section	.rodata,"a",@progbits
	.p2align	6, 0x0
	.amdhsa_kernel _ZL33flash_attn_stream_k_fixup_uniformILi64ELi16ELi1EEvPfPK15HIP_vector_typeIfLj2EEiiiiiiS1_IjLj3EES5_S5_
		.amdhsa_group_segment_fixed_size 0
		.amdhsa_private_segment_fixed_size 0
		.amdhsa_kernarg_size 76
		.amdhsa_user_sgpr_count 6
		.amdhsa_user_sgpr_private_segment_buffer 1
		.amdhsa_user_sgpr_dispatch_ptr 0
		.amdhsa_user_sgpr_queue_ptr 0
		.amdhsa_user_sgpr_kernarg_segment_ptr 1
		.amdhsa_user_sgpr_dispatch_id 0
		.amdhsa_user_sgpr_flat_scratch_init 0
		.amdhsa_user_sgpr_private_segment_size 0
		.amdhsa_uses_dynamic_stack 0
		.amdhsa_system_sgpr_private_segment_wavefront_offset 0
		.amdhsa_system_sgpr_workgroup_id_x 1
		.amdhsa_system_sgpr_workgroup_id_y 1
		.amdhsa_system_sgpr_workgroup_id_z 1
		.amdhsa_system_sgpr_workgroup_info 0
		.amdhsa_system_vgpr_workitem_id 0
		.amdhsa_next_free_vgpr 17
		.amdhsa_next_free_sgpr 20
		.amdhsa_reserve_vcc 1
		.amdhsa_reserve_flat_scratch 0
		.amdhsa_float_round_mode_32 0
		.amdhsa_float_round_mode_16_64 0
		.amdhsa_float_denorm_mode_32 3
		.amdhsa_float_denorm_mode_16_64 3
		.amdhsa_dx10_clamp 1
		.amdhsa_ieee_mode 1
		.amdhsa_fp16_overflow 0
		.amdhsa_exception_fp_ieee_invalid_op 0
		.amdhsa_exception_fp_denorm_src 0
		.amdhsa_exception_fp_ieee_div_zero 0
		.amdhsa_exception_fp_ieee_overflow 0
		.amdhsa_exception_fp_ieee_underflow 0
		.amdhsa_exception_fp_ieee_inexact 0
		.amdhsa_exception_int_div_zero 0
	.end_amdhsa_kernel
	.section	.text._ZL33flash_attn_stream_k_fixup_uniformILi64ELi16ELi1EEvPfPK15HIP_vector_typeIfLj2EEiiiiiiS1_IjLj3EES5_S5_,"axG",@progbits,_ZL33flash_attn_stream_k_fixup_uniformILi64ELi16ELi1EEvPfPK15HIP_vector_typeIfLj2EEiiiiiiS1_IjLj3EES5_S5_,comdat
.Lfunc_end60:
	.size	_ZL33flash_attn_stream_k_fixup_uniformILi64ELi16ELi1EEvPfPK15HIP_vector_typeIfLj2EEiiiiiiS1_IjLj3EES5_S5_, .Lfunc_end60-_ZL33flash_attn_stream_k_fixup_uniformILi64ELi16ELi1EEvPfPK15HIP_vector_typeIfLj2EEiiiiiiS1_IjLj3EES5_S5_
                                        ; -- End function
	.set _ZL33flash_attn_stream_k_fixup_uniformILi64ELi16ELi1EEvPfPK15HIP_vector_typeIfLj2EEiiiiiiS1_IjLj3EES5_S5_.num_vgpr, 17
	.set _ZL33flash_attn_stream_k_fixup_uniformILi64ELi16ELi1EEvPfPK15HIP_vector_typeIfLj2EEiiiiiiS1_IjLj3EES5_S5_.num_agpr, 0
	.set _ZL33flash_attn_stream_k_fixup_uniformILi64ELi16ELi1EEvPfPK15HIP_vector_typeIfLj2EEiiiiiiS1_IjLj3EES5_S5_.numbered_sgpr, 20
	.set _ZL33flash_attn_stream_k_fixup_uniformILi64ELi16ELi1EEvPfPK15HIP_vector_typeIfLj2EEiiiiiiS1_IjLj3EES5_S5_.num_named_barrier, 0
	.set _ZL33flash_attn_stream_k_fixup_uniformILi64ELi16ELi1EEvPfPK15HIP_vector_typeIfLj2EEiiiiiiS1_IjLj3EES5_S5_.private_seg_size, 0
	.set _ZL33flash_attn_stream_k_fixup_uniformILi64ELi16ELi1EEvPfPK15HIP_vector_typeIfLj2EEiiiiiiS1_IjLj3EES5_S5_.uses_vcc, 1
	.set _ZL33flash_attn_stream_k_fixup_uniformILi64ELi16ELi1EEvPfPK15HIP_vector_typeIfLj2EEiiiiiiS1_IjLj3EES5_S5_.uses_flat_scratch, 0
	.set _ZL33flash_attn_stream_k_fixup_uniformILi64ELi16ELi1EEvPfPK15HIP_vector_typeIfLj2EEiiiiiiS1_IjLj3EES5_S5_.has_dyn_sized_stack, 0
	.set _ZL33flash_attn_stream_k_fixup_uniformILi64ELi16ELi1EEvPfPK15HIP_vector_typeIfLj2EEiiiiiiS1_IjLj3EES5_S5_.has_recursion, 0
	.set _ZL33flash_attn_stream_k_fixup_uniformILi64ELi16ELi1EEvPfPK15HIP_vector_typeIfLj2EEiiiiiiS1_IjLj3EES5_S5_.has_indirect_call, 0
	.section	.AMDGPU.csdata,"",@progbits
; Kernel info:
; codeLenInByte = 836
; TotalNumSgprs: 24
; NumVgprs: 17
; ScratchSize: 0
; MemoryBound: 0
; FloatMode: 240
; IeeeMode: 1
; LDSByteSize: 0 bytes/workgroup (compile time only)
; SGPRBlocks: 2
; VGPRBlocks: 4
; NumSGPRsForWavesPerEU: 24
; NumVGPRsForWavesPerEU: 17
; Occupancy: 10
; WaveLimiterHint : 0
; COMPUTE_PGM_RSRC2:SCRATCH_EN: 0
; COMPUTE_PGM_RSRC2:USER_SGPR: 6
; COMPUTE_PGM_RSRC2:TRAP_HANDLER: 0
; COMPUTE_PGM_RSRC2:TGID_X_EN: 1
; COMPUTE_PGM_RSRC2:TGID_Y_EN: 1
; COMPUTE_PGM_RSRC2:TGID_Z_EN: 1
; COMPUTE_PGM_RSRC2:TIDIG_COMP_CNT: 0
	.section	.text._ZL33flash_attn_stream_k_fixup_generalILi64ELi16ELi1EEvPfPK15HIP_vector_typeIfLj2EEiiiiS1_IjLj3EES5_S5_S5_,"axG",@progbits,_ZL33flash_attn_stream_k_fixup_generalILi64ELi16ELi1EEvPfPK15HIP_vector_typeIfLj2EEiiiiS1_IjLj3EES5_S5_S5_,comdat
	.globl	_ZL33flash_attn_stream_k_fixup_generalILi64ELi16ELi1EEvPfPK15HIP_vector_typeIfLj2EEiiiiS1_IjLj3EES5_S5_S5_ ; -- Begin function _ZL33flash_attn_stream_k_fixup_generalILi64ELi16ELi1EEvPfPK15HIP_vector_typeIfLj2EEiiiiS1_IjLj3EES5_S5_S5_
	.p2align	8
	.type	_ZL33flash_attn_stream_k_fixup_generalILi64ELi16ELi1EEvPfPK15HIP_vector_typeIfLj2EEiiiiS1_IjLj3EES5_S5_S5_,@function
_ZL33flash_attn_stream_k_fixup_generalILi64ELi16ELi1EEvPfPK15HIP_vector_typeIfLj2EEiiiiS1_IjLj3EES5_S5_S5_: ; @_ZL33flash_attn_stream_k_fixup_generalILi64ELi16ELi1EEvPfPK15HIP_vector_typeIfLj2EEiiiiS1_IjLj3EES5_S5_S5_
; %bb.0:
	s_load_dwordx4 s[0:3], s[4:5], 0x10
	s_load_dword s22, s[4:5], 0x50
	s_mov_b32 s12, 0
	s_waitcnt lgkmcnt(0)
	s_mul_hi_i32 s13, s3, s6
	s_cmp_lg_u64 s[12:13], 0
	s_mul_i32 s9, s3, s6
	s_cbranch_scc0 .LBB61_20
; %bb.1:
	s_add_u32 s10, s22, 0
	s_addc_u32 s11, 0, 0
	s_xor_b64 s[10:11], s[10:11], 0
	v_cvt_f32_u32_e32 v1, s10
	v_cvt_f32_u32_e32 v2, s11
	s_sub_u32 s12, 0, s10
	s_subb_u32 s18, 0, s11
	v_madmk_f32 v1, v2, 0x4f800000, v1
	v_rcp_f32_e32 v1, v1
	v_mul_f32_e32 v1, 0x5f7ffffc, v1
	v_mul_f32_e32 v2, 0x2f800000, v1
	v_trunc_f32_e32 v2, v2
	v_madmk_f32 v1, v2, 0xcf800000, v1
	v_cvt_u32_f32_e32 v2, v2
	v_cvt_u32_f32_e32 v1, v1
	v_readfirstlane_b32 s19, v2
	v_readfirstlane_b32 s14, v1
	s_mul_i32 s15, s12, s19
	s_mul_hi_u32 s21, s12, s14
	s_mul_i32 s20, s18, s14
	s_add_i32 s15, s21, s15
	s_add_i32 s15, s15, s20
	s_mul_i32 s23, s12, s14
	s_mul_i32 s21, s14, s15
	s_mul_hi_u32 s24, s14, s23
	s_mul_hi_u32 s20, s14, s15
	s_add_u32 s21, s24, s21
	s_addc_u32 s20, 0, s20
	s_mul_hi_u32 s25, s19, s23
	s_mul_i32 s23, s19, s23
	s_add_u32 s21, s21, s23
	s_mul_hi_u32 s24, s19, s15
	s_addc_u32 s20, s20, s25
	s_addc_u32 s21, s24, 0
	s_mul_i32 s15, s19, s15
	s_add_u32 s15, s20, s15
	s_addc_u32 s20, 0, s21
	s_add_u32 s21, s14, s15
	s_cselect_b64 s[14:15], -1, 0
	s_cmp_lg_u64 s[14:15], 0
	s_addc_u32 s19, s19, s20
	s_mul_i32 s14, s12, s19
	s_mul_hi_u32 s15, s12, s21
	s_add_i32 s14, s15, s14
	s_mul_i32 s18, s18, s21
	s_add_i32 s14, s14, s18
	s_mul_i32 s12, s12, s21
	s_mul_hi_u32 s18, s19, s12
	s_mul_i32 s20, s19, s12
	s_mul_i32 s24, s21, s14
	s_mul_hi_u32 s12, s21, s12
	s_mul_hi_u32 s23, s21, s14
	s_add_u32 s12, s12, s24
	s_addc_u32 s23, 0, s23
	s_add_u32 s12, s12, s20
	s_mul_hi_u32 s15, s19, s14
	s_addc_u32 s12, s23, s18
	s_addc_u32 s15, s15, 0
	s_mul_i32 s14, s19, s14
	s_add_u32 s12, s12, s14
	s_addc_u32 s18, 0, s15
	s_add_u32 s20, s21, s12
	s_cselect_b64 s[14:15], -1, 0
	s_cmp_lg_u64 s[14:15], 0
	s_addc_u32 s18, s19, s18
	s_ashr_i32 s14, s13, 31
	s_add_u32 s12, s9, s14
	s_mov_b32 s15, s14
	s_addc_u32 s13, s13, s14
	s_xor_b64 s[12:13], s[12:13], s[14:15]
	s_mul_i32 s21, s12, s18
	s_mul_hi_u32 s23, s12, s20
	s_mul_hi_u32 s19, s12, s18
	s_add_u32 s21, s23, s21
	s_addc_u32 s19, 0, s19
	s_mul_hi_u32 s24, s13, s20
	s_mul_i32 s20, s13, s20
	s_add_u32 s20, s21, s20
	s_mul_hi_u32 s23, s13, s18
	s_addc_u32 s19, s19, s24
	s_addc_u32 s20, s23, 0
	s_mul_i32 s18, s13, s18
	s_add_u32 s23, s19, s18
	s_addc_u32 s24, 0, s20
	s_mul_i32 s18, s10, s24
	s_mul_hi_u32 s19, s10, s23
	s_add_i32 s18, s19, s18
	s_mul_i32 s19, s11, s23
	s_add_i32 s25, s18, s19
	s_sub_i32 s20, s13, s25
	s_mul_i32 s18, s10, s23
	s_sub_u32 s12, s12, s18
	s_cselect_b64 s[18:19], -1, 0
	s_cmp_lg_u64 s[18:19], 0
	s_subb_u32 s26, s20, s11
	s_sub_u32 s27, s12, s10
	s_cselect_b64 s[20:21], -1, 0
	s_cmp_lg_u64 s[20:21], 0
	s_subb_u32 s20, s26, 0
	s_cmp_ge_u32 s20, s11
	s_cselect_b32 s21, -1, 0
	s_cmp_ge_u32 s27, s10
	s_cselect_b32 s26, -1, 0
	s_cmp_eq_u32 s20, s11
	s_cselect_b32 s20, s26, s21
	s_add_u32 s21, s23, 1
	s_addc_u32 s26, s24, 0
	s_add_u32 s27, s23, 2
	s_addc_u32 s28, s24, 0
	s_cmp_lg_u32 s20, 0
	s_cselect_b32 s20, s27, s21
	s_cselect_b32 s21, s28, s26
	s_cmp_lg_u64 s[18:19], 0
	s_subb_u32 s13, s13, s25
	s_cmp_ge_u32 s13, s11
	s_cselect_b32 s18, -1, 0
	s_cmp_ge_u32 s12, s10
	s_cselect_b32 s10, -1, 0
	s_cmp_eq_u32 s13, s11
	s_cselect_b32 s10, s10, s18
	s_cmp_lg_u32 s10, 0
	s_cselect_b32 s11, s21, s24
	s_cselect_b32 s10, s20, s23
	s_xor_b64 s[12:13], s[14:15], 0
	s_xor_b64 s[10:11], s[10:11], s[12:13]
	s_sub_u32 s10, s10, s12
	s_load_dwordx4 s[12:15], s[4:5], 0x44
	s_cbranch_execnz .LBB61_3
.LBB61_2:
	v_cvt_f32_u32_e32 v1, s22
	s_sub_i32 s10, 0, s22
	v_rcp_iflag_f32_e32 v1, v1
	v_mul_f32_e32 v1, 0x4f7ffffe, v1
	v_cvt_u32_f32_e32 v1, v1
	v_readfirstlane_b32 s11, v1
	s_mul_i32 s10, s10, s11
	s_mul_hi_u32 s10, s11, s10
	s_add_i32 s11, s11, s10
	s_mul_hi_u32 s10, s9, s11
	s_waitcnt lgkmcnt(0)
	s_mul_i32 s15, s10, s22
	s_sub_i32 s9, s9, s15
	s_add_i32 s11, s10, 1
	s_sub_i32 s15, s9, s22
	s_cmp_ge_u32 s9, s22
	s_cselect_b32 s10, s11, s10
	s_cselect_b32 s9, s15, s9
	s_add_i32 s11, s10, 1
	s_cmp_ge_u32 s9, s22
	s_cselect_b32 s10, s11, s10
.LBB61_3:
	s_add_i32 s9, s6, 1
	s_mul_hi_i32 s21, s3, s9
	s_mov_b32 s20, 0
	s_cmp_lg_u64 s[20:21], 0
	s_mul_i32 s9, s3, s9
	s_cbranch_scc0 .LBB61_21
; %bb.4:
	s_add_u32 s16, s22, 0
	s_addc_u32 s17, 0, 0
	s_xor_b64 s[18:19], s[16:17], 0
	v_cvt_f32_u32_e32 v1, s18
	v_cvt_f32_u32_e32 v2, s19
	s_sub_u32 s11, 0, s18
	s_waitcnt lgkmcnt(0)
	s_subb_u32 s15, 0, s19
	v_madmk_f32 v1, v2, 0x4f800000, v1
	v_rcp_f32_e32 v1, v1
	v_mul_f32_e32 v1, 0x5f7ffffc, v1
	v_mul_f32_e32 v2, 0x2f800000, v1
	v_trunc_f32_e32 v2, v2
	v_madmk_f32 v1, v2, 0xcf800000, v1
	v_cvt_u32_f32_e32 v2, v2
	v_cvt_u32_f32_e32 v1, v1
	v_readfirstlane_b32 s20, v2
	v_readfirstlane_b32 s23, v1
	s_mul_i32 s24, s11, s20
	s_mul_hi_u32 s26, s11, s23
	s_mul_i32 s25, s15, s23
	s_add_i32 s24, s26, s24
	s_add_i32 s24, s24, s25
	s_mul_i32 s27, s11, s23
	s_mul_i32 s26, s23, s24
	s_mul_hi_u32 s28, s23, s27
	s_mul_hi_u32 s25, s23, s24
	s_add_u32 s26, s28, s26
	s_addc_u32 s25, 0, s25
	s_mul_hi_u32 s29, s20, s27
	s_mul_i32 s27, s20, s27
	s_add_u32 s26, s26, s27
	s_mul_hi_u32 s28, s20, s24
	s_addc_u32 s25, s25, s29
	s_addc_u32 s26, s28, 0
	s_mul_i32 s24, s20, s24
	s_add_u32 s24, s25, s24
	s_addc_u32 s26, 0, s26
	s_add_u32 s23, s23, s24
	s_cselect_b64 s[24:25], -1, 0
	s_cmp_lg_u64 s[24:25], 0
	s_addc_u32 s20, s20, s26
	s_mul_i32 s24, s11, s20
	s_mul_hi_u32 s25, s11, s23
	s_add_i32 s24, s25, s24
	s_mul_i32 s15, s15, s23
	s_add_i32 s24, s24, s15
	s_mul_i32 s11, s11, s23
	s_mul_hi_u32 s25, s20, s11
	s_mul_i32 s26, s20, s11
	s_mul_i32 s28, s23, s24
	s_mul_hi_u32 s11, s23, s11
	s_mul_hi_u32 s27, s23, s24
	s_add_u32 s11, s11, s28
	s_addc_u32 s27, 0, s27
	s_add_u32 s11, s11, s26
	s_mul_hi_u32 s15, s20, s24
	s_addc_u32 s11, s27, s25
	s_addc_u32 s15, s15, 0
	s_mul_i32 s24, s20, s24
	s_add_u32 s11, s11, s24
	s_addc_u32 s15, 0, s15
	s_add_u32 s11, s23, s11
	s_cselect_b64 s[24:25], -1, 0
	s_cmp_lg_u64 s[24:25], 0
	s_addc_u32 s15, s20, s15
	s_ashr_i32 s24, s21, 31
	s_add_u32 s20, s9, s24
	s_mov_b32 s25, s24
	s_addc_u32 s21, s21, s24
	s_xor_b64 s[20:21], s[20:21], s[24:25]
	s_mul_i32 s26, s20, s15
	s_mul_hi_u32 s27, s20, s11
	s_mul_hi_u32 s23, s20, s15
	s_add_u32 s26, s27, s26
	s_addc_u32 s23, 0, s23
	s_mul_hi_u32 s28, s21, s11
	s_mul_i32 s11, s21, s11
	s_add_u32 s11, s26, s11
	s_mul_hi_u32 s27, s21, s15
	s_addc_u32 s11, s23, s28
	s_addc_u32 s23, s27, 0
	s_mul_i32 s15, s21, s15
	s_add_u32 s11, s11, s15
	s_addc_u32 s15, 0, s23
	s_mul_i32 s23, s18, s15
	s_mul_hi_u32 s26, s18, s11
	s_add_i32 s23, s26, s23
	s_mul_i32 s26, s19, s11
	s_add_i32 s23, s23, s26
	s_sub_i32 s28, s21, s23
	s_mul_i32 s26, s18, s11
	s_sub_u32 s20, s20, s26
	s_cselect_b64 s[26:27], -1, 0
	s_cmp_lg_u64 s[26:27], 0
	s_subb_u32 s30, s28, s19
	s_sub_u32 s31, s20, s18
	s_cselect_b64 s[28:29], -1, 0
	s_cmp_lg_u64 s[28:29], 0
	s_subb_u32 s28, s30, 0
	s_cmp_ge_u32 s28, s19
	s_cselect_b32 s29, -1, 0
	s_cmp_ge_u32 s31, s18
	s_cselect_b32 s30, -1, 0
	s_cmp_eq_u32 s28, s19
	s_cselect_b32 s28, s30, s29
	s_add_u32 s29, s11, 1
	s_addc_u32 s30, s15, 0
	s_add_u32 s31, s11, 2
	s_addc_u32 s33, s15, 0
	s_cmp_lg_u32 s28, 0
	s_cselect_b32 s28, s31, s29
	s_cselect_b32 s29, s33, s30
	s_cmp_lg_u64 s[26:27], 0
	s_subb_u32 s21, s21, s23
	s_cmp_ge_u32 s21, s19
	s_cselect_b32 s23, -1, 0
	s_cmp_ge_u32 s20, s18
	s_cselect_b32 s18, -1, 0
	s_cmp_eq_u32 s21, s19
	s_cselect_b32 s18, s18, s23
	s_cmp_lg_u32 s18, 0
	s_cselect_b32 s19, s29, s15
	s_cselect_b32 s18, s28, s11
	s_xor_b64 s[20:21], s[24:25], 0
	s_xor_b64 s[18:19], s[18:19], s[20:21]
	s_sub_u32 s18, s18, s20
	s_cbranch_execnz .LBB61_6
.LBB61_5:
	v_cvt_f32_u32_e32 v1, s22
	s_sub_i32 s11, 0, s22
	v_rcp_iflag_f32_e32 v1, v1
	v_mul_f32_e32 v1, 0x4f7ffffe, v1
	v_cvt_u32_f32_e32 v1, v1
	s_waitcnt lgkmcnt(0)
	v_readfirstlane_b32 s15, v1
	s_mul_i32 s11, s11, s15
	s_mul_hi_u32 s11, s15, s11
	s_add_i32 s15, s15, s11
	s_mul_hi_u32 s11, s9, s15
	s_mul_i32 s16, s11, s22
	s_sub_i32 s9, s9, s16
	s_add_i32 s15, s11, 1
	s_sub_i32 s16, s9, s22
	s_cmp_ge_u32 s9, s22
	s_cselect_b32 s11, s15, s11
	s_cselect_b32 s9, s16, s9
	s_add_i32 s15, s11, 1
	s_cmp_ge_u32 s9, s22
	s_cselect_b32 s18, s15, s11
.LBB61_6:
	s_cmp_eq_u32 s10, s18
	s_waitcnt lgkmcnt(0)
	s_mul_hi_u32 s9, s10, s12
	s_cselect_b64 s[16:17], -1, 0
	s_add_i32 s9, s9, s10
	s_lshr_b32 s11, s9, s13
	s_mul_i32 s9, s11, s14
	s_cmp_eq_u32 s9, s10
	s_mul_hi_u32 s9, s18, s12
	s_cselect_b64 s[20:21], -1, 0
	s_add_i32 s9, s9, s18
	s_lshr_b32 s9, s9, s13
	s_cmp_eq_u32 s11, s9
	s_mul_i32 s9, s9, s14
	s_cselect_b64 s[24:25], -1, 0
	s_cmp_lg_u32 s9, s18
	s_cselect_b64 s[18:19], -1, 0
	s_and_b64 s[18:19], s[24:25], s[18:19]
	s_or_b64 s[16:17], s[16:17], s[20:21]
	s_or_b64 s[16:17], s[16:17], s[18:19]
	s_and_b64 vcc, exec, s[16:17]
	s_cbranch_vccnz .LBB61_23
; %bb.7:
	s_load_dwordx8 s[24:31], s[4:5], 0x20
	s_load_dword s15, s[4:5], 0x40
	s_waitcnt lgkmcnt(0)
	s_mul_hi_u32 s9, s10, s24
	s_add_i32 s9, s9, s10
	s_lshr_b32 s9, s9, s25
	s_mul_i32 s16, s9, s26
	s_sub_i32 s16, s10, s16
	s_mul_hi_u32 s17, s16, s27
	s_add_i32 s17, s16, s17
	s_lshr_b32 s24, s17, s28
	s_mul_i32 s17, s24, s29
	s_sub_i32 s16, s16, s17
	;; [unrolled: 5-line block ×3, first 2 shown]
	s_mul_hi_u32 s16, s15, s12
	s_add_i32 s15, s15, s16
	s_lshr_b32 s25, s15, s13
	s_lshl_b32 s15, s25, 4
	s_add_i32 s15, s15, s7
	s_cmp_lt_i32 s15, s0
	s_cselect_b64 s[16:17], -1, 0
	s_add_i32 s15, s23, s8
	s_cmp_lt_i32 s15, s2
	s_cselect_b64 s[18:19], -1, 0
	s_and_b64 s[16:17], s[16:17], s[18:19]
	s_andn2_b64 vcc, exec, s[16:17]
	s_cbranch_vccnz .LBB61_23
; %bb.8:
	s_load_dwordx4 s[16:19], s[4:5], 0x0
	s_mov_b32 s4, 0
	s_lshl_b32 s20, s22, 6
	s_mov_b32 s21, s4
	s_add_i32 s15, s7, s8
	s_lshl_b64 s[20:21], s[20:21], 2
	s_waitcnt lgkmcnt(0)
	s_add_u32 s20, s18, s20
	s_mul_i32 s0, s9, s0
	s_addc_u32 s21, s19, s21
	s_add_i32 s0, s0, s7
	s_mul_i32 s0, s0, s1
	s_mul_i32 s24, s24, s2
	s_add_i32 s0, s0, s8
	s_add_i32 s0, s0, s24
	s_mul_i32 s2, s1, s25
	s_add_i32 s0, s0, s23
	s_lshl_b32 s2, s2, 10
	s_lshl_b32 s0, s0, 6
	s_add_i32 s2, s2, s0
	v_or_b32_e32 v1, s2, v0
	v_ashrrev_i32_e32 v2, 31, v1
	v_lshlrev_b64 v[1:2], 2, v[1:2]
	v_mov_b32_e32 v3, s17
	v_add_co_u32_e32 v1, vcc, s16, v1
	v_addc_co_u32_e32 v2, vcc, v3, v2, vcc
	global_load_dword v3, v[1:2], off
	v_cvt_f32_u32_e32 v4, s22
	s_lshl_b32 s0, s6, 4
	s_add_i32 s0, s0, s15
	s_ashr_i32 s1, s0, 31
	s_lshl_b64 s[0:1], s[0:1], 3
	v_rcp_iflag_f32_e32 v4, v4
	s_add_u32 s0, s18, s0
	s_addc_u32 s1, s19, s1
	s_load_dwordx2 s[0:1], s[0:1], 0x0
	v_mul_f32_e32 v4, 0x4f7ffffe, v4
	v_cvt_u32_f32_e32 v4, v4
	s_add_i32 s24, s6, -1
	v_lshl_or_b32 v0, s15, 6, v0
	s_waitcnt lgkmcnt(0)
	v_mov_b32_e32 v6, s1
	v_mov_b32_e32 v7, s0
	s_mov_b32 s2, 0x3fb8aa3b
	s_mov_b32 s16, 0xc2ce8ed0
	;; [unrolled: 1-line block ×4, first 2 shown]
	v_mov_b32_e32 v5, 0x7f800000
	s_mul_hi_i32 s5, s24, s3
	s_cmp_lg_u64 s[4:5], 0
	s_mul_i32 s8, s24, s3
	s_cbranch_scc0 .LBB61_19
.LBB61_9:
	s_add_u32 s0, s22, 0
	s_addc_u32 s1, 0, 0
	s_xor_b64 s[0:1], s[0:1], 0
	v_cvt_f32_u32_e32 v8, s0
	v_cvt_f32_u32_e32 v9, s1
	s_sub_u32 s9, 0, s0
	s_subb_u32 s25, 0, s1
	v_mac_f32_e32 v8, 0x4f800000, v9
	v_rcp_f32_e32 v8, v8
	v_mul_f32_e32 v8, 0x5f7ffffc, v8
	v_mul_f32_e32 v9, 0x2f800000, v8
	v_trunc_f32_e32 v9, v9
	v_mac_f32_e32 v8, 0xcf800000, v9
	v_cvt_u32_f32_e32 v9, v9
	v_cvt_u32_f32_e32 v8, v8
	v_readfirstlane_b32 s26, v9
	v_readfirstlane_b32 s6, v8
	s_mul_i32 s7, s9, s26
	s_mul_hi_u32 s28, s9, s6
	s_mul_i32 s27, s25, s6
	s_add_i32 s7, s28, s7
	s_mul_i32 s29, s9, s6
	s_add_i32 s7, s7, s27
	s_mul_i32 s28, s6, s7
	s_mul_hi_u32 s30, s6, s29
	s_mul_hi_u32 s27, s6, s7
	s_add_u32 s28, s30, s28
	s_addc_u32 s27, 0, s27
	s_mul_hi_u32 s31, s26, s29
	s_mul_i32 s29, s26, s29
	s_add_u32 s28, s28, s29
	s_mul_hi_u32 s30, s26, s7
	s_addc_u32 s27, s27, s31
	s_addc_u32 s28, s30, 0
	s_mul_i32 s7, s26, s7
	s_add_u32 s7, s27, s7
	s_addc_u32 s27, 0, s28
	s_add_u32 s28, s6, s7
	s_cselect_b64 s[6:7], -1, 0
	s_cmp_lg_u64 s[6:7], 0
	s_addc_u32 s26, s26, s27
	s_mul_i32 s6, s9, s26
	s_mul_hi_u32 s7, s9, s28
	s_add_i32 s6, s7, s6
	s_mul_i32 s25, s25, s28
	s_add_i32 s6, s6, s25
	s_mul_i32 s9, s9, s28
	s_mul_hi_u32 s25, s26, s9
	s_mul_i32 s27, s26, s9
	s_mul_i32 s30, s28, s6
	s_mul_hi_u32 s9, s28, s9
	s_mul_hi_u32 s29, s28, s6
	s_add_u32 s9, s9, s30
	s_addc_u32 s29, 0, s29
	s_add_u32 s9, s9, s27
	s_mul_hi_u32 s7, s26, s6
	s_addc_u32 s9, s29, s25
	s_addc_u32 s7, s7, 0
	s_mul_i32 s6, s26, s6
	s_add_u32 s6, s9, s6
	s_addc_u32 s9, 0, s7
	s_add_u32 s25, s28, s6
	s_cselect_b64 s[6:7], -1, 0
	s_cmp_lg_u64 s[6:7], 0
	s_addc_u32 s9, s26, s9
	s_ashr_i32 s6, s5, 31
	s_add_u32 s26, s8, s6
	s_mov_b32 s7, s6
	s_addc_u32 s27, s5, s6
	s_xor_b64 s[26:27], s[26:27], s[6:7]
	s_mul_i32 s28, s26, s9
	s_mul_hi_u32 s29, s26, s25
	s_mul_hi_u32 s5, s26, s9
	s_add_u32 s28, s29, s28
	s_addc_u32 s5, 0, s5
	s_mul_hi_u32 s30, s27, s25
	s_mul_i32 s25, s27, s25
	s_add_u32 s25, s28, s25
	s_mul_hi_u32 s29, s27, s9
	s_addc_u32 s5, s5, s30
	s_addc_u32 s25, s29, 0
	s_mul_i32 s9, s27, s9
	s_add_u32 s5, s5, s9
	s_addc_u32 s9, 0, s25
	s_mul_i32 s25, s0, s9
	s_mul_hi_u32 s28, s0, s5
	s_add_i32 s25, s28, s25
	s_mul_i32 s28, s1, s5
	s_add_i32 s25, s25, s28
	s_sub_i32 s30, s27, s25
	s_mul_i32 s28, s0, s5
	s_sub_u32 s26, s26, s28
	s_cselect_b64 s[28:29], -1, 0
	s_cmp_lg_u64 s[28:29], 0
	s_subb_u32 s33, s30, s1
	s_sub_u32 s34, s26, s0
	s_cselect_b64 s[30:31], -1, 0
	s_cmp_lg_u64 s[30:31], 0
	s_subb_u32 s30, s33, 0
	s_cmp_ge_u32 s30, s1
	s_cselect_b32 s31, -1, 0
	s_cmp_ge_u32 s34, s0
	s_cselect_b32 s33, -1, 0
	s_cmp_eq_u32 s30, s1
	s_cselect_b32 s30, s33, s31
	s_add_u32 s31, s5, 1
	s_addc_u32 s33, s9, 0
	s_add_u32 s34, s5, 2
	s_addc_u32 s35, s9, 0
	s_cmp_lg_u32 s30, 0
	s_cselect_b32 s30, s34, s31
	s_cselect_b32 s31, s35, s33
	s_cmp_lg_u64 s[28:29], 0
	s_subb_u32 s25, s27, s25
	s_cmp_ge_u32 s25, s1
	s_cselect_b32 s27, -1, 0
	s_cmp_ge_u32 s26, s0
	s_cselect_b32 s0, -1, 0
	s_cmp_eq_u32 s25, s1
	s_cselect_b32 s0, s0, s27
	s_cmp_lg_u32 s0, 0
	s_cselect_b32 s1, s31, s9
	s_cselect_b32 s0, s30, s5
	s_xor_b64 s[6:7], s[6:7], 0
	s_xor_b64 s[0:1], s[0:1], s[6:7]
	s_sub_u32 s6, s0, s6
	s_cbranch_execnz .LBB61_11
.LBB61_10:
	s_sub_i32 s0, 0, s22
	v_readfirstlane_b32 s1, v4
	s_mul_i32 s0, s0, s1
	s_mul_hi_u32 s0, s1, s0
	s_add_i32 s1, s1, s0
	s_mul_hi_u32 s0, s8, s1
	s_mul_i32 s5, s0, s22
	s_sub_i32 s5, s8, s5
	s_add_i32 s1, s0, 1
	s_sub_i32 s6, s5, s22
	s_cmp_ge_u32 s5, s22
	s_cselect_b32 s0, s1, s0
	s_cselect_b32 s5, s6, s5
	s_add_i32 s1, s0, 1
	s_cmp_ge_u32 s5, s22
	s_cselect_b32 s6, s1, s0
.LBB61_11:
	s_cmp_lg_u32 s10, s6
	s_mov_b64 s[8:9], -1
                                        ; implicit-def: $sgpr0_sgpr1
                                        ; implicit-def: $vgpr10
                                        ; implicit-def: $vgpr8
                                        ; implicit-def: $vgpr9
                                        ; implicit-def: $sgpr5
                                        ; implicit-def: $sgpr7
	s_cbranch_scc1 .LBB61_14
; %bb.12:
	s_andn2_b64 vcc, exec, s[8:9]
	s_cbranch_vccz .LBB61_17
.LBB61_13:
	s_andn2_b64 vcc, exec, s[0:1]
	s_cbranch_vccnz .LBB61_18
	s_branch .LBB61_22
.LBB61_14:
	s_add_i32 s0, s24, s22
	s_lshl_b32 s0, s0, 4
	s_add_i32 s0, s0, s15
	s_mov_b32 s1, s4
	s_lshl_b64 s[0:1], s[0:1], 3
	s_add_u32 s8, s18, s0
	s_mul_hi_u32 s0, s6, s12
	s_addc_u32 s9, s19, s1
	s_add_i32 s0, s0, s6
	s_lshr_b32 s5, s0, s13
	s_mul_i32 s0, s5, s14
	s_cmp_eq_u32 s0, s6
	s_cselect_b64 s[0:1], -1, 0
	s_cmp_lt_u32 s5, s11
	s_cselect_b64 s[26:27], -1, 0
	s_or_b64 s[26:27], s[26:27], s[0:1]
	s_mov_b64 s[0:1], -1
	s_and_b64 vcc, exec, s[26:27]
	s_mov_b32 s5, s24
	s_mov_b32 s7, s10
	s_cbranch_vccnz .LBB61_16
; %bb.15:
	s_add_i32 s5, s24, -1
	s_mov_b64 s[0:1], 0
	s_mov_b32 s7, s6
.LBB61_16:
	v_lshl_add_u32 v8, s24, 10, v0
	v_ashrrev_i32_e32 v9, 31, v8
	v_lshlrev_b64 v[8:9], 2, v[8:9]
	v_mov_b32_e32 v10, s21
	v_add_co_u32_e32 v8, vcc, s20, v8
	v_addc_co_u32_e32 v9, vcc, v10, v9, vcc
	global_load_dword v10, v[8:9], off
	s_load_dwordx2 s[8:9], s[8:9], 0x0
	v_max_f32_e32 v8, v7, v7
	s_waitcnt lgkmcnt(0)
	v_max_f32_e64 v9, s8, s8
	v_max_f32_e32 v8, v8, v9
	v_sub_f32_e32 v9, v7, v8
	v_sub_f32_e32 v11, s8, v8
	v_mul_f32_e32 v12, 0x3fb8aa3b, v9
	v_mul_f32_e32 v13, 0x3fb8aa3b, v11
	v_fma_f32 v14, v9, s2, -v12
	v_rndne_f32_e32 v15, v12
	v_fma_f32 v16, v11, s2, -v13
	v_rndne_f32_e32 v17, v13
	v_fmac_f32_e32 v14, 0x32a5705f, v9
	v_sub_f32_e32 v12, v12, v15
	v_fmac_f32_e32 v16, 0x32a5705f, v11
	v_sub_f32_e32 v13, v13, v17
	v_add_f32_e32 v12, v12, v14
	v_cvt_i32_f32_e32 v15, v15
	v_add_f32_e32 v13, v13, v16
	v_exp_f32_e32 v12, v12
	v_cvt_i32_f32_e32 v17, v17
	v_exp_f32_e32 v13, v13
	v_cmp_ngt_f32_e32 vcc, s16, v9
	v_ldexp_f32 v12, v12, v15
	v_cndmask_b32_e32 v12, 0, v12, vcc
	v_ldexp_f32 v13, v13, v17
	v_cmp_ngt_f32_e32 vcc, s16, v11
	v_cndmask_b32_e32 v13, 0, v13, vcc
	v_cmp_nlt_f32_e32 vcc, s17, v9
	v_cndmask_b32_e32 v12, v5, v12, vcc
	v_cmp_nlt_f32_e32 vcc, s17, v11
	v_cndmask_b32_e32 v13, v5, v13, vcc
	v_cmp_le_f32_e32 vcc, s23, v9
	v_cndmask_b32_e32 v12, 0, v12, vcc
	v_cmp_le_f32_e32 vcc, s23, v11
	v_cndmask_b32_e32 v11, 0, v13, vcc
	v_mul_f32_e32 v9, s9, v11
	v_fmac_f32_e32 v9, v6, v12
	s_waitcnt vmcnt(0)
	v_mul_f32_e32 v10, v10, v11
	v_fmac_f32_e32 v10, v3, v12
	s_cbranch_execnz .LBB61_13
.LBB61_17:
	s_add_i32 s5, s24, -1
	s_mov_b32 s7, s10
	v_mov_b32_e32 v9, v6
	v_mov_b32_e32 v8, v7
	s_waitcnt vmcnt(0)
	v_mov_b32_e32 v10, v3
	s_cbranch_execz .LBB61_22
.LBB61_18:
	s_mov_b32 s10, s7
	s_mov_b32 s24, s5
	v_mov_b32_e32 v6, v9
	v_mov_b32_e32 v7, v8
	s_waitcnt vmcnt(0)
	v_mov_b32_e32 v3, v10
	s_mul_hi_i32 s5, s24, s3
	s_cmp_lg_u64 s[4:5], 0
	s_mul_i32 s8, s24, s3
	s_cbranch_scc1 .LBB61_9
.LBB61_19:
                                        ; implicit-def: $sgpr6_sgpr7
	s_branch .LBB61_10
.LBB61_20:
                                        ; implicit-def: $sgpr10_sgpr11
	s_load_dwordx4 s[12:15], s[4:5], 0x44
	s_branch .LBB61_2
.LBB61_21:
                                        ; implicit-def: $sgpr18_sgpr19
	s_branch .LBB61_5
.LBB61_22:
	v_div_scale_f32 v0, s[0:1], v9, v9, v10
	s_waitcnt vmcnt(0)
	v_div_scale_f32 v3, vcc, v10, v9, v10
	v_rcp_f32_e32 v4, v0
	v_fma_f32 v5, -v0, v4, 1.0
	v_fmac_f32_e32 v4, v5, v4
	v_mul_f32_e32 v5, v3, v4
	v_fma_f32 v6, -v0, v5, v3
	v_fmac_f32_e32 v5, v6, v4
	v_fma_f32 v0, -v0, v5, v3
	v_div_fmas_f32 v0, v0, v4, v5
	v_div_fixup_f32 v0, v0, v9, v10
	global_store_dword v[1:2], v0, off
.LBB61_23:
	s_endpgm
	.section	.rodata,"a",@progbits
	.p2align	6, 0x0
	.amdhsa_kernel _ZL33flash_attn_stream_k_fixup_generalILi64ELi16ELi1EEvPfPK15HIP_vector_typeIfLj2EEiiiiS1_IjLj3EES5_S5_S5_
		.amdhsa_group_segment_fixed_size 0
		.amdhsa_private_segment_fixed_size 0
		.amdhsa_kernarg_size 336
		.amdhsa_user_sgpr_count 6
		.amdhsa_user_sgpr_private_segment_buffer 1
		.amdhsa_user_sgpr_dispatch_ptr 0
		.amdhsa_user_sgpr_queue_ptr 0
		.amdhsa_user_sgpr_kernarg_segment_ptr 1
		.amdhsa_user_sgpr_dispatch_id 0
		.amdhsa_user_sgpr_flat_scratch_init 0
		.amdhsa_user_sgpr_private_segment_size 0
		.amdhsa_uses_dynamic_stack 0
		.amdhsa_system_sgpr_private_segment_wavefront_offset 0
		.amdhsa_system_sgpr_workgroup_id_x 1
		.amdhsa_system_sgpr_workgroup_id_y 1
		.amdhsa_system_sgpr_workgroup_id_z 1
		.amdhsa_system_sgpr_workgroup_info 0
		.amdhsa_system_vgpr_workitem_id 0
		.amdhsa_next_free_vgpr 18
		.amdhsa_next_free_sgpr 36
		.amdhsa_reserve_vcc 1
		.amdhsa_reserve_flat_scratch 0
		.amdhsa_float_round_mode_32 0
		.amdhsa_float_round_mode_16_64 0
		.amdhsa_float_denorm_mode_32 3
		.amdhsa_float_denorm_mode_16_64 3
		.amdhsa_dx10_clamp 1
		.amdhsa_ieee_mode 1
		.amdhsa_fp16_overflow 0
		.amdhsa_exception_fp_ieee_invalid_op 0
		.amdhsa_exception_fp_denorm_src 0
		.amdhsa_exception_fp_ieee_div_zero 0
		.amdhsa_exception_fp_ieee_overflow 0
		.amdhsa_exception_fp_ieee_underflow 0
		.amdhsa_exception_fp_ieee_inexact 0
		.amdhsa_exception_int_div_zero 0
	.end_amdhsa_kernel
	.section	.text._ZL33flash_attn_stream_k_fixup_generalILi64ELi16ELi1EEvPfPK15HIP_vector_typeIfLj2EEiiiiS1_IjLj3EES5_S5_S5_,"axG",@progbits,_ZL33flash_attn_stream_k_fixup_generalILi64ELi16ELi1EEvPfPK15HIP_vector_typeIfLj2EEiiiiS1_IjLj3EES5_S5_S5_,comdat
.Lfunc_end61:
	.size	_ZL33flash_attn_stream_k_fixup_generalILi64ELi16ELi1EEvPfPK15HIP_vector_typeIfLj2EEiiiiS1_IjLj3EES5_S5_S5_, .Lfunc_end61-_ZL33flash_attn_stream_k_fixup_generalILi64ELi16ELi1EEvPfPK15HIP_vector_typeIfLj2EEiiiiS1_IjLj3EES5_S5_S5_
                                        ; -- End function
	.set _ZL33flash_attn_stream_k_fixup_generalILi64ELi16ELi1EEvPfPK15HIP_vector_typeIfLj2EEiiiiS1_IjLj3EES5_S5_S5_.num_vgpr, 18
	.set _ZL33flash_attn_stream_k_fixup_generalILi64ELi16ELi1EEvPfPK15HIP_vector_typeIfLj2EEiiiiS1_IjLj3EES5_S5_S5_.num_agpr, 0
	.set _ZL33flash_attn_stream_k_fixup_generalILi64ELi16ELi1EEvPfPK15HIP_vector_typeIfLj2EEiiiiS1_IjLj3EES5_S5_S5_.numbered_sgpr, 36
	.set _ZL33flash_attn_stream_k_fixup_generalILi64ELi16ELi1EEvPfPK15HIP_vector_typeIfLj2EEiiiiS1_IjLj3EES5_S5_S5_.num_named_barrier, 0
	.set _ZL33flash_attn_stream_k_fixup_generalILi64ELi16ELi1EEvPfPK15HIP_vector_typeIfLj2EEiiiiS1_IjLj3EES5_S5_S5_.private_seg_size, 0
	.set _ZL33flash_attn_stream_k_fixup_generalILi64ELi16ELi1EEvPfPK15HIP_vector_typeIfLj2EEiiiiS1_IjLj3EES5_S5_S5_.uses_vcc, 1
	.set _ZL33flash_attn_stream_k_fixup_generalILi64ELi16ELi1EEvPfPK15HIP_vector_typeIfLj2EEiiiiS1_IjLj3EES5_S5_S5_.uses_flat_scratch, 0
	.set _ZL33flash_attn_stream_k_fixup_generalILi64ELi16ELi1EEvPfPK15HIP_vector_typeIfLj2EEiiiiS1_IjLj3EES5_S5_S5_.has_dyn_sized_stack, 0
	.set _ZL33flash_attn_stream_k_fixup_generalILi64ELi16ELi1EEvPfPK15HIP_vector_typeIfLj2EEiiiiS1_IjLj3EES5_S5_S5_.has_recursion, 0
	.set _ZL33flash_attn_stream_k_fixup_generalILi64ELi16ELi1EEvPfPK15HIP_vector_typeIfLj2EEiiiiS1_IjLj3EES5_S5_S5_.has_indirect_call, 0
	.section	.AMDGPU.csdata,"",@progbits
; Kernel info:
; codeLenInByte = 2932
; TotalNumSgprs: 40
; NumVgprs: 18
; ScratchSize: 0
; MemoryBound: 0
; FloatMode: 240
; IeeeMode: 1
; LDSByteSize: 0 bytes/workgroup (compile time only)
; SGPRBlocks: 4
; VGPRBlocks: 4
; NumSGPRsForWavesPerEU: 40
; NumVGPRsForWavesPerEU: 18
; Occupancy: 10
; WaveLimiterHint : 0
; COMPUTE_PGM_RSRC2:SCRATCH_EN: 0
; COMPUTE_PGM_RSRC2:USER_SGPR: 6
; COMPUTE_PGM_RSRC2:TRAP_HANDLER: 0
; COMPUTE_PGM_RSRC2:TGID_X_EN: 1
; COMPUTE_PGM_RSRC2:TGID_Y_EN: 1
; COMPUTE_PGM_RSRC2:TGID_Z_EN: 1
; COMPUTE_PGM_RSRC2:TIDIG_COMP_CNT: 0
	.section	.text._ZL15flash_attn_tileILi64ELi64ELi8ELi1ELb0EEvPKcS1_S1_S1_S1_PKiPfP15HIP_vector_typeIfLj2EEffffjfiS5_IjLj3EEiiiiiiiiiiiliiliiiiil,"axG",@progbits,_ZL15flash_attn_tileILi64ELi64ELi8ELi1ELb0EEvPKcS1_S1_S1_S1_PKiPfP15HIP_vector_typeIfLj2EEffffjfiS5_IjLj3EEiiiiiiiiiiiliiliiiiil,comdat
	.globl	_ZL15flash_attn_tileILi64ELi64ELi8ELi1ELb0EEvPKcS1_S1_S1_S1_PKiPfP15HIP_vector_typeIfLj2EEffffjfiS5_IjLj3EEiiiiiiiiiiiliiliiiiil ; -- Begin function _ZL15flash_attn_tileILi64ELi64ELi8ELi1ELb0EEvPKcS1_S1_S1_S1_PKiPfP15HIP_vector_typeIfLj2EEffffjfiS5_IjLj3EEiiiiiiiiiiiliiliiiiil
	.p2align	8
	.type	_ZL15flash_attn_tileILi64ELi64ELi8ELi1ELb0EEvPKcS1_S1_S1_S1_PKiPfP15HIP_vector_typeIfLj2EEffffjfiS5_IjLj3EEiiiiiiiiiiiliiliiiiil,@function
_ZL15flash_attn_tileILi64ELi64ELi8ELi1ELb0EEvPKcS1_S1_S1_S1_PKiPfP15HIP_vector_typeIfLj2EEffffjfiS5_IjLj3EEiiiiiiiiiiiliiliiiiil: ; @_ZL15flash_attn_tileILi64ELi64ELi8ELi1ELb0EEvPKcS1_S1_S1_S1_PKiPfP15HIP_vector_typeIfLj2EEffffjfiS5_IjLj3EEiiiiiiiiiiiliiliiiiil
; %bb.0:
	s_load_dwordx4 s[28:31], s[4:5], 0x5c
	s_load_dwordx2 s[46:47], s[4:5], 0x80
	s_add_u32 flat_scratch_lo, s6, s11
	s_addc_u32 flat_scratch_hi, s7, 0
	s_add_u32 s0, s0, s11
	s_waitcnt lgkmcnt(0)
	v_cvt_f32_u32_e32 v2, s31
	s_addc_u32 s1, s1, 0
	s_sub_i32 s6, 0, s31
	s_load_dwordx2 s[48:49], s[4:5], 0xb8
	v_rcp_iflag_f32_e32 v2, v2
	s_mov_b64 s[44:45], 0
	v_mul_f32_e32 v2, 0x4f7ffffe, v2
	v_cvt_u32_f32_e32 v2, v2
	v_readfirstlane_b32 s7, v2
	s_mul_i32 s6, s6, s7
	s_mul_hi_u32 s6, s7, s6
	s_add_i32 s7, s7, s6
	s_mul_hi_u32 s6, s10, s7
	s_mul_i32 s7, s6, s31
	s_sub_i32 s7, s10, s7
	s_add_i32 s11, s6, 1
	s_sub_i32 s12, s7, s31
	s_cmp_ge_u32 s7, s31
	s_cselect_b32 s6, s11, s6
	s_cselect_b32 s7, s12, s7
	s_add_i32 s11, s6, 1
	s_cmp_ge_u32 s7, s31
	s_cselect_b32 s33, s11, s6
	s_abs_i32 s6, s47
	v_cvt_f32_u32_e32 v2, s6
	s_mul_i32 s12, s33, s31
	s_sub_i32 s13, 0, s6
	s_sub_i32 s34, s10, s12
	v_rcp_iflag_f32_e32 v2, v2
	s_abs_i32 s11, s31
	s_xor_b32 s7, s31, s47
	s_ashr_i32 s7, s7, 31
	v_mul_f32_e32 v2, 0x4f7ffffe, v2
	v_cvt_u32_f32_e32 v2, v2
	v_readfirstlane_b32 s10, v2
	s_mul_i32 s13, s13, s10
	s_mul_hi_u32 s12, s10, s13
	s_add_i32 s10, s10, s12
	s_mul_hi_u32 s10, s11, s10
	s_mul_i32 s12, s10, s6
	s_sub_i32 s11, s11, s12
	s_add_i32 s13, s10, 1
	s_sub_i32 s12, s11, s6
	s_cmp_ge_u32 s11, s6
	s_cselect_b32 s10, s13, s10
	s_cselect_b32 s11, s12, s11
	s_add_i32 s12, s10, 1
	s_cmp_ge_u32 s11, s6
	s_cselect_b32 s6, s12, s10
	s_xor_b32 s6, s6, s7
	s_sub_i32 s51, s6, s7
	s_abs_i32 s47, s51
	v_cvt_f32_u32_e32 v2, s47
	s_load_dwordx16 s[12:27], s[4:5], 0x0
	s_sub_i32 s6, 0, s47
	s_abs_i32 s50, s34
	v_rcp_iflag_f32_e32 v2, v2
	v_mul_f32_e32 v2, 0x4f7ffffe, v2
	v_cvt_u32_f32_e32 v2, v2
	v_readfirstlane_b32 s7, v2
	s_mul_i32 s6, s6, s7
	s_mul_hi_u32 s6, s7, s6
	s_add_i32 s6, s7, s6
	s_waitcnt lgkmcnt(0)
	s_cmp_eq_u64 s[18:19], 0
	s_cbranch_scc1 .LBB62_2
; %bb.1:
	s_abs_i32 s7, s48
	v_cvt_f32_u32_e32 v2, s7
	s_sub_i32 s37, 0, s7
	s_abs_i32 s36, s33
	s_ashr_i32 s35, s33, 31
	v_rcp_iflag_f32_e32 v2, v2
	s_load_dwordx2 s[10:11], s[4:5], 0xc8
	v_mul_f32_e32 v2, 0x4f7ffffe, v2
	v_cvt_u32_f32_e32 v2, v2
	v_readfirstlane_b32 s38, v2
	s_mul_i32 s37, s37, s38
	s_mul_hi_u32 s37, s38, s37
	s_add_i32 s38, s38, s37
	s_mul_hi_u32 s37, s36, s38
	s_mul_i32 s37, s37, s7
	s_sub_i32 s36, s36, s37
	s_sub_i32 s37, s36, s7
	s_cmp_ge_u32 s36, s7
	s_cselect_b32 s36, s37, s36
	s_sub_i32 s37, s36, s7
	s_cmp_ge_u32 s36, s7
	s_cselect_b32 s7, s37, s36
	s_xor_b32 s7, s7, s35
	s_sub_i32 s7, s7, s35
	s_ashr_i32 s35, s7, 31
	s_waitcnt lgkmcnt(0)
	s_mul_hi_u32 s36, s10, s7
	s_mul_i32 s35, s10, s35
	s_mul_i32 s11, s11, s7
	s_add_i32 s35, s36, s35
	s_add_i32 s35, s35, s11
	s_mul_i32 s7, s10, s7
	s_add_u32 s44, s18, s7
	s_addc_u32 s45, s19, s35
.LBB62_2:
	s_load_dwordx4 s[36:39], s[4:5], 0x40
	s_mul_hi_u32 s19, s50, s6
	s_load_dword s6, s[4:5], 0x50
	v_mov_b32_e32 v19, 1.0
	s_waitcnt lgkmcnt(0)
	v_cmp_le_f32_e64 s[10:11], s37, 0
	s_and_b64 vcc, exec, s[10:11]
	s_cbranch_vccnz .LBB62_4
; %bb.3:
	v_mov_b32_e32 v2, s6
	v_sub_co_u32_e32 v2, vcc, s34, v2
	v_mov_b32_e32 v3, s39
	v_mov_b32_e32 v4, s38
	s_add_i32 s6, s34, 1
	v_lshlrev_b32_e32 v2, 1, v2
	v_cndmask_b32_e32 v3, v3, v4, vcc
	v_or_b32_e32 v2, 1, v2
	v_mov_b32_e32 v4, s6
	v_cndmask_b32_e32 v2, v2, v4, vcc
	v_cvt_f32_i32_e32 v2, v2
	v_cmp_neq_f32_e32 vcc, 1.0, v3
	s_mov_b32 s6, 0x3f2aaaab
	s_movk_i32 s10, 0x204
	v_cndmask_b32_e32 v4, 1.0, v2, vcc
	v_cmp_neq_f32_e32 vcc, 0, v4
	v_cndmask_b32_e32 v5, 1.0, v3, vcc
	v_frexp_mant_f32_e64 v2, |v5|
	v_cmp_gt_f32_e32 vcc, s6, v2
	v_cndmask_b32_e64 v3, 1.0, 2.0, vcc
	v_mul_f32_e32 v2, v2, v3
	v_add_f32_e32 v3, 1.0, v2
	v_rcp_f32_e32 v6, v3
	v_add_f32_e32 v7, -1.0, v2
	v_add_f32_e32 v8, -1.0, v3
	v_sub_f32_e32 v2, v2, v8
	v_mul_f32_e32 v8, v7, v6
	v_mul_f32_e32 v9, v3, v8
	v_fma_f32 v3, v8, v3, -v9
	v_fmac_f32_e32 v3, v8, v2
	v_add_f32_e32 v2, v9, v3
	v_sub_f32_e32 v10, v7, v2
	v_sub_f32_e32 v9, v2, v9
	;; [unrolled: 1-line block ×5, first 2 shown]
	v_add_f32_e32 v2, v3, v2
	v_add_f32_e32 v2, v10, v2
	v_mul_f32_e32 v2, v6, v2
	v_add_f32_e32 v6, v8, v2
	v_sub_f32_e32 v3, v6, v8
	v_sub_f32_e32 v7, v2, v3
	v_mul_f32_e32 v2, v6, v6
	v_fma_f32 v3, v6, v6, -v2
	v_add_f32_e32 v8, v7, v7
	v_fmac_f32_e32 v3, v6, v8
	v_add_f32_e32 v8, v2, v3
	v_mov_b32_e32 v9, 0x3e91f4c4
	v_sub_f32_e32 v2, v8, v2
	v_fmac_f32_e32 v9, 0x3e76c4e1, v8
	v_mov_b32_e32 v10, 0x3ecccdef
	v_sub_f32_e32 v2, v3, v2
	v_mul_f32_e32 v3, v6, v8
	v_fmac_f32_e32 v10, v8, v9
	v_fma_f32 v9, v8, v6, -v3
	v_fmac_f32_e32 v9, v8, v7
	v_fmac_f32_e32 v9, v2, v6
	v_add_f32_e32 v11, v3, v9
	v_sub_f32_e32 v3, v11, v3
	v_sub_f32_e32 v9, v9, v3
	v_mul_f32_e32 v3, v8, v10
	v_fma_f32 v8, v8, v10, -v3
	v_fmac_f32_e32 v8, v2, v10
	v_add_f32_e32 v10, v3, v8
	v_sub_f32_e32 v2, v10, v3
	v_sub_f32_e32 v8, v8, v2
	v_cvt_f64_f32_e64 v[2:3], |v5|
	v_add_f32_e32 v12, 0x3f2aaaaa, v10
	v_add_f32_e32 v13, 0xbf2aaaaa, v12
	;; [unrolled: 1-line block ×3, first 2 shown]
	v_frexp_exp_i32_f64_e32 v2, v[2:3]
	v_sub_f32_e32 v10, v10, v13
	v_add_f32_e32 v3, v8, v10
	v_add_f32_e32 v8, v12, v3
	v_sub_f32_e32 v10, v12, v8
	v_add_f32_e32 v3, v3, v10
	v_mul_f32_e32 v10, v11, v8
	v_fma_f32 v12, v11, v8, -v10
	v_subbrev_co_u32_e32 v2, vcc, 0, v2, vcc
	v_cvt_f32_i32_e32 v2, v2
	v_fmac_f32_e32 v12, v11, v3
	s_mov_b32 s6, 0x3f317218
	v_fmac_f32_e32 v12, v9, v8
	v_mul_f32_e32 v3, 0x3f317218, v2
	v_fma_f32 v8, v2, s6, -v3
	v_fmac_f32_e32 v8, 0xb102e308, v2
	v_ldexp_f32 v2, v7, 1
	v_add_f32_e32 v7, v3, v8
	v_sub_f32_e32 v3, v7, v3
	v_ldexp_f32 v6, v6, 1
	v_sub_f32_e32 v3, v8, v3
	v_add_f32_e32 v8, v10, v12
	v_sub_f32_e32 v9, v8, v10
	v_add_f32_e32 v10, v6, v8
	v_sub_f32_e32 v9, v12, v9
	v_sub_f32_e32 v6, v10, v6
	;; [unrolled: 1-line block ×3, first 2 shown]
	v_add_f32_e32 v2, v2, v9
	v_add_f32_e32 v2, v2, v6
	;; [unrolled: 1-line block ×3, first 2 shown]
	v_sub_f32_e32 v8, v6, v10
	v_sub_f32_e32 v2, v2, v8
	v_add_f32_e32 v8, v7, v6
	v_sub_f32_e32 v9, v8, v7
	v_sub_f32_e32 v10, v8, v9
	;; [unrolled: 1-line block ×4, first 2 shown]
	v_add_f32_e32 v6, v6, v7
	v_add_f32_e32 v7, v3, v2
	v_sub_f32_e32 v9, v7, v3
	v_sub_f32_e32 v10, v7, v9
	;; [unrolled: 1-line block ×4, first 2 shown]
	v_add_f32_e32 v2, v2, v3
	v_add_f32_e32 v3, v7, v6
	;; [unrolled: 1-line block ×3, first 2 shown]
	v_sub_f32_e32 v7, v6, v8
	v_sub_f32_e32 v3, v3, v7
	v_add_f32_e32 v2, v2, v3
	v_add_f32_e32 v3, v6, v2
	v_sub_f32_e32 v6, v3, v6
	v_sub_f32_e32 v2, v2, v6
	v_mul_f32_e32 v6, v4, v3
	v_fma_f32 v3, v4, v3, -v6
	v_fmac_f32_e32 v3, v4, v2
	v_add_f32_e32 v2, v6, v3
	v_cmp_class_f32_e64 vcc, v6, s10
	v_sub_f32_e32 v7, v2, v6
	v_cndmask_b32_e32 v2, v2, v6, vcc
	s_mov_b32 s7, 0x42b17218
	v_mov_b32_e32 v6, 0x37000000
	v_cmp_eq_f32_e32 vcc, s7, v2
	v_cndmask_b32_e32 v6, 0, v6, vcc
	v_sub_f32_e32 v3, v3, v7
	v_sub_f32_e32 v7, v2, v6
	s_mov_b32 s11, 0x3fb8aa3b
	v_mul_f32_e32 v8, 0x3fb8aa3b, v7
	v_fma_f32 v9, v7, s11, -v8
	v_rndne_f32_e32 v10, v8
	v_fmac_f32_e32 v9, 0x32a5705f, v7
	v_sub_f32_e32 v8, v8, v10
	v_add_f32_e32 v8, v8, v9
	v_exp_f32_e32 v8, v8
	v_cvt_i32_f32_e32 v9, v10
	s_mov_b32 s6, 0x7f800000
	v_cmp_neq_f32_e64 vcc, |v2|, s6
	s_mov_b32 s6, 0xc2ce8ed0
	v_cndmask_b32_e32 v2, 0, v3, vcc
	v_ldexp_f32 v3, v8, v9
	v_cmp_ngt_f32_e32 vcc, s6, v7
	v_add_f32_e32 v2, v6, v2
	v_cndmask_b32_e32 v3, 0, v3, vcc
	v_mov_b32_e32 v6, 0x7f800000
	v_cmp_nlt_f32_e32 vcc, s7, v7
	v_cndmask_b32_e32 v3, v6, v3, vcc
	v_fma_f32 v2, v3, v2, v3
	v_cmp_class_f32_e64 vcc, v3, s10
	v_cndmask_b32_e32 v2, v2, v3, vcc
	v_trunc_f32_e32 v3, v4
	v_cmp_eq_f32_e32 vcc, v3, v4
	v_mul_f32_e32 v3, 0.5, v4
	v_trunc_f32_e32 v8, v3
	v_cmp_neq_f32_e64 s[6:7], v8, v3
	s_and_b64 s[6:7], vcc, s[6:7]
	v_cndmask_b32_e64 v3, 1.0, v5, s[6:7]
	s_brev_b32 s18, -2
	v_mov_b32_e32 v7, 0x7fc00000
	v_bfi_b32 v2, s18, v2, v3
	v_cndmask_b32_e32 v3, v7, v2, vcc
	v_cmp_gt_f32_e32 vcc, 0, v5
	v_cndmask_b32_e32 v2, v2, v3, vcc
	v_cmp_class_f32_e64 s[38:39], v5, s10
	v_cmp_eq_f32_e32 vcc, 0, v5
	v_cmp_gt_f32_e64 s[10:11], 0, v4
	s_xor_b64 s[10:11], s[10:11], vcc
	v_cndmask_b32_e64 v3, v6, 0, s[10:11]
	v_cndmask_b32_e64 v4, 0, v5, s[6:7]
	v_bfi_b32 v3, s18, v3, v4
	s_or_b64 vcc, vcc, s[38:39]
	v_cndmask_b32_e32 v2, v2, v3, vcc
	v_cmp_o_f32_e32 vcc, v5, v5
	v_cndmask_b32_e32 v19, v7, v2, vcc
.LBB62_4:
	s_lshl_b32 s18, s8, 3
	v_lshlrev_b32_e32 v14, 1, v1
	s_load_dwordx4 s[40:43], s[4:5], 0x70
	v_add_u32_e32 v15, s18, v14
	v_mul_hi_u32 v2, v15, s28
	v_or_b32_e32 v12, 1, v14
	v_add_u32_e32 v13, s18, v12
	s_waitcnt lgkmcnt(0)
	s_mul_i32 s7, s33, s42
	v_add_u32_e32 v2, v15, v2
	s_ashr_i32 s35, s34, 31
	s_ashr_i32 s6, s51, 31
	;; [unrolled: 1-line block ×3, first 2 shown]
	v_lshrrev_b32_e32 v2, s29, v2
	v_mul_hi_u32 v4, v13, s28
	s_add_u32 s7, s12, s7
	s_mul_i32 s11, s34, s41
	v_mul_lo_u32 v2, v2, s30
	s_addc_u32 s10, s13, s10
	s_ashr_i32 s12, s11, 31
	s_add_u32 s7, s7, s11
	s_addc_u32 s37, s10, s12
	s_ashr_i32 s41, s40, 31
	v_add_u32_e32 v4, v13, v4
	s_lshr_b64 s[10:11], s[40:41], 2
	v_sub_u32_e32 v20, v15, v2
	v_lshrrev_b32_e32 v4, s29, v4
	v_mad_u64_u32 v[2:3], s[12:13], s10, v20, 0
	v_mul_lo_u32 v5, v4, s30
	v_mov_b32_e32 v7, s37
	s_lshr_b32 s37, s41, 2
	v_mad_u64_u32 v[3:4], s[12:13], s37, v20, v[3:4]
	v_sub_u32_e32 v8, v13, v5
	v_mad_u64_u32 v[4:5], s[10:11], s10, v8, 0
	v_lshlrev_b32_e32 v6, 3, v0
	v_add_co_u32_e32 v9, vcc, s7, v6
	v_mad_u64_u32 v[5:6], s[10:11], s37, v8, v[5:6]
	v_lshlrev_b64 v[2:3], 2, v[2:3]
	v_addc_co_u32_e32 v7, vcc, 0, v7, vcc
	v_add_co_u32_e32 v2, vcc, v9, v2
	v_lshlrev_b64 v[4:5], 2, v[4:5]
	v_addc_co_u32_e32 v3, vcc, v7, v3, vcc
	v_add_co_u32_e32 v4, vcc, v9, v4
	global_load_dwordx2 v[2:3], v[2:3], off
	v_addc_co_u32_e32 v5, vcc, v7, v5, vcc
	global_load_dwordx2 v[4:5], v[4:5], off
	v_mov_b32_e32 v6, 0x1200
	v_lshlrev_b32_e32 v21, 8, v1
	v_lshl_or_b32 v6, v0, 2, v6
	v_add_u32_e32 v7, v6, v21
	v_mov_b32_e32 v25, 0
	v_lshl_add_u32 v6, v12, 7, v6
	s_cmp_eq_u64 s[22:23], 0
	s_waitcnt vmcnt(1)
	v_fma_mixlo_f16 v3, s36, v3, 0
	v_fma_mixlo_f16 v2, s36, v2, 0
	v_lshlrev_b32_e32 v3, 16, v3
	s_waitcnt vmcnt(0)
	v_fma_mixlo_f16 v5, s36, v5, 0
	v_fma_mixlo_f16 v4, s36, v4, 0
	v_or_b32_sdwa v2, v3, v2 dst_sel:DWORD dst_unused:UNUSED_PAD src0_sel:DWORD src1_sel:WORD_0
	v_lshlrev_b32_e32 v3, 16, v5
	ds_write_b32 v7, v2
	v_or_b32_sdwa v2, v3, v4 dst_sel:DWORD dst_unused:UNUSED_PAD src0_sel:DWORD src1_sel:WORD_0
	ds_write_b32 v6, v2
	s_waitcnt lgkmcnt(0)
	s_barrier
	s_cbranch_scc1 .LBB62_6
; %bb.5:
	s_load_dword s7, s[4:5], 0xd0
	s_mov_b32 s11, 0
	s_waitcnt lgkmcnt(0)
	s_mul_i32 s7, s7, s33
	s_add_i32 s10, s7, s8
	s_lshl_b64 s[10:11], s[10:11], 2
	s_add_u32 s10, s22, s10
	s_addc_u32 s11, s23, s11
	s_load_dword s46, s[10:11], 0x0
.LBB62_6:
	s_nop 0
	s_load_dwordx2 s[10:11], s[4:5], 0x8c
	s_load_dwordx4 s[40:43], s[4:5], 0x98
	s_load_dwordx2 s[22:23], s[4:5], 0xa8
	s_ashr_i32 s7, s33, 31
	s_ashr_i32 s36, s49, 1
	s_waitcnt lgkmcnt(0)
	s_ashr_i32 s12, s10, 2
	s_mul_hi_u32 s10, s40, s33
	s_mul_i32 s13, s40, s7
	s_add_i32 s10, s10, s13
	s_mul_i32 s13, s41, s33
	s_ashr_i32 s8, s42, 2
	s_add_i32 s10, s10, s13
	s_mul_i32 s13, s40, s33
	s_add_u32 s13, s14, s13
	s_mul_i32 s14, s19, s47
	s_addc_u32 s10, s15, s10
	s_sub_i32 s14, s50, s14
	s_xor_b32 s6, s35, s6
	s_add_i32 s15, s19, 1
	s_sub_i32 s37, s14, s47
	s_cmp_ge_u32 s14, s47
	s_cselect_b32 s15, s15, s19
	s_cselect_b32 s14, s37, s14
	s_add_i32 s19, s15, 1
	s_cmp_ge_u32 s14, s47
	s_cselect_b32 s14, s19, s15
	s_xor_b32 s14, s14, s6
	s_sub_i32 s6, s14, s6
	s_mul_i32 s11, s6, s11
	s_ashr_i32 s14, s11, 31
	s_add_u32 s13, s13, s11
	s_addc_u32 s14, s10, s14
	s_mul_hi_u32 s10, s22, s33
	s_mul_i32 s7, s22, s7
	s_add_i32 s7, s10, s7
	s_mul_i32 s10, s23, s33
	s_add_i32 s7, s7, s10
	s_mul_i32 s10, s22, s33
	s_add_u32 s10, s16, s10
	s_mul_i32 s6, s6, s43
	s_addc_u32 s7, s17, s7
	s_ashr_i32 s11, s6, 31
	s_add_u32 s19, s10, s6
	s_addc_u32 s22, s7, s11
	s_lshl_b32 s23, s9, 5
	s_sub_i32 s15, s46, 32
	s_cmp_ge_i32 s23, s15
	v_lshrrev_b32_e32 v26, 3, v0
	v_lshlrev_b32_e32 v16, 2, v0
	v_mbcnt_lo_u32_b32 v22, -1, 0
	s_cbranch_scc1 .LBB62_15
; %bb.7:
	v_or_b32_e32 v8, 1, v15
	v_mul_hi_u32 v9, s28, v8
	v_lshl_add_u32 v4, v1, 2, v26
	v_mul_lo_u32 v2, s12, v4
	v_and_b32_e32 v18, 28, v16
	v_add_u32_e32 v9, v8, v9
	v_lshrrev_b32_e32 v9, s29, v9
	v_mul_lo_u32 v9, v9, s30
	v_lshlrev_b32_e32 v5, 2, v18
	s_movk_i32 s6, 0x90
	v_lshl_add_u32 v6, s12, 4, v2
	v_sub_u32_e32 v8, v8, v9
	v_mul_lo_u32 v31, v8, s36
	v_mul_lo_u32 v8, s8, v4
	s_cmp_lg_u64 s[44:45], 0
	v_mul_lo_u32 v30, v20, s36
	v_mov_b32_e32 v9, 0x1600
	v_lshl_add_u32 v10, s8, 4, v8
	v_mad_u32_u24 v23, v4, s6, v5
	v_ashrrev_i32_e32 v3, 31, v2
	v_ashrrev_i32_e32 v7, 31, v6
	s_cselect_b64 s[6:7], -1, 0
	v_lshl_add_u32 v32, v1, 7, v9
	v_ashrrev_i32_e32 v9, 31, v8
	v_ashrrev_i32_e32 v11, 31, v10
	v_lshl_or_b32 v33, v4, 7, v5
	s_add_u32 s10, s4, 0xd0
	v_lshlrev_b64 v[4:5], 2, v[2:3]
	v_lshlrev_b64 v[6:7], 2, v[6:7]
	v_cndmask_b32_e64 v2, 0, 1, s[6:7]
	v_lshlrev_b64 v[8:9], 2, v[8:9]
	v_lshlrev_b64 v[10:11], 2, v[10:11]
	v_mov_b32_e32 v17, 0
	v_add_u32_e32 v24, 0x900, v23
	v_mul_u32_u24_e32 v28, 0x90, v0
	v_add_u32_e32 v29, 0x1200, v21
	v_add_u32_e32 v34, 0x800, v33
	s_addc_u32 s11, s5, 0
	v_mov_b32_e32 v42, 0xfeffffff
	v_lshlrev_b32_e32 v35, 2, v18
	s_mov_b32 s16, 0x3fb8aa3b
	s_mov_b32 s17, 0xc2ce8ed0
	;; [unrolled: 1-line block ×4, first 2 shown]
	v_add_u32_e32 v36, v32, v16
	v_cmp_ne_u32_e64 s[6:7], 1, v2
	v_mbcnt_hi_u32_b32 v37, -1, v22
	v_mov_b32_e32 v38, 0x7f800000
	v_mov_b32_e32 v18, 0
	;; [unrolled: 1-line block ×5, first 2 shown]
.LBB62_8:                               ; =>This Inner Loop Header: Depth=1
	s_mul_hi_i32 s41, s23, s12
	s_mul_i32 s40, s23, s12
	s_lshl_b64 s[40:41], s[40:41], 2
	s_add_u32 s39, s13, s40
	s_addc_u32 s40, s14, s41
	v_mov_b32_e32 v2, s40
	v_add_co_u32_e32 v3, vcc, s39, v4
	v_addc_co_u32_e32 v25, vcc, v2, v5, vcc
	v_add_co_u32_e32 v2, vcc, v3, v35
	v_addc_co_u32_e32 v3, vcc, 0, v25, vcc
	v_mov_b32_e32 v25, s40
	v_add_co_u32_e32 v27, vcc, s39, v6
	v_addc_co_u32_e32 v25, vcc, v25, v7, vcc
	v_add_co_u32_e32 v51, vcc, v27, v35
	v_addc_co_u32_e32 v52, vcc, 0, v25, vcc
	global_load_dwordx4 v[43:46], v[2:3], off
	global_load_dwordx4 v[47:50], v[51:52], off
	v_mov_b32_e32 v3, 0
	v_mov_b32_e32 v2, 0
	s_and_b64 vcc, exec, s[6:7]
	v_mov_b32_e32 v25, 0
	s_waitcnt vmcnt(1)
	ds_write_b128 v23, v[43:46]
	s_waitcnt vmcnt(0)
	ds_write_b128 v24, v[47:50]
	s_waitcnt lgkmcnt(0)
	s_barrier
	ds_read_b128 v[43:46], v28
	ds_read_b128 v[47:50], v29
	ds_read_b128 v[51:54], v29 offset:128
	s_waitcnt lgkmcnt(1)
	;;#ASMSTART
	v_dot2_f32_f16 v3, v43, v47, v3
	;;#ASMEND
	;;#ASMSTART
	v_dot2_f32_f16 v3, v44, v48, v3
	;;#ASMEND
	;;#ASMSTART
	v_dot2_f32_f16 v3, v45, v49, v3
	;;#ASMEND
	;;#ASMSTART
	v_dot2_f32_f16 v3, v46, v50, v3
	;;#ASMEND
	s_waitcnt lgkmcnt(0)
	;;#ASMSTART
	v_dot2_f32_f16 v2, v43, v51, v2
	;;#ASMEND
	;;#ASMSTART
	v_dot2_f32_f16 v2, v44, v52, v2
	;;#ASMEND
	;;#ASMSTART
	v_dot2_f32_f16 v2, v45, v53, v2
	;;#ASMEND
	;;#ASMSTART
	v_dot2_f32_f16 v2, v46, v54, v2
	;;#ASMEND
	ds_read_b128 v[43:46], v28 offset:16
	ds_read_b128 v[47:50], v29 offset:16
	ds_read_b128 v[51:54], v29 offset:144
	s_waitcnt lgkmcnt(1)
	;;#ASMSTART
	v_dot2_f32_f16 v3, v43, v47, v3
	;;#ASMEND
	;;#ASMSTART
	v_dot2_f32_f16 v3, v44, v48, v3
	;;#ASMEND
	;;#ASMSTART
	v_dot2_f32_f16 v3, v45, v49, v3
	;;#ASMEND
	;;#ASMSTART
	v_dot2_f32_f16 v3, v46, v50, v3
	;;#ASMEND
	s_waitcnt lgkmcnt(0)
	;;#ASMSTART
	v_dot2_f32_f16 v2, v43, v51, v2
	;;#ASMEND
	;;#ASMSTART
	v_dot2_f32_f16 v2, v44, v52, v2
	;;#ASMEND
	;;#ASMSTART
	v_dot2_f32_f16 v2, v45, v53, v2
	;;#ASMEND
	;;#ASMSTART
	v_dot2_f32_f16 v2, v46, v54, v2
	;;#ASMEND
	ds_read_b128 v[43:46], v28 offset:32
	ds_read_b128 v[47:50], v29 offset:32
	;; [unrolled: 29-line block ×7, first 2 shown]
	ds_read_b128 v[55:58], v29 offset:240
	s_waitcnt lgkmcnt(1)
	;;#ASMSTART
	v_dot2_f32_f16 v3, v47, v51, v3
	;;#ASMEND
	;;#ASMSTART
	v_dot2_f32_f16 v3, v48, v52, v3
	;;#ASMEND
	;; [unrolled: 3-line block ×4, first 2 shown]
	s_waitcnt lgkmcnt(0)
	;;#ASMSTART
	v_dot2_f32_f16 v2, v47, v55, v2
	;;#ASMEND
	;;#ASMSTART
	v_dot2_f32_f16 v2, v48, v56, v2
	;;#ASMEND
	v_add_u32_e32 v46, s23, v0
	;;#ASMSTART
	v_dot2_f32_f16 v2, v49, v57, v2
	;;#ASMEND
	;;#ASMSTART
	v_dot2_f32_f16 v2, v50, v58, v2
	;;#ASMEND
	s_cbranch_vccnz .LBB62_10
; %bb.9:                                ;   in Loop: Header=BB62_8 Depth=1
	v_add_u32_e32 v43, v46, v30
	v_ashrrev_i32_e32 v44, 31, v43
	v_lshlrev_b64 v[43:44], 1, v[43:44]
	v_mov_b32_e32 v25, s45
	v_add_co_u32_e32 v43, vcc, s44, v43
	v_addc_co_u32_e32 v44, vcc, v25, v44, vcc
	global_load_ushort v25, v[43:44], off
	s_waitcnt vmcnt(0)
	v_cvt_f32_f16_e32 v25, v25
	v_mul_f32_e32 v25, v19, v25
.LBB62_10:                              ;   in Loop: Header=BB62_8 Depth=1
	v_and_b32_e32 v27, 0x60, v37
	v_add_u32_e32 v27, 32, v27
	v_xor_b32_e32 v43, 16, v37
	v_cmp_lt_i32_e32 vcc, v43, v27
	v_cndmask_b32_e32 v43, v37, v43, vcc
	v_add_f32_e32 v25, v3, v25
	v_lshlrev_b32_e32 v47, 2, v43
	v_add_f32_e32 v3, 0x40051340, v25
	v_max_f32_e32 v43, v42, v42
	v_max_f32_e32 v3, v43, v3
	ds_bpermute_b32 v43, v47, v3
	v_xor_b32_e32 v44, 8, v37
	v_cmp_lt_i32_e32 vcc, v44, v27
	v_cndmask_b32_e32 v44, v37, v44, vcc
	v_lshlrev_b32_e32 v48, 2, v44
	s_waitcnt lgkmcnt(0)
	v_max_f32_e32 v43, v43, v43
	v_max_f32_e32 v3, v3, v43
	ds_bpermute_b32 v43, v48, v3
	v_xor_b32_e32 v44, 4, v37
	v_cmp_lt_i32_e32 vcc, v44, v27
	v_cndmask_b32_e32 v44, v37, v44, vcc
	v_lshlrev_b32_e32 v45, 2, v44
	s_waitcnt lgkmcnt(0)
	;; [unrolled: 8-line block ×4, first 2 shown]
	v_max_f32_e32 v44, v44, v44
	v_max_f32_e32 v43, v43, v44
	ds_bpermute_b32 v44, v27, v43
	s_and_b64 vcc, exec, s[6:7]
	s_cbranch_vccnz .LBB62_12
; %bb.11:                               ;   in Loop: Header=BB62_8 Depth=1
	v_add_u32_e32 v49, v46, v31
	v_ashrrev_i32_e32 v50, 31, v49
	v_lshlrev_b64 v[49:50], 1, v[49:50]
	v_mov_b32_e32 v46, s45
	v_add_co_u32_e32 v49, vcc, s44, v49
	v_addc_co_u32_e32 v50, vcc, v46, v50, vcc
	global_load_ushort v46, v[49:50], off
	s_waitcnt vmcnt(0)
	v_cvt_f32_f16_e32 v46, v46
	v_mul_f32_e32 v46, v19, v46
	s_branch .LBB62_13
.LBB62_12:                              ;   in Loop: Header=BB62_8 Depth=1
	v_mov_b32_e32 v46, 0
.LBB62_13:                              ;   in Loop: Header=BB62_8 Depth=1
	v_add_f32_e32 v57, v2, v46
	v_add_f32_e32 v2, 0x40051340, v57
	v_max_f32_e32 v46, v41, v41
	v_max_f32_e32 v2, v46, v2
	ds_bpermute_b32 v46, v47, v2
	s_mul_hi_i32 s41, s23, s8
	s_mul_i32 s40, s23, s8
	s_lshl_b64 s[40:41], s[40:41], 2
	s_add_u32 s39, s19, s40
	s_waitcnt lgkmcnt(0)
	v_max_f32_e32 v46, v46, v46
	v_max_f32_e32 v2, v2, v46
	ds_bpermute_b32 v46, v48, v2
	s_addc_u32 s40, s22, s41
	s_waitcnt lgkmcnt(0)
	s_barrier
	v_max_f32_e32 v46, v46, v46
	v_max_f32_e32 v2, v2, v46
	ds_bpermute_b32 v45, v45, v2
	v_mov_b32_e32 v46, s40
	v_max_f32_e32 v43, v43, v43
	s_waitcnt lgkmcnt(0)
	v_max_f32_e32 v58, v45, v45
	v_add_co_u32_e32 v45, vcc, s39, v8
	v_addc_co_u32_e32 v46, vcc, v46, v9, vcc
	v_add_co_u32_e32 v53, vcc, v45, v35
	v_addc_co_u32_e32 v54, vcc, 0, v46, vcc
	v_mov_b32_e32 v45, s40
	v_add_co_u32_e32 v46, vcc, s39, v10
	v_addc_co_u32_e32 v45, vcc, v45, v11, vcc
	v_add_co_u32_e32 v55, vcc, v46, v35
	v_addc_co_u32_e32 v56, vcc, 0, v45, vcc
	global_load_dwordx4 v[45:48], v[53:54], off
	global_load_dwordx4 v[49:52], v[55:56], off
	v_max_f32_e32 v53, v2, v58
	ds_bpermute_b32 v3, v3, v53
	v_max_f32_e32 v2, v44, v44
	v_max_f32_e32 v2, v43, v2
	v_sub_f32_e32 v42, v42, v2
	v_mul_f32_e32 v43, 0x3fb8aa3b, v42
	s_waitcnt lgkmcnt(0)
	v_max_f32_e32 v3, v3, v3
	v_max_f32_e32 v3, v53, v3
	v_fma_f32 v44, v42, s16, -v43
	v_rndne_f32_e32 v53, v43
	ds_bpermute_b32 v27, v27, v3
	v_fmac_f32_e32 v44, 0x32a5705f, v42
	v_sub_f32_e32 v43, v43, v53
	v_add_f32_e32 v43, v43, v44
	v_exp_f32_e32 v43, v43
	v_cvt_i32_f32_e32 v44, v53
	s_waitcnt lgkmcnt(0)
	v_max_f32_e32 v27, v27, v27
	v_sub_f32_e32 v25, v25, v2
	v_max_f32_e32 v3, v3, v27
	v_ldexp_f32 v27, v43, v44
	v_mul_f32_e32 v43, 0x3fb8aa3b, v25
	v_fma_f32 v44, v25, s16, -v43
	v_rndne_f32_e32 v53, v43
	v_fmac_f32_e32 v44, 0x32a5705f, v25
	v_sub_f32_e32 v43, v43, v53
	v_add_f32_e32 v43, v43, v44
	v_exp_f32_e32 v43, v43
	v_cvt_i32_f32_e32 v44, v53
	v_cmp_ngt_f32_e32 vcc, s17, v42
	v_cndmask_b32_e32 v27, 0, v27, vcc
	v_cmp_nlt_f32_e32 vcc, s37, v42
	v_cndmask_b32_e32 v42, v38, v27, vcc
	v_ldexp_f32 v27, v43, v44
	v_cmp_ngt_f32_e32 vcc, s17, v25
	v_cndmask_b32_e32 v27, 0, v27, vcc
	v_cmp_nlt_f32_e32 vcc, s37, v25
	v_sub_f32_e32 v25, v41, v3
	v_mul_f32_e32 v41, 0x3fb8aa3b, v25
	v_fma_f32 v43, v25, s16, -v41
	v_rndne_f32_e32 v44, v41
	v_fmac_f32_e32 v43, 0x32a5705f, v25
	v_sub_f32_e32 v41, v41, v44
	v_add_f32_e32 v41, v41, v43
	v_exp_f32_e32 v41, v41
	v_cvt_i32_f32_e32 v43, v44
	v_cndmask_b32_e32 v27, v38, v27, vcc
	v_cvt_f16_f32_e32 v44, v27
	v_fmac_f32_e32 v27, v40, v42
	v_cvt_f16_f32_e32 v40, v42
	v_sub_f32_e32 v42, v57, v3
	v_ldexp_f32 v41, v41, v43
	v_mul_f32_e32 v43, 0x3fb8aa3b, v42
	v_fma_f32 v53, v42, s16, -v43
	v_rndne_f32_e32 v54, v43
	v_fmac_f32_e32 v53, 0x32a5705f, v42
	v_sub_f32_e32 v43, v43, v54
	v_add_f32_e32 v43, v43, v53
	v_exp_f32_e32 v43, v43
	v_cvt_i32_f32_e32 v53, v54
	v_cmp_ngt_f32_e32 vcc, s17, v25
	v_cndmask_b32_e32 v41, 0, v41, vcc
	v_cmp_nlt_f32_e32 vcc, s37, v25
	v_cndmask_b32_e32 v41, v38, v41, vcc
	v_ldexp_f32 v25, v43, v53
	v_cmp_ngt_f32_e32 vcc, s17, v42
	v_cndmask_b32_e32 v25, 0, v25, vcc
	v_cmp_nlt_f32_e32 vcc, s37, v42
	v_cndmask_b32_e32 v25, v38, v25, vcc
	v_cvt_f16_f32_e32 v43, v25
	v_cvt_f16_f32_e32 v42, v41
	v_fmac_f32_e32 v25, v39, v41
	v_mul_u32_u24_e32 v57, 0x10001, v40
	v_pack_b32_f16 v39, v44, v43
	v_mul_u32_u24_e32 v58, 0x10001, v42
	ds_write_b32 v36, v39
	s_waitcnt vmcnt(1)
	ds_write_b128 v33, v[45:48]
	s_waitcnt vmcnt(0)
	ds_write_b128 v34, v[49:52]
	s_waitcnt lgkmcnt(0)
	s_barrier
	ds_read_b128 v[39:42], v32
	ds_read2_b32 v[55:56], v16 offset1:32
	ds_read_b128 v[43:46], v32 offset:16
	ds_read_b128 v[47:50], v32 offset:32
	ds_read_b128 v[51:54], v32 offset:48
	s_waitcnt lgkmcnt(4)
	v_mul_u32_u24_sdwa v59, v39, s38 dst_sel:DWORD dst_unused:UNUSED_PAD src0_sel:WORD_0 src1_sel:DWORD
	v_mul_u32_u24_sdwa v39, v39, s38 dst_sel:DWORD dst_unused:UNUSED_PAD src0_sel:WORD_1 src1_sel:DWORD
	s_waitcnt lgkmcnt(3)
	v_pk_mul_f16 v59, v55, v59
	v_pk_fma_f16 v57, v18, v57, v59
	v_pk_mul_f16 v18, v55, v39
	v_pk_fma_f16 v39, v17, v58, v18
	ds_read2_b32 v[17:18], v16 offset0:64 offset1:96
	v_mul_u32_u24_sdwa v55, v40, s38 dst_sel:DWORD dst_unused:UNUSED_PAD src0_sel:WORD_0 src1_sel:DWORD
	v_mul_u32_u24_sdwa v40, v40, s38 dst_sel:DWORD dst_unused:UNUSED_PAD src0_sel:WORD_1 src1_sel:DWORD
	v_pk_fma_f16 v55, v56, v55, v57
	v_pk_fma_f16 v39, v56, v40, v39
	v_mul_u32_u24_sdwa v40, v41, s38 dst_sel:DWORD dst_unused:UNUSED_PAD src0_sel:WORD_0 src1_sel:DWORD
	v_mul_u32_u24_sdwa v41, v41, s38 dst_sel:DWORD dst_unused:UNUSED_PAD src0_sel:WORD_1 src1_sel:DWORD
	s_waitcnt lgkmcnt(0)
	v_pk_fma_f16 v55, v17, v40, v55
	v_pk_fma_f16 v17, v17, v41, v39
	ds_read2_b32 v[39:40], v16 offset0:128 offset1:160
	v_mul_u32_u24_sdwa v41, v42, s38 dst_sel:DWORD dst_unused:UNUSED_PAD src0_sel:WORD_0 src1_sel:DWORD
	v_mul_u32_u24_sdwa v42, v42, s38 dst_sel:DWORD dst_unused:UNUSED_PAD src0_sel:WORD_1 src1_sel:DWORD
	v_pk_fma_f16 v41, v18, v41, v55
	v_pk_fma_f16 v17, v18, v42, v17
	v_mul_u32_u24_sdwa v18, v43, s38 dst_sel:DWORD dst_unused:UNUSED_PAD src0_sel:WORD_0 src1_sel:DWORD
	v_mul_u32_u24_sdwa v42, v43, s38 dst_sel:DWORD dst_unused:UNUSED_PAD src0_sel:WORD_1 src1_sel:DWORD
	s_waitcnt lgkmcnt(0)
	v_pk_fma_f16 v41, v39, v18, v41
	v_pk_fma_f16 v39, v39, v42, v17
	ds_read2_b32 v[17:18], v16 offset0:192 offset1:224
	v_mul_u32_u24_sdwa v42, v44, s38 dst_sel:DWORD dst_unused:UNUSED_PAD src0_sel:WORD_0 src1_sel:DWORD
	v_mul_u32_u24_sdwa v43, v44, s38 dst_sel:DWORD dst_unused:UNUSED_PAD src0_sel:WORD_1 src1_sel:DWORD
	v_pk_fma_f16 v41, v40, v42, v41
	v_pk_fma_f16 v39, v40, v43, v39
	v_mul_u32_u24_sdwa v40, v45, s38 dst_sel:DWORD dst_unused:UNUSED_PAD src0_sel:WORD_0 src1_sel:DWORD
	v_mul_u32_u24_sdwa v42, v45, s38 dst_sel:DWORD dst_unused:UNUSED_PAD src0_sel:WORD_1 src1_sel:DWORD
	v_add_u32_e32 v44, 0x400, v16
	s_waitcnt lgkmcnt(0)
	v_pk_fma_f16 v41, v17, v40, v41
	v_pk_fma_f16 v17, v17, v42, v39
	ds_read2_b32 v[39:40], v44 offset1:32
	v_mul_u32_u24_sdwa v42, v46, s38 dst_sel:DWORD dst_unused:UNUSED_PAD src0_sel:WORD_0 src1_sel:DWORD
	v_mul_u32_u24_sdwa v43, v46, s38 dst_sel:DWORD dst_unused:UNUSED_PAD src0_sel:WORD_1 src1_sel:DWORD
	v_pk_fma_f16 v41, v18, v42, v41
	v_pk_fma_f16 v17, v18, v43, v17
	v_mul_u32_u24_sdwa v18, v47, s38 dst_sel:DWORD dst_unused:UNUSED_PAD src0_sel:WORD_0 src1_sel:DWORD
	v_mul_u32_u24_sdwa v42, v47, s38 dst_sel:DWORD dst_unused:UNUSED_PAD src0_sel:WORD_1 src1_sel:DWORD
	s_waitcnt lgkmcnt(0)
	v_pk_fma_f16 v41, v39, v18, v41
	v_pk_fma_f16 v39, v39, v42, v17
	ds_read2_b32 v[17:18], v44 offset0:64 offset1:96
	v_mul_u32_u24_sdwa v42, v48, s38 dst_sel:DWORD dst_unused:UNUSED_PAD src0_sel:WORD_0 src1_sel:DWORD
	v_mul_u32_u24_sdwa v43, v48, s38 dst_sel:DWORD dst_unused:UNUSED_PAD src0_sel:WORD_1 src1_sel:DWORD
	v_pk_fma_f16 v41, v40, v42, v41
	v_pk_fma_f16 v39, v40, v43, v39
	v_mul_u32_u24_sdwa v40, v49, s38 dst_sel:DWORD dst_unused:UNUSED_PAD src0_sel:WORD_0 src1_sel:DWORD
	v_mul_u32_u24_sdwa v42, v49, s38 dst_sel:DWORD dst_unused:UNUSED_PAD src0_sel:WORD_1 src1_sel:DWORD
	s_waitcnt lgkmcnt(0)
	v_pk_fma_f16 v41, v17, v40, v41
	v_pk_fma_f16 v17, v17, v42, v39
	ds_read2_b32 v[39:40], v44 offset0:128 offset1:160
	;; [unrolled: 10-line block ×3, first 2 shown]
	v_mul_u32_u24_sdwa v42, v52, s38 dst_sel:DWORD dst_unused:UNUSED_PAD src0_sel:WORD_0 src1_sel:DWORD
	v_mul_u32_u24_sdwa v43, v52, s38 dst_sel:DWORD dst_unused:UNUSED_PAD src0_sel:WORD_1 src1_sel:DWORD
	v_pk_fma_f16 v41, v40, v42, v41
	v_pk_fma_f16 v39, v40, v43, v39
	v_mul_u32_u24_sdwa v40, v53, s38 dst_sel:DWORD dst_unused:UNUSED_PAD src0_sel:WORD_0 src1_sel:DWORD
	v_mul_u32_u24_sdwa v42, v53, s38 dst_sel:DWORD dst_unused:UNUSED_PAD src0_sel:WORD_1 src1_sel:DWORD
	s_waitcnt lgkmcnt(0)
	v_pk_fma_f16 v40, v17, v40, v41
	v_pk_fma_f16 v17, v17, v42, v39
	v_mul_u32_u24_sdwa v39, v54, s38 dst_sel:DWORD dst_unused:UNUSED_PAD src0_sel:WORD_0 src1_sel:DWORD
	v_pk_fma_f16 v49, v18, v39, v40
	ds_read_b128 v[39:42], v32 offset:64
	v_add_u32_e32 v50, 0x800, v16
	ds_read2_b32 v[47:48], v50 offset1:32
	v_mul_u32_u24_sdwa v43, v54, s38 dst_sel:DWORD dst_unused:UNUSED_PAD src0_sel:WORD_1 src1_sel:DWORD
	v_pk_fma_f16 v17, v18, v43, v17
	ds_read_b128 v[43:46], v32 offset:80
	s_waitcnt lgkmcnt(2)
	v_mul_u32_u24_sdwa v18, v39, s38 dst_sel:DWORD dst_unused:UNUSED_PAD src0_sel:WORD_0 src1_sel:DWORD
	v_mul_u32_u24_sdwa v39, v39, s38 dst_sel:DWORD dst_unused:UNUSED_PAD src0_sel:WORD_1 src1_sel:DWORD
	s_waitcnt lgkmcnt(1)
	v_pk_fma_f16 v49, v47, v18, v49
	v_pk_fma_f16 v39, v47, v39, v17
	ds_read2_b32 v[17:18], v50 offset0:64 offset1:96
	v_mul_u32_u24_sdwa v47, v40, s38 dst_sel:DWORD dst_unused:UNUSED_PAD src0_sel:WORD_0 src1_sel:DWORD
	v_mul_u32_u24_sdwa v40, v40, s38 dst_sel:DWORD dst_unused:UNUSED_PAD src0_sel:WORD_1 src1_sel:DWORD
	v_pk_fma_f16 v47, v48, v47, v49
	v_pk_fma_f16 v39, v48, v40, v39
	v_mul_u32_u24_sdwa v40, v41, s38 dst_sel:DWORD dst_unused:UNUSED_PAD src0_sel:WORD_0 src1_sel:DWORD
	v_mul_u32_u24_sdwa v41, v41, s38 dst_sel:DWORD dst_unused:UNUSED_PAD src0_sel:WORD_1 src1_sel:DWORD
	s_waitcnt lgkmcnt(0)
	v_pk_fma_f16 v47, v17, v40, v47
	v_pk_fma_f16 v17, v17, v41, v39
	ds_read2_b32 v[39:40], v50 offset0:128 offset1:160
	v_mul_u32_u24_sdwa v41, v42, s38 dst_sel:DWORD dst_unused:UNUSED_PAD src0_sel:WORD_0 src1_sel:DWORD
	v_mul_u32_u24_sdwa v42, v42, s38 dst_sel:DWORD dst_unused:UNUSED_PAD src0_sel:WORD_1 src1_sel:DWORD
	v_pk_fma_f16 v41, v18, v41, v47
	v_pk_fma_f16 v17, v18, v42, v17
	;; [unrolled: 10-line block ×3, first 2 shown]
	v_mul_u32_u24_sdwa v40, v45, s38 dst_sel:DWORD dst_unused:UNUSED_PAD src0_sel:WORD_0 src1_sel:DWORD
	v_mul_u32_u24_sdwa v42, v45, s38 dst_sel:DWORD dst_unused:UNUSED_PAD src0_sel:WORD_1 src1_sel:DWORD
	s_waitcnt lgkmcnt(0)
	v_pk_fma_f16 v40, v17, v40, v41
	v_pk_fma_f16 v17, v17, v42, v39
	v_mul_u32_u24_sdwa v39, v46, s38 dst_sel:DWORD dst_unused:UNUSED_PAD src0_sel:WORD_0 src1_sel:DWORD
	v_pk_fma_f16 v49, v18, v39, v40
	ds_read_b128 v[39:42], v32 offset:96
	v_add_u32_e32 v50, 0xc00, v16
	ds_read2_b32 v[47:48], v50 offset1:32
	v_mul_u32_u24_sdwa v43, v46, s38 dst_sel:DWORD dst_unused:UNUSED_PAD src0_sel:WORD_1 src1_sel:DWORD
	v_pk_fma_f16 v17, v18, v43, v17
	ds_read_b128 v[43:46], v32 offset:112
	s_waitcnt lgkmcnt(2)
	v_mul_u32_u24_sdwa v18, v39, s38 dst_sel:DWORD dst_unused:UNUSED_PAD src0_sel:WORD_0 src1_sel:DWORD
	v_mul_u32_u24_sdwa v39, v39, s38 dst_sel:DWORD dst_unused:UNUSED_PAD src0_sel:WORD_1 src1_sel:DWORD
	s_waitcnt lgkmcnt(1)
	v_pk_fma_f16 v49, v47, v18, v49
	v_pk_fma_f16 v39, v47, v39, v17
	ds_read2_b32 v[17:18], v50 offset0:64 offset1:96
	v_mul_u32_u24_sdwa v47, v40, s38 dst_sel:DWORD dst_unused:UNUSED_PAD src0_sel:WORD_0 src1_sel:DWORD
	v_mul_u32_u24_sdwa v40, v40, s38 dst_sel:DWORD dst_unused:UNUSED_PAD src0_sel:WORD_1 src1_sel:DWORD
	v_pk_fma_f16 v47, v48, v47, v49
	v_pk_fma_f16 v39, v48, v40, v39
	v_mul_u32_u24_sdwa v40, v41, s38 dst_sel:DWORD dst_unused:UNUSED_PAD src0_sel:WORD_0 src1_sel:DWORD
	v_mul_u32_u24_sdwa v41, v41, s38 dst_sel:DWORD dst_unused:UNUSED_PAD src0_sel:WORD_1 src1_sel:DWORD
	s_waitcnt lgkmcnt(0)
	v_pk_fma_f16 v47, v17, v40, v47
	v_pk_fma_f16 v17, v17, v41, v39
	ds_read2_b32 v[39:40], v50 offset0:128 offset1:160
	v_mul_u32_u24_sdwa v41, v42, s38 dst_sel:DWORD dst_unused:UNUSED_PAD src0_sel:WORD_0 src1_sel:DWORD
	v_mul_u32_u24_sdwa v42, v42, s38 dst_sel:DWORD dst_unused:UNUSED_PAD src0_sel:WORD_1 src1_sel:DWORD
	v_pk_fma_f16 v41, v18, v41, v47
	v_pk_fma_f16 v17, v18, v42, v17
	v_mul_u32_u24_sdwa v18, v43, s38 dst_sel:DWORD dst_unused:UNUSED_PAD src0_sel:WORD_0 src1_sel:DWORD
	v_mul_u32_u24_sdwa v42, v43, s38 dst_sel:DWORD dst_unused:UNUSED_PAD src0_sel:WORD_1 src1_sel:DWORD
	s_waitcnt lgkmcnt(0)
	v_pk_fma_f16 v18, v39, v18, v41
	v_pk_fma_f16 v17, v39, v42, v17
	ds_read2_b32 v[41:42], v50 offset0:192 offset1:224
	s_waitcnt lgkmcnt(0)
	s_barrier
	s_load_dword s39, s[10:11], 0x4
	v_mul_u32_u24_sdwa v39, v44, s38 dst_sel:DWORD dst_unused:UNUSED_PAD src0_sel:WORD_0 src1_sel:DWORD
	v_mul_u32_u24_sdwa v43, v44, s38 dst_sel:DWORD dst_unused:UNUSED_PAD src0_sel:WORD_1 src1_sel:DWORD
	v_pk_fma_f16 v18, v40, v39, v18
	v_pk_fma_f16 v17, v40, v43, v17
	v_mul_u32_u24_sdwa v39, v45, s38 dst_sel:DWORD dst_unused:UNUSED_PAD src0_sel:WORD_0 src1_sel:DWORD
	v_mul_u32_u24_sdwa v40, v45, s38 dst_sel:DWORD dst_unused:UNUSED_PAD src0_sel:WORD_1 src1_sel:DWORD
	s_waitcnt lgkmcnt(0)
	s_lshl_b32 s39, s39, 5
	v_pk_fma_f16 v18, v41, v39, v18
	v_pk_fma_f16 v17, v41, v40, v17
	v_mul_u32_u24_sdwa v39, v46, s38 dst_sel:DWORD dst_unused:UNUSED_PAD src0_sel:WORD_0 src1_sel:DWORD
	v_mul_u32_u24_sdwa v40, v46, s38 dst_sel:DWORD dst_unused:UNUSED_PAD src0_sel:WORD_1 src1_sel:DWORD
	s_add_i32 s23, s39, s23
	v_pk_fma_f16 v18, v42, v39, v18
	s_cmp_lt_i32 s23, s15
	v_pk_fma_f16 v17, v42, v40, v17
	s_cbranch_scc0 .LBB62_16
; %bb.14:                               ;   in Loop: Header=BB62_8 Depth=1
	v_mov_b32_e32 v42, v2
	v_mov_b32_e32 v41, v3
	;; [unrolled: 1-line block ×4, first 2 shown]
	s_branch .LBB62_8
.LBB62_15:
	v_mov_b32_e32 v2, 0xfeffffff
	v_mov_b32_e32 v3, v2
	;; [unrolled: 1-line block ×5, first 2 shown]
.LBB62_16:
	v_lshlrev_b32_e32 v8, 1, v0
	s_cmp_gt_i32 s46, s23
	s_cbranch_scc1 .LBB62_18
; %bb.17:
	v_mbcnt_hi_u32_b32 v6, -1, v22
	v_and_b32_e32 v4, 0x60, v6
	v_add_u32_e32 v7, 32, v4
	v_xor_b32_e32 v10, 16, v6
	v_xor_b32_e32 v9, 8, v6
	;; [unrolled: 1-line block ×5, first 2 shown]
	s_cbranch_execz .LBB62_19
	s_branch .LBB62_29
.LBB62_18:
                                        ; implicit-def: $vgpr6
                                        ; implicit-def: $vgpr7
                                        ; implicit-def: $vgpr10
                                        ; implicit-def: $vgpr9
                                        ; implicit-def: $vgpr11
                                        ; implicit-def: $vgpr23
                                        ; implicit-def: $vgpr24
.LBB62_19:
	v_lshl_add_u32 v28, v1, 2, v26
	v_mul_lo_u32 v5, s12, v28
	s_mul_hi_i32 s11, s23, s12
	s_mul_i32 s10, s23, s12
	v_and_b32_e32 v6, 28, v16
	s_mov_b64 s[6:7], src_private_base
	s_sub_i32 s37, s46, s23
	s_lshl_b64 s[10:11], s[10:11], 2
	v_lshlrev_b32_e32 v26, 2, v6
	v_ashrrev_i32_e32 v6, 31, v5
	s_add_u32 s6, s13, s10
	v_lshlrev_b64 v[6:7], 2, v[5:6]
	s_addc_u32 s10, s14, s11
	v_mov_b32_e32 v9, s10
	v_add_co_u32_e32 v6, vcc, s6, v6
	v_addc_co_u32_e32 v7, vcc, v9, v7, vcc
	v_add_co_u32_e32 v6, vcc, v6, v26
	v_mov_b32_e32 v4, 0
	v_addc_co_u32_e32 v7, vcc, 0, v7, vcc
	v_mov_b32_e32 v9, s7
	v_cmp_gt_i32_e64 s[14:15], s37, v28
	v_mov_b32_e32 v10, 0
	buffer_store_dword v4, off, s[0:3], 0
	buffer_store_dword v4, off, s[0:3], 0 offset:4
	buffer_store_dword v4, off, s[0:3], 0 offset:8
	;; [unrolled: 1-line block ×3, first 2 shown]
	v_cndmask_b32_e64 v7, v9, v7, s[14:15]
	v_cndmask_b32_e64 v6, v10, v6, s[14:15]
	flat_load_dwordx4 v[30:33], v[6:7]
	v_lshl_add_u32 v5, s12, 4, v5
	v_ashrrev_i32_e32 v6, 31, v5
	v_lshlrev_b64 v[5:6], 2, v[5:6]
	v_mov_b32_e32 v11, s10
	v_add_co_u32_e32 v5, vcc, s6, v5
	v_addc_co_u32_e32 v6, vcc, v11, v6, vcc
	s_movk_i32 s7, 0x90
	v_add_u32_e32 v29, 16, v28
	v_add_co_u32_e32 v5, vcc, v5, v26
	v_mad_u32_u24 v7, v28, s7, v26
	v_addc_co_u32_e32 v6, vcc, 0, v6, vcc
	v_cmp_gt_i32_e64 s[6:7], s37, v29
	buffer_store_dword v4, off, s[0:3], 0
	buffer_store_dword v4, off, s[0:3], 0 offset:4
	buffer_store_dword v4, off, s[0:3], 0 offset:8
	;; [unrolled: 1-line block ×3, first 2 shown]
	v_cndmask_b32_e64 v6, v9, v6, s[6:7]
	v_cndmask_b32_e64 v5, v10, v5, s[6:7]
	s_cmp_lg_u64 s[44:45], 0
	s_cselect_b64 s[12:13], -1, 0
	v_cmp_gt_i32_e64 s[10:11], s37, v0
	v_mov_b32_e32 v11, v2
	s_waitcnt vmcnt(0) lgkmcnt(0)
	ds_write_b128 v7, v[30:33]
	flat_load_dwordx4 v[30:33], v[5:6]
	v_mul_u32_u24_e32 v6, 0x90, v0
	v_add_u32_e32 v5, s23, v0
	s_waitcnt vmcnt(0) lgkmcnt(0)
	ds_write_b128 v7, v[30:33] offset:2304
	s_waitcnt lgkmcnt(0)
	s_barrier
	ds_read_b128 v[32:35], v6
	ds_read_b128 v[36:39], v21 offset:4608
	v_mov_b32_e32 v31, 0
	ds_read_b128 v[40:43], v21 offset:4736
	s_waitcnt lgkmcnt(1)
	;;#ASMSTART
	v_dot2_f32_f16 v31, v32, v36, v31
	;;#ASMEND
	;;#ASMSTART
	v_dot2_f32_f16 v31, v33, v37, v31
	;;#ASMEND
	v_mov_b32_e32 v30, 0
	;;#ASMSTART
	v_dot2_f32_f16 v31, v34, v38, v31
	;;#ASMEND
	;;#ASMSTART
	v_dot2_f32_f16 v31, v35, v39, v31
	;;#ASMEND
	s_waitcnt lgkmcnt(0)
	;;#ASMSTART
	v_dot2_f32_f16 v30, v32, v40, v30
	;;#ASMEND
	;;#ASMSTART
	v_dot2_f32_f16 v30, v33, v41, v30
	;;#ASMEND
	;;#ASMSTART
	v_dot2_f32_f16 v30, v34, v42, v30
	;;#ASMEND
	;;#ASMSTART
	v_dot2_f32_f16 v30, v35, v43, v30
	;;#ASMEND
	ds_read_b128 v[32:35], v6 offset:16
	ds_read_b128 v[36:39], v21 offset:4624
	ds_read_b128 v[40:43], v21 offset:4752
	s_waitcnt lgkmcnt(1)
	;;#ASMSTART
	v_dot2_f32_f16 v31, v32, v36, v31
	;;#ASMEND
	;;#ASMSTART
	v_dot2_f32_f16 v31, v33, v37, v31
	;;#ASMEND
	;;#ASMSTART
	v_dot2_f32_f16 v31, v34, v38, v31
	;;#ASMEND
	;;#ASMSTART
	v_dot2_f32_f16 v31, v35, v39, v31
	;;#ASMEND
	s_waitcnt lgkmcnt(0)
	;;#ASMSTART
	v_dot2_f32_f16 v30, v32, v40, v30
	;;#ASMEND
	;;#ASMSTART
	v_dot2_f32_f16 v30, v33, v41, v30
	;;#ASMEND
	;;#ASMSTART
	v_dot2_f32_f16 v30, v34, v42, v30
	;;#ASMEND
	;;#ASMSTART
	v_dot2_f32_f16 v30, v35, v43, v30
	;;#ASMEND
	ds_read_b128 v[32:35], v6 offset:32
	ds_read_b128 v[36:39], v21 offset:4640
	ds_read_b128 v[40:43], v21 offset:4768
	s_waitcnt lgkmcnt(1)
	;;#ASMSTART
	v_dot2_f32_f16 v31, v32, v36, v31
	;;#ASMEND
	;;#ASMSTART
	v_dot2_f32_f16 v31, v33, v37, v31
	;;#ASMEND
	;; [unrolled: 29-line block ×7, first 2 shown]
	;;#ASMSTART
	v_dot2_f32_f16 v31, v34, v38, v31
	;;#ASMEND
	;;#ASMSTART
	v_dot2_f32_f16 v31, v35, v39, v31
	;;#ASMEND
	s_waitcnt lgkmcnt(0)
	;;#ASMSTART
	v_dot2_f32_f16 v30, v32, v40, v30
	;;#ASMEND
	v_cndmask_b32_e64 v6, 0, 1, s[12:13]
	;;#ASMSTART
	v_dot2_f32_f16 v30, v33, v41, v30
	;;#ASMEND
	v_cmp_ne_u32_e64 s[12:13], 1, v6
	;;#ASMSTART
	v_dot2_f32_f16 v30, v34, v42, v30
	;;#ASMEND
	;;#ASMSTART
	v_dot2_f32_f16 v30, v35, v43, v30
	;;#ASMEND
	s_and_saveexec_b64 s[16:17], s[10:11]
	s_cbranch_execz .LBB62_23
; %bb.20:
	s_and_b64 vcc, exec, s[12:13]
	s_cbranch_vccnz .LBB62_22
; %bb.21:
	v_mad_u64_u32 v[6:7], s[38:39], v20, s36, v[5:6]
	v_mov_b32_e32 v4, s45
	v_ashrrev_i32_e32 v7, 31, v6
	v_lshlrev_b64 v[6:7], 1, v[6:7]
	v_add_co_u32_e32 v6, vcc, s44, v6
	v_addc_co_u32_e32 v7, vcc, v4, v7, vcc
	global_load_ushort v4, v[6:7], off
	s_waitcnt vmcnt(0)
	v_cvt_f32_f16_e32 v4, v4
	v_mul_f32_e32 v4, v19, v4
.LBB62_22:
	v_add_f32_e32 v31, v31, v4
	v_add_f32_e32 v4, 0x40051340, v31
	v_max_f32_e32 v6, v2, v2
	v_max_f32_e32 v11, v6, v4
.LBB62_23:
	s_or_b64 exec, exec, s[16:17]
	v_mbcnt_hi_u32_b32 v6, -1, v22
	v_and_b32_e32 v4, 0x60, v6
	v_add_u32_e32 v7, 32, v4
	v_xor_b32_e32 v10, 16, v6
	v_cmp_lt_i32_e32 vcc, v10, v7
	v_cndmask_b32_e32 v4, v6, v10, vcc
	v_lshlrev_b32_e32 v20, 2, v4
	ds_bpermute_b32 v4, v20, v11
	v_xor_b32_e32 v9, 8, v6
	v_cmp_lt_i32_e32 vcc, v9, v7
	v_cndmask_b32_e32 v21, v6, v9, vcc
	v_max_f32_e32 v11, v11, v11
	s_waitcnt lgkmcnt(0)
	v_max_f32_e32 v4, v4, v4
	v_lshlrev_b32_e32 v21, 2, v21
	v_max_f32_e32 v4, v11, v4
	ds_bpermute_b32 v23, v21, v4
	v_xor_b32_e32 v11, 4, v6
	v_cmp_lt_i32_e32 vcc, v11, v7
	v_cndmask_b32_e32 v22, v6, v11, vcc
	v_lshlrev_b32_e32 v22, 2, v22
	s_waitcnt lgkmcnt(0)
	v_max_f32_e32 v23, v23, v23
	v_max_f32_e32 v4, v4, v23
	ds_bpermute_b32 v24, v22, v4
	v_xor_b32_e32 v23, 2, v6
	v_cmp_lt_i32_e32 vcc, v23, v7
	v_cndmask_b32_e32 v32, v6, v23, vcc
	v_lshlrev_b32_e32 v32, 2, v32
	s_waitcnt lgkmcnt(0)
	v_max_f32_e32 v24, v24, v24
	;; [unrolled: 8-line block ×3, first 2 shown]
	v_max_f32_e32 v4, v4, v34
	ds_bpermute_b32 v34, v33, v4
	s_waitcnt lgkmcnt(0)
	v_max_f32_e32 v34, v34, v34
	v_max_f32_e32 v4, v4, v34
	v_mov_b32_e32 v34, v3
	s_and_saveexec_b64 s[16:17], s[10:11]
	s_cbranch_execz .LBB62_28
; %bb.24:
	s_and_b64 vcc, exec, s[12:13]
	s_cbranch_vccnz .LBB62_26
; %bb.25:
	v_or_b32_e32 v34, 1, v15
	v_mul_hi_u32 v35, s28, v34
	v_add_u32_e32 v35, v34, v35
	v_lshrrev_b32_e32 v35, s29, v35
	v_mul_lo_u32 v35, v35, s30
	v_sub_u32_e32 v34, v34, v35
	v_mad_u64_u32 v[34:35], s[10:11], v34, s36, v[5:6]
	v_mov_b32_e32 v5, s45
	v_ashrrev_i32_e32 v35, 31, v34
	v_lshlrev_b64 v[34:35], 1, v[34:35]
	v_add_co_u32_e32 v34, vcc, s44, v34
	v_addc_co_u32_e32 v35, vcc, v5, v35, vcc
	global_load_ushort v5, v[34:35], off
	s_waitcnt vmcnt(0)
	v_cvt_f32_f16_e32 v5, v5
	v_mul_f32_e32 v5, v19, v5
	s_branch .LBB62_27
.LBB62_26:
	v_mov_b32_e32 v5, 0
.LBB62_27:
	v_add_f32_e32 v30, v30, v5
	v_add_f32_e32 v5, 0x40051340, v30
	v_max_f32_e32 v19, v3, v3
	v_max_f32_e32 v34, v19, v5
.LBB62_28:
	s_or_b64 exec, exec, s[16:17]
	ds_bpermute_b32 v5, v20, v34
	v_max_f32_e32 v19, v34, v34
	s_mov_b32 s13, 0x3fb8aa3b
	s_mov_b32 s16, 0xc2ce8ed0
	;; [unrolled: 1-line block ×3, first 2 shown]
	s_waitcnt lgkmcnt(0)
	v_max_f32_e32 v5, v5, v5
	v_max_f32_e32 v5, v19, v5
	ds_bpermute_b32 v19, v21, v5
	v_cmp_gt_u32_e32 vcc, s37, v0
	s_waitcnt lgkmcnt(0)
	s_barrier
	v_max_f32_e32 v19, v19, v19
	v_max_f32_e32 v5, v5, v19
	ds_bpermute_b32 v19, v22, v5
	v_mov_b32_e32 v34, 0
	v_lshl_or_b32 v29, v29, 7, v26
	s_mov_b32 s12, 0x10001
	s_waitcnt lgkmcnt(0)
	v_max_f32_e32 v19, v19, v19
	v_max_f32_e32 v5, v5, v19
	ds_bpermute_b32 v19, v32, v5
	s_waitcnt lgkmcnt(0)
	v_max_f32_e32 v19, v19, v19
	v_max_f32_e32 v5, v5, v19
	ds_bpermute_b32 v19, v33, v5
	s_waitcnt lgkmcnt(0)
	v_max_f32_e32 v19, v19, v19
	v_max_f32_e32 v5, v5, v19
	v_lshlrev_b32_e32 v19, 7, v1
	v_sub_f32_e32 v1, v2, v4
	v_mul_f32_e32 v2, 0x3fb8aa3b, v1
	v_fma_f32 v20, v1, s13, -v2
	v_rndne_f32_e32 v21, v2
	v_fmac_f32_e32 v20, 0x32a5705f, v1
	v_sub_f32_e32 v2, v2, v21
	v_add_f32_e32 v2, v2, v20
	v_exp_f32_e32 v2, v2
	v_cvt_i32_f32_e32 v20, v21
	v_cmp_ngt_f32_e64 s[10:11], s16, v1
	v_mov_b32_e32 v21, 0x7f800000
	v_ldexp_f32 v2, v2, v20
	v_cndmask_b32_e64 v2, 0, v2, s[10:11]
	v_cmp_nlt_f32_e64 s[10:11], s17, v1
	v_sub_f32_e32 v1, v31, v4
	v_mul_f32_e32 v20, 0x3fb8aa3b, v1
	v_fma_f32 v22, v1, s13, -v20
	v_rndne_f32_e32 v31, v20
	v_fmac_f32_e32 v22, 0x32a5705f, v1
	v_sub_f32_e32 v20, v20, v31
	v_add_f32_e32 v20, v20, v22
	v_exp_f32_e32 v20, v20
	v_cvt_i32_f32_e32 v22, v31
	v_cndmask_b32_e64 v2, v21, v2, s[10:11]
	v_cmp_ngt_f32_e64 s[10:11], s16, v1
	v_ldexp_f32 v20, v20, v22
	v_cndmask_b32_e64 v20, 0, v20, s[10:11]
	v_cmp_nlt_f32_e64 s[10:11], s17, v1
	v_cndmask_b32_e64 v1, v21, v20, s[10:11]
	v_cndmask_b32_e32 v1, 0, v1, vcc
	v_cvt_f16_f32_e32 v22, v1
	v_fmac_f32_e32 v1, v27, v2
	v_cvt_f16_f32_e32 v2, v2
	v_mul_u32_u24_e32 v20, 0x10001, v2
	v_sub_f32_e32 v2, v3, v5
	v_mul_f32_e32 v3, 0x3fb8aa3b, v2
	v_fma_f32 v27, v2, s13, -v3
	v_rndne_f32_e32 v31, v3
	v_fmac_f32_e32 v27, 0x32a5705f, v2
	v_sub_f32_e32 v3, v3, v31
	v_add_f32_e32 v3, v3, v27
	v_exp_f32_e32 v3, v3
	v_cvt_i32_f32_e32 v27, v31
	v_cmp_ngt_f32_e64 s[10:11], s16, v2
	v_ldexp_f32 v3, v3, v27
	v_cndmask_b32_e64 v3, 0, v3, s[10:11]
	v_cmp_nlt_f32_e64 s[10:11], s17, v2
	v_sub_f32_e32 v2, v30, v5
	v_mul_f32_e32 v27, 0x3fb8aa3b, v2
	v_fma_f32 v30, v2, s13, -v27
	v_rndne_f32_e32 v31, v27
	v_fmac_f32_e32 v30, 0x32a5705f, v2
	v_sub_f32_e32 v27, v27, v31
	v_add_f32_e32 v27, v27, v30
	v_exp_f32_e32 v27, v27
	v_cvt_i32_f32_e32 v30, v31
	v_cndmask_b32_e64 v3, v21, v3, s[10:11]
	v_cmp_ngt_f32_e64 s[10:11], s16, v2
	v_ldexp_f32 v27, v27, v30
	v_cndmask_b32_e64 v27, 0, v27, s[10:11]
	v_cmp_nlt_f32_e64 s[10:11], s17, v2
	v_cndmask_b32_e64 v2, v21, v27, s[10:11]
	v_cndmask_b32_e32 v2, 0, v2, vcc
	v_cvt_f16_f32_e32 v21, v2
	v_mul_lo_u32 v27, s8, v28
	s_movk_i32 s10, 0x1600
	v_fmac_f32_e32 v2, v25, v3
	v_add3_u32 v25, v19, s10, v16
	v_pack_b32_f16 v21, v22, v21
	s_mul_hi_i32 s11, s23, s8
	s_mul_i32 s10, s23, s8
	ds_write_b32 v25, v21
	s_lshl_b64 s[10:11], s[10:11], 2
	v_lshl_or_b32 v21, v28, 7, v26
	v_ashrrev_i32_e32 v28, 31, v27
	s_add_u32 s13, s19, s10
	v_lshlrev_b64 v[30:31], 2, v[27:28]
	s_addc_u32 s16, s22, s11
	v_add_co_u32_e32 v22, vcc, s13, v30
	v_mov_b32_e32 v25, s16
	v_lshl_add_u32 v27, s8, 4, v27
	v_addc_co_u32_e32 v25, vcc, v25, v31, vcc
	v_ashrrev_i32_e32 v28, 31, v27
	v_add_co_u32_e32 v22, vcc, v22, v26
	v_lshlrev_b64 v[27:28], 2, v[27:28]
	v_addc_co_u32_e32 v25, vcc, 0, v25, vcc
	s_mov_b64 s[10:11], src_private_base
	v_add_co_u32_e32 v27, vcc, s13, v27
	v_mov_b32_e32 v31, s16
	v_mov_b32_e32 v30, 0
	v_addc_co_u32_e32 v28, vcc, v31, v28, vcc
	v_mov_b32_e32 v33, s11
	v_add_co_u32_e32 v31, vcc, v27, v26
	buffer_store_dword v30, off, s[0:3], 0
	buffer_store_dword v30, off, s[0:3], 0 offset:4
	buffer_store_dword v30, off, s[0:3], 0 offset:8
	;; [unrolled: 1-line block ×3, first 2 shown]
	v_cndmask_b32_e64 v26, v33, v25, s[14:15]
	v_cndmask_b32_e64 v25, v34, v22, s[14:15]
	v_addc_co_u32_e32 v32, vcc, 0, v28, vcc
	flat_load_dwordx4 v[25:28], v[25:26]
	v_cndmask_b32_e64 v22, v33, v32, s[6:7]
	v_cvt_f16_f32_e32 v3, v3
	v_mul_u32_u24_e32 v3, 0x10001, v3
	s_waitcnt vmcnt(0) lgkmcnt(0)
	ds_write_b128 v21, v[25:28]
	buffer_store_dword v30, off, s[0:3], 0
	buffer_store_dword v30, off, s[0:3], 0 offset:4
	buffer_store_dword v30, off, s[0:3], 0 offset:8
	;; [unrolled: 1-line block ×3, first 2 shown]
	v_cndmask_b32_e64 v21, v34, v31, s[6:7]
	flat_load_dwordx4 v[25:28], v[21:22]
	s_waitcnt vmcnt(0) lgkmcnt(0)
	ds_write_b128 v29, v[25:28]
	s_waitcnt lgkmcnt(0)
	s_barrier
	ds_read2_b32 v[21:22], v16 offset1:32
	ds_read_b128 v[25:28], v19 offset:5632
	ds_read_b128 v[29:32], v19 offset:5648
	;; [unrolled: 1-line block ×4, first 2 shown]
	s_waitcnt lgkmcnt(3)
	v_mul_u32_u24_sdwa v41, v25, s12 dst_sel:DWORD dst_unused:UNUSED_PAD src0_sel:WORD_0 src1_sel:DWORD
	v_mul_u32_u24_sdwa v25, v25, s12 dst_sel:DWORD dst_unused:UNUSED_PAD src0_sel:WORD_1 src1_sel:DWORD
	v_pk_mul_f16 v41, v21, v41
	v_pk_fma_f16 v18, v18, v20, v41
	v_pk_mul_f16 v20, v21, v25
	v_pk_fma_f16 v3, v17, v3, v20
	v_mul_u32_u24_sdwa v17, v26, s12 dst_sel:DWORD dst_unused:UNUSED_PAD src0_sel:WORD_0 src1_sel:DWORD
	v_pk_fma_f16 v21, v22, v17, v18
	ds_read2_b32 v[17:18], v16 offset0:64 offset1:96
	v_mul_u32_u24_sdwa v20, v26, s12 dst_sel:DWORD dst_unused:UNUSED_PAD src0_sel:WORD_1 src1_sel:DWORD
	v_pk_fma_f16 v3, v22, v20, v3
	v_mul_u32_u24_sdwa v20, v27, s12 dst_sel:DWORD dst_unused:UNUSED_PAD src0_sel:WORD_0 src1_sel:DWORD
	v_mul_u32_u24_sdwa v22, v27, s12 dst_sel:DWORD dst_unused:UNUSED_PAD src0_sel:WORD_1 src1_sel:DWORD
	s_waitcnt lgkmcnt(0)
	v_pk_fma_f16 v20, v17, v20, v21
	v_pk_fma_f16 v3, v17, v22, v3
	v_mul_u32_u24_sdwa v17, v28, s12 dst_sel:DWORD dst_unused:UNUSED_PAD src0_sel:WORD_0 src1_sel:DWORD
	v_mul_u32_u24_sdwa v21, v28, s12 dst_sel:DWORD dst_unused:UNUSED_PAD src0_sel:WORD_1 src1_sel:DWORD
	v_pk_fma_f16 v20, v18, v17, v20
	v_pk_fma_f16 v3, v18, v21, v3
	ds_read2_b32 v[17:18], v16 offset0:128 offset1:160
	v_mul_u32_u24_sdwa v21, v29, s12 dst_sel:DWORD dst_unused:UNUSED_PAD src0_sel:WORD_0 src1_sel:DWORD
	v_mul_u32_u24_sdwa v22, v29, s12 dst_sel:DWORD dst_unused:UNUSED_PAD src0_sel:WORD_1 src1_sel:DWORD
	v_mul_u32_u24_sdwa v25, v33, s12 dst_sel:DWORD dst_unused:UNUSED_PAD src0_sel:WORD_1 src1_sel:DWORD
	s_waitcnt lgkmcnt(0)
	v_pk_fma_f16 v20, v17, v21, v20
	v_pk_fma_f16 v3, v17, v22, v3
	v_mul_u32_u24_sdwa v17, v30, s12 dst_sel:DWORD dst_unused:UNUSED_PAD src0_sel:WORD_0 src1_sel:DWORD
	v_mul_u32_u24_sdwa v21, v30, s12 dst_sel:DWORD dst_unused:UNUSED_PAD src0_sel:WORD_1 src1_sel:DWORD
	v_pk_fma_f16 v20, v18, v17, v20
	v_pk_fma_f16 v3, v18, v21, v3
	ds_read2_b32 v[17:18], v16 offset0:192 offset1:224
	v_mul_u32_u24_sdwa v21, v31, s12 dst_sel:DWORD dst_unused:UNUSED_PAD src0_sel:WORD_0 src1_sel:DWORD
	v_mul_u32_u24_sdwa v22, v31, s12 dst_sel:DWORD dst_unused:UNUSED_PAD src0_sel:WORD_1 src1_sel:DWORD
	s_waitcnt lgkmcnt(0)
	v_pk_fma_f16 v20, v17, v21, v20
	v_pk_fma_f16 v3, v17, v22, v3
	v_mul_u32_u24_sdwa v21, v32, s12 dst_sel:DWORD dst_unused:UNUSED_PAD src0_sel:WORD_1 src1_sel:DWORD
	v_mul_u32_u24_sdwa v17, v32, s12 dst_sel:DWORD dst_unused:UNUSED_PAD src0_sel:WORD_0 src1_sel:DWORD
	v_pk_fma_f16 v3, v18, v21, v3
	v_add_u32_e32 v21, 0x400, v16
	v_pk_fma_f16 v20, v18, v17, v20
	ds_read2_b32 v[17:18], v21 offset1:32
	v_mul_u32_u24_sdwa v22, v33, s12 dst_sel:DWORD dst_unused:UNUSED_PAD src0_sel:WORD_0 src1_sel:DWORD
	s_waitcnt lgkmcnt(0)
	v_pk_fma_f16 v20, v17, v22, v20
	v_pk_fma_f16 v3, v17, v25, v3
	v_mul_u32_u24_sdwa v17, v34, s12 dst_sel:DWORD dst_unused:UNUSED_PAD src0_sel:WORD_0 src1_sel:DWORD
	v_mul_u32_u24_sdwa v22, v34, s12 dst_sel:DWORD dst_unused:UNUSED_PAD src0_sel:WORD_1 src1_sel:DWORD
	v_pk_fma_f16 v20, v18, v17, v20
	v_pk_fma_f16 v3, v18, v22, v3
	ds_read2_b32 v[17:18], v21 offset0:64 offset1:96
	v_mul_u32_u24_sdwa v22, v35, s12 dst_sel:DWORD dst_unused:UNUSED_PAD src0_sel:WORD_0 src1_sel:DWORD
	v_mul_u32_u24_sdwa v25, v35, s12 dst_sel:DWORD dst_unused:UNUSED_PAD src0_sel:WORD_1 src1_sel:DWORD
	s_waitcnt lgkmcnt(0)
	v_pk_fma_f16 v20, v17, v22, v20
	v_pk_fma_f16 v3, v17, v25, v3
	v_mul_u32_u24_sdwa v17, v36, s12 dst_sel:DWORD dst_unused:UNUSED_PAD src0_sel:WORD_0 src1_sel:DWORD
	v_mul_u32_u24_sdwa v22, v36, s12 dst_sel:DWORD dst_unused:UNUSED_PAD src0_sel:WORD_1 src1_sel:DWORD
	v_pk_fma_f16 v20, v18, v17, v20
	v_pk_fma_f16 v3, v18, v22, v3
	ds_read2_b32 v[17:18], v21 offset0:128 offset1:160
	v_mul_u32_u24_sdwa v22, v37, s12 dst_sel:DWORD dst_unused:UNUSED_PAD src0_sel:WORD_0 src1_sel:DWORD
	v_mul_u32_u24_sdwa v25, v37, s12 dst_sel:DWORD dst_unused:UNUSED_PAD src0_sel:WORD_1 src1_sel:DWORD
	;; [unrolled: 10-line block ×3, first 2 shown]
	s_waitcnt lgkmcnt(0)
	v_pk_fma_f16 v20, v17, v21, v20
	v_pk_fma_f16 v3, v17, v22, v3
	v_mul_u32_u24_sdwa v21, v40, s12 dst_sel:DWORD dst_unused:UNUSED_PAD src0_sel:WORD_1 src1_sel:DWORD
	v_mul_u32_u24_sdwa v17, v40, s12 dst_sel:DWORD dst_unused:UNUSED_PAD src0_sel:WORD_0 src1_sel:DWORD
	v_pk_fma_f16 v21, v18, v21, v3
	v_add_u32_e32 v3, 0x800, v16
	v_pk_fma_f16 v20, v18, v17, v20
	ds_read2_b32 v[17:18], v3 offset1:32
	ds_read_b128 v[25:28], v19 offset:5696
	s_waitcnt lgkmcnt(0)
	v_mul_u32_u24_sdwa v22, v25, s12 dst_sel:DWORD dst_unused:UNUSED_PAD src0_sel:WORD_0 src1_sel:DWORD
	v_mul_u32_u24_sdwa v25, v25, s12 dst_sel:DWORD dst_unused:UNUSED_PAD src0_sel:WORD_1 src1_sel:DWORD
	v_pk_fma_f16 v20, v17, v22, v20
	v_pk_fma_f16 v17, v17, v25, v21
	v_mul_u32_u24_sdwa v21, v26, s12 dst_sel:DWORD dst_unused:UNUSED_PAD src0_sel:WORD_0 src1_sel:DWORD
	v_mul_u32_u24_sdwa v22, v26, s12 dst_sel:DWORD dst_unused:UNUSED_PAD src0_sel:WORD_1 src1_sel:DWORD
	v_pk_fma_f16 v20, v18, v21, v20
	v_pk_fma_f16 v21, v18, v22, v17
	ds_read2_b32 v[17:18], v3 offset0:64 offset1:96
	v_mul_u32_u24_sdwa v22, v27, s12 dst_sel:DWORD dst_unused:UNUSED_PAD src0_sel:WORD_0 src1_sel:DWORD
	v_mul_u32_u24_sdwa v25, v27, s12 dst_sel:DWORD dst_unused:UNUSED_PAD src0_sel:WORD_1 src1_sel:DWORD
	s_waitcnt lgkmcnt(0)
	v_pk_fma_f16 v20, v17, v22, v20
	v_pk_fma_f16 v17, v17, v25, v21
	v_mul_u32_u24_sdwa v21, v28, s12 dst_sel:DWORD dst_unused:UNUSED_PAD src0_sel:WORD_0 src1_sel:DWORD
	v_mul_u32_u24_sdwa v22, v28, s12 dst_sel:DWORD dst_unused:UNUSED_PAD src0_sel:WORD_1 src1_sel:DWORD
	v_pk_fma_f16 v20, v18, v21, v20
	v_pk_fma_f16 v21, v18, v22, v17
	ds_read2_b32 v[17:18], v3 offset0:128 offset1:160
	ds_read_b128 v[25:28], v19 offset:5712
	s_waitcnt lgkmcnt(0)
	v_mul_u32_u24_sdwa v22, v25, s12 dst_sel:DWORD dst_unused:UNUSED_PAD src0_sel:WORD_0 src1_sel:DWORD
	v_mul_u32_u24_sdwa v25, v25, s12 dst_sel:DWORD dst_unused:UNUSED_PAD src0_sel:WORD_1 src1_sel:DWORD
	v_pk_fma_f16 v20, v17, v22, v20
	v_pk_fma_f16 v17, v17, v25, v21
	v_mul_u32_u24_sdwa v21, v26, s12 dst_sel:DWORD dst_unused:UNUSED_PAD src0_sel:WORD_0 src1_sel:DWORD
	v_mul_u32_u24_sdwa v22, v26, s12 dst_sel:DWORD dst_unused:UNUSED_PAD src0_sel:WORD_1 src1_sel:DWORD
	v_pk_fma_f16 v20, v18, v21, v20
	v_pk_fma_f16 v21, v18, v22, v17
	ds_read2_b32 v[17:18], v3 offset0:192 offset1:224
	v_mul_u32_u24_sdwa v3, v27, s12 dst_sel:DWORD dst_unused:UNUSED_PAD src0_sel:WORD_0 src1_sel:DWORD
	v_mul_u32_u24_sdwa v22, v27, s12 dst_sel:DWORD dst_unused:UNUSED_PAD src0_sel:WORD_1 src1_sel:DWORD
	s_waitcnt lgkmcnt(0)
	v_pk_fma_f16 v3, v17, v3, v20
	v_pk_fma_f16 v17, v17, v22, v21
	v_mul_u32_u24_sdwa v20, v28, s12 dst_sel:DWORD dst_unused:UNUSED_PAD src0_sel:WORD_0 src1_sel:DWORD
	v_mul_u32_u24_sdwa v21, v28, s12 dst_sel:DWORD dst_unused:UNUSED_PAD src0_sel:WORD_1 src1_sel:DWORD
	v_add_u32_e32 v22, 0xc00, v16
	v_pk_fma_f16 v3, v18, v20, v3
	v_pk_fma_f16 v18, v18, v21, v17
	ds_read2_b32 v[16:17], v22 offset1:32
	ds_read_b128 v[25:28], v19 offset:5728
	s_waitcnt lgkmcnt(0)
	v_mul_u32_u24_sdwa v20, v25, s12 dst_sel:DWORD dst_unused:UNUSED_PAD src0_sel:WORD_0 src1_sel:DWORD
	v_mul_u32_u24_sdwa v21, v25, s12 dst_sel:DWORD dst_unused:UNUSED_PAD src0_sel:WORD_1 src1_sel:DWORD
	v_pk_fma_f16 v3, v16, v20, v3
	v_pk_fma_f16 v16, v16, v21, v18
	v_mul_u32_u24_sdwa v18, v26, s12 dst_sel:DWORD dst_unused:UNUSED_PAD src0_sel:WORD_0 src1_sel:DWORD
	v_mul_u32_u24_sdwa v20, v26, s12 dst_sel:DWORD dst_unused:UNUSED_PAD src0_sel:WORD_1 src1_sel:DWORD
	v_pk_fma_f16 v3, v17, v18, v3
	v_pk_fma_f16 v18, v17, v20, v16
	ds_read2_b32 v[16:17], v22 offset0:64 offset1:96
	v_mul_u32_u24_sdwa v20, v27, s12 dst_sel:DWORD dst_unused:UNUSED_PAD src0_sel:WORD_0 src1_sel:DWORD
	v_mul_u32_u24_sdwa v21, v27, s12 dst_sel:DWORD dst_unused:UNUSED_PAD src0_sel:WORD_1 src1_sel:DWORD
	v_mov_b32_e32 v27, v1
	s_waitcnt lgkmcnt(0)
	v_pk_fma_f16 v3, v16, v20, v3
	v_pk_fma_f16 v16, v16, v21, v18
	v_mul_u32_u24_sdwa v18, v28, s12 dst_sel:DWORD dst_unused:UNUSED_PAD src0_sel:WORD_0 src1_sel:DWORD
	v_mul_u32_u24_sdwa v20, v28, s12 dst_sel:DWORD dst_unused:UNUSED_PAD src0_sel:WORD_1 src1_sel:DWORD
	v_pk_fma_f16 v3, v17, v18, v3
	v_pk_fma_f16 v25, v17, v20, v16
	ds_read2_b32 v[20:21], v22 offset0:128 offset1:160
	ds_read_b128 v[16:19], v19 offset:5744
	s_waitcnt lgkmcnt(0)
	v_mul_u32_u24_sdwa v26, v16, s12 dst_sel:DWORD dst_unused:UNUSED_PAD src0_sel:WORD_0 src1_sel:DWORD
	v_mul_u32_u24_sdwa v16, v16, s12 dst_sel:DWORD dst_unused:UNUSED_PAD src0_sel:WORD_1 src1_sel:DWORD
	v_pk_fma_f16 v3, v20, v26, v3
	v_pk_fma_f16 v16, v20, v16, v25
	v_mul_u32_u24_sdwa v20, v17, s12 dst_sel:DWORD dst_unused:UNUSED_PAD src0_sel:WORD_0 src1_sel:DWORD
	v_mul_u32_u24_sdwa v17, v17, s12 dst_sel:DWORD dst_unused:UNUSED_PAD src0_sel:WORD_1 src1_sel:DWORD
	v_pk_fma_f16 v3, v21, v20, v3
	v_pk_fma_f16 v20, v21, v17, v16
	ds_read2_b32 v[16:17], v22 offset0:192 offset1:224
	v_mul_u32_u24_sdwa v21, v18, s12 dst_sel:DWORD dst_unused:UNUSED_PAD src0_sel:WORD_0 src1_sel:DWORD
	v_mul_u32_u24_sdwa v18, v18, s12 dst_sel:DWORD dst_unused:UNUSED_PAD src0_sel:WORD_1 src1_sel:DWORD
	v_mov_b32_e32 v25, v2
	s_waitcnt lgkmcnt(0)
	v_pk_fma_f16 v3, v16, v21, v3
	v_pk_fma_f16 v16, v16, v18, v20
	v_mul_u32_u24_sdwa v18, v19, s12 dst_sel:DWORD dst_unused:UNUSED_PAD src0_sel:WORD_0 src1_sel:DWORD
	v_mul_u32_u24_sdwa v19, v19, s12 dst_sel:DWORD dst_unused:UNUSED_PAD src0_sel:WORD_1 src1_sel:DWORD
	v_pk_fma_f16 v18, v17, v18, v3
	v_mov_b32_e32 v2, v4
	v_pk_fma_f16 v17, v17, v19, v16
	v_mov_b32_e32 v3, v5
	s_barrier
.LBB62_29:
	v_cmp_lt_i32_e32 vcc, v10, v7
	v_cndmask_b32_e32 v1, v6, v10, vcc
	v_lshlrev_b32_e32 v1, 2, v1
	ds_bpermute_b32 v4, v1, v27
	ds_bpermute_b32 v1, v1, v25
	v_cmp_lt_i32_e32 vcc, v9, v7
	v_cndmask_b32_e32 v5, v6, v9, vcc
	v_lshlrev_b32_e32 v5, 2, v5
	s_waitcnt lgkmcnt(1)
	v_add_f32_e32 v4, v27, v4
	s_waitcnt lgkmcnt(0)
	v_add_f32_e32 v1, v25, v1
	ds_bpermute_b32 v9, v5, v4
	ds_bpermute_b32 v5, v5, v1
	v_cmp_lt_i32_e32 vcc, v11, v7
	v_cndmask_b32_e32 v10, v6, v11, vcc
	v_lshlrev_b32_e32 v10, 2, v10
	s_waitcnt lgkmcnt(1)
	v_add_f32_e32 v4, v4, v9
	s_waitcnt lgkmcnt(0)
	v_add_f32_e32 v1, v1, v5
	;; [unrolled: 9-line block ×4, first 2 shown]
	ds_bpermute_b32 v7, v6, v4
	ds_bpermute_b32 v5, v6, v1
	s_cmp_eq_u64 s[20:21], 0
	s_cselect_b64 s[6:7], -1, 0
	s_cmp_lg_u32 s9, 0
	s_cselect_b64 s[10:11], -1, 0
	s_or_b64 s[6:7], s[10:11], s[6:7]
	s_waitcnt lgkmcnt(1)
	v_add_f32_e32 v4, v4, v7
	s_waitcnt lgkmcnt(0)
	v_add_f32_e32 v5, v1, v5
	s_and_b64 vcc, exec, s[6:7]
	s_cbranch_vccnz .LBB62_32
; %bb.30:
	s_lshl_b64 s[6:7], s[34:35], 2
	s_add_u32 s6, s20, s6
	s_addc_u32 s7, s21, s7
	v_mov_b32_e32 v1, 0
	global_load_dword v1, v1, s[6:7]
	v_max_f32_e32 v6, v2, v2
	v_max_f32_e32 v10, v3, v3
	s_mov_b32 s6, 0x3fb8aa3b
	s_mov_b32 s7, 0xc2ce8ed0
	;; [unrolled: 1-line block ×3, first 2 shown]
	v_mov_b32_e32 v7, 0x7f800000
	s_waitcnt vmcnt(0)
	v_max_f32_e32 v11, v1, v1
	v_max_f32_e32 v9, v6, v11
	v_sub_f32_e32 v2, v2, v9
	v_max_f32_e32 v10, v10, v11
	v_sub_f32_e32 v6, v1, v9
	v_mul_f32_e32 v11, 0x3fb8aa3b, v2
	v_sub_f32_e32 v3, v3, v10
	v_mul_f32_e32 v16, 0x3fb8aa3b, v6
	v_fma_f32 v21, v2, s6, -v11
	v_rndne_f32_e32 v22, v11
	v_sub_f32_e32 v1, v1, v10
	v_mul_f32_e32 v19, 0x3fb8aa3b, v3
	v_fma_f32 v23, v6, s6, -v16
	v_rndne_f32_e32 v24, v16
	v_fmac_f32_e32 v21, 0x32a5705f, v2
	v_sub_f32_e32 v11, v11, v22
	v_mul_f32_e32 v20, 0x3fb8aa3b, v1
	v_fma_f32 v25, v3, s6, -v19
	v_rndne_f32_e32 v26, v19
	v_fmac_f32_e32 v23, 0x32a5705f, v6
	v_sub_f32_e32 v16, v16, v24
	v_add_f32_e32 v11, v11, v21
	v_fma_f32 v27, v1, s6, -v20
	v_rndne_f32_e32 v28, v20
	v_cvt_i32_f32_e32 v22, v22
	v_fmac_f32_e32 v25, 0x32a5705f, v3
	v_sub_f32_e32 v19, v19, v26
	v_add_f32_e32 v16, v16, v23
	v_exp_f32_e32 v11, v11
	v_cvt_i32_f32_e32 v24, v24
	v_fmac_f32_e32 v27, 0x32a5705f, v1
	v_sub_f32_e32 v20, v20, v28
	v_add_f32_e32 v19, v19, v25
	v_exp_f32_e32 v16, v16
	v_cvt_i32_f32_e32 v26, v26
	v_add_f32_e32 v20, v20, v27
	v_exp_f32_e32 v19, v19
	v_cvt_i32_f32_e32 v28, v28
	v_exp_f32_e32 v20, v20
	v_ldexp_f32 v11, v11, v22
	v_cmp_ngt_f32_e32 vcc, s7, v2
	v_ldexp_f32 v16, v16, v24
	v_cndmask_b32_e32 v11, 0, v11, vcc
	v_cmp_ngt_f32_e32 vcc, s7, v6
	v_ldexp_f32 v19, v19, v26
	v_cndmask_b32_e32 v16, 0, v16, vcc
	;; [unrolled: 3-line block ×3, first 2 shown]
	v_cmp_ngt_f32_e32 vcc, s7, v1
	v_cndmask_b32_e32 v20, 0, v20, vcc
	v_cmp_nlt_f32_e32 vcc, s8, v2
	v_cndmask_b32_e32 v2, v7, v11, vcc
	v_cmp_nlt_f32_e32 vcc, s8, v6
	v_cndmask_b32_e32 v6, v7, v16, vcc
	v_cmp_nlt_f32_e32 vcc, s8, v3
	v_cndmask_b32_e32 v3, v7, v19, vcc
	v_cmp_nlt_f32_e32 vcc, s8, v1
	v_fmac_f32_e32 v6, v4, v2
	v_cvt_f16_f32_e32 v1, v2
	v_cvt_f16_f32_e32 v2, v3
	v_cndmask_b32_e32 v7, v7, v20, vcc
	v_fmac_f32_e32 v7, v5, v3
	v_mov_b32_e32 v4, v6
	v_mul_u32_u24_e32 v2, 0x10001, v2
	v_mul_u32_u24_e32 v1, 0x10001, v1
	v_pk_mul_f16 v17, v17, v2
	v_mov_b32_e32 v2, v9
	v_mov_b32_e32 v5, v7
	v_pk_mul_f16 v18, v18, v1
	v_mov_b32_e32 v3, v10
	v_cmp_gt_i32_e32 vcc, s30, v15
	s_and_saveexec_b64 s[6:7], vcc
	s_cbranch_execnz .LBB62_33
.LBB62_31:
	s_endpgm
.LBB62_32:
	v_mov_b32_e32 v6, v4
	v_mov_b32_e32 v7, v5
	v_cmp_gt_i32_e32 vcc, s30, v15
	s_and_saveexec_b64 s[6:7], vcc
	s_cbranch_execz .LBB62_31
.LBB62_33:
	s_load_dword s8, s[4:5], 0xd4
	v_mov_b32_e32 v1, 1.0
	s_waitcnt lgkmcnt(0)
	s_cmp_lg_u32 s8, 1
	s_cselect_b64 s[10:11], -1, 0
	s_cmp_eq_u32 s8, 1
	s_cselect_b64 s[6:7], -1, 0
	s_and_b64 vcc, exec, s[10:11]
	s_cbranch_vccnz .LBB62_35
; %bb.34:
	v_div_scale_f32 v1, s[4:5], v6, v6, 1.0
	v_div_scale_f32 v9, vcc, 1.0, v6, 1.0
	v_rcp_f32_e32 v10, v1
	v_fma_f32 v11, -v1, v10, 1.0
	v_fmac_f32_e32 v10, v11, v10
	v_mul_f32_e32 v11, v9, v10
	v_fma_f32 v15, -v1, v11, v9
	v_fmac_f32_e32 v11, v15, v10
	v_fma_f32 v1, -v1, v11, v9
	v_div_fmas_f32 v1, v1, v10, v11
	v_div_fixup_f32 v1, v1, v6, 1.0
.LBB62_35:
	s_mul_i32 s12, s33, s30
	s_add_i32 s12, s12, s18
	v_add_u32_e32 v6, s12, v14
	v_mul_lo_u32 v6, v6, s31
	v_cmp_eq_u32_e32 vcc, 0, v0
	v_cvt_f32_f16_e32 v0, v18
	v_cvt_f32_f16_sdwa v9, v18 dst_sel:DWORD dst_unused:UNUSED_PAD src0_sel:WORD_1
	v_add_u32_e32 v6, s34, v6
	v_mul_lo_u32 v6, s8, v6
	v_mul_f32_e32 v14, v1, v0
	v_mov_b32_e32 v10, 0
	v_mul_f32_e32 v15, v1, v9
	v_add_u32_e32 v0, s9, v6
	v_lshl_add_u32 v9, v0, 6, v8
	v_lshlrev_b64 v[9:10], 2, v[9:10]
	v_mov_b32_e32 v1, s25
	v_add_co_u32_e64 v9, s[4:5], s24, v9
	v_addc_co_u32_e64 v10, s[4:5], v1, v10, s[4:5]
	s_and_b64 s[4:5], vcc, s[10:11]
	global_store_dwordx2 v[9:10], v[14:15], off
	s_and_saveexec_b64 s[10:11], s[4:5]
	s_cbranch_execz .LBB62_37
; %bb.36:
	v_ashrrev_i32_e32 v1, 31, v0
	v_lshlrev_b64 v[0:1], 3, v[0:1]
	v_mov_b32_e32 v6, s27
	v_add_co_u32_e32 v0, vcc, s26, v0
	v_addc_co_u32_e32 v1, vcc, v6, v1, vcc
	v_mov_b32_e32 v9, v2
	v_mov_b32_e32 v10, v4
	global_store_dwordx2 v[0:1], v[9:10], off
.LBB62_37:
	s_or_b64 exec, exec, s[10:11]
	v_cmp_gt_i32_e32 vcc, s30, v13
	s_and_b64 exec, exec, vcc
	s_cbranch_execz .LBB62_31
; %bb.38:
	s_andn2_b64 vcc, exec, s[6:7]
	v_mov_b32_e32 v0, 1.0
	s_cbranch_vccnz .LBB62_40
; %bb.39:
	v_div_scale_f32 v0, s[6:7], v7, v7, 1.0
	v_div_scale_f32 v1, vcc, 1.0, v7, 1.0
	v_rcp_f32_e32 v2, v0
	v_fma_f32 v4, -v0, v2, 1.0
	v_fmac_f32_e32 v2, v4, v2
	v_mul_f32_e32 v4, v1, v2
	v_fma_f32 v6, -v0, v4, v1
	v_fmac_f32_e32 v4, v6, v2
	v_fma_f32 v0, -v0, v4, v1
	v_div_fmas_f32 v0, v0, v2, v4
	v_div_fixup_f32 v0, v0, v7, 1.0
.LBB62_40:
	v_add_u32_e32 v1, s12, v12
	v_mul_lo_u32 v1, v1, s31
	v_cvt_f32_f16_e32 v4, v17
	v_cvt_f32_f16_sdwa v7, v17 dst_sel:DWORD dst_unused:UNUSED_PAD src0_sel:WORD_1
	v_mov_b32_e32 v2, 0
	v_add_u32_e32 v1, s34, v1
	v_mul_lo_u32 v1, s8, v1
	v_mul_f32_e32 v6, v0, v4
	v_mul_f32_e32 v7, v0, v7
	v_mov_b32_e32 v9, s25
	v_add_u32_e32 v0, s9, v1
	v_lshl_add_u32 v1, v0, 6, v8
	v_lshlrev_b64 v[1:2], 2, v[1:2]
	v_add_co_u32_e32 v1, vcc, s24, v1
	v_addc_co_u32_e32 v2, vcc, v9, v2, vcc
	global_store_dwordx2 v[1:2], v[6:7], off
	s_and_b64 exec, exec, s[4:5]
	s_cbranch_execz .LBB62_31
; %bb.41:
	v_ashrrev_i32_e32 v1, 31, v0
	v_lshlrev_b64 v[0:1], 3, v[0:1]
	v_mov_b32_e32 v2, s27
	v_add_co_u32_e32 v0, vcc, s26, v0
	v_addc_co_u32_e32 v1, vcc, v2, v1, vcc
	v_mov_b32_e32 v4, v3
	global_store_dwordx2 v[0:1], v[4:5], off
	s_endpgm
	.section	.rodata,"a",@progbits
	.p2align	6, 0x0
	.amdhsa_kernel _ZL15flash_attn_tileILi64ELi64ELi8ELi1ELb0EEvPKcS1_S1_S1_S1_PKiPfP15HIP_vector_typeIfLj2EEffffjfiS5_IjLj3EEiiiiiiiiiiiliiliiiiil
		.amdhsa_group_segment_fixed_size 6144
		.amdhsa_private_segment_fixed_size 32
		.amdhsa_kernarg_size 464
		.amdhsa_user_sgpr_count 8
		.amdhsa_user_sgpr_private_segment_buffer 1
		.amdhsa_user_sgpr_dispatch_ptr 0
		.amdhsa_user_sgpr_queue_ptr 0
		.amdhsa_user_sgpr_kernarg_segment_ptr 1
		.amdhsa_user_sgpr_dispatch_id 0
		.amdhsa_user_sgpr_flat_scratch_init 1
		.amdhsa_user_sgpr_private_segment_size 0
		.amdhsa_uses_dynamic_stack 0
		.amdhsa_system_sgpr_private_segment_wavefront_offset 1
		.amdhsa_system_sgpr_workgroup_id_x 1
		.amdhsa_system_sgpr_workgroup_id_y 1
		.amdhsa_system_sgpr_workgroup_id_z 1
		.amdhsa_system_sgpr_workgroup_info 0
		.amdhsa_system_vgpr_workitem_id 1
		.amdhsa_next_free_vgpr 60
		.amdhsa_next_free_sgpr 96
		.amdhsa_reserve_vcc 1
		.amdhsa_reserve_flat_scratch 1
		.amdhsa_float_round_mode_32 0
		.amdhsa_float_round_mode_16_64 0
		.amdhsa_float_denorm_mode_32 3
		.amdhsa_float_denorm_mode_16_64 3
		.amdhsa_dx10_clamp 1
		.amdhsa_ieee_mode 1
		.amdhsa_fp16_overflow 0
		.amdhsa_exception_fp_ieee_invalid_op 0
		.amdhsa_exception_fp_denorm_src 0
		.amdhsa_exception_fp_ieee_div_zero 0
		.amdhsa_exception_fp_ieee_overflow 0
		.amdhsa_exception_fp_ieee_underflow 0
		.amdhsa_exception_fp_ieee_inexact 0
		.amdhsa_exception_int_div_zero 0
	.end_amdhsa_kernel
	.section	.text._ZL15flash_attn_tileILi64ELi64ELi8ELi1ELb0EEvPKcS1_S1_S1_S1_PKiPfP15HIP_vector_typeIfLj2EEffffjfiS5_IjLj3EEiiiiiiiiiiiliiliiiiil,"axG",@progbits,_ZL15flash_attn_tileILi64ELi64ELi8ELi1ELb0EEvPKcS1_S1_S1_S1_PKiPfP15HIP_vector_typeIfLj2EEffffjfiS5_IjLj3EEiiiiiiiiiiiliiliiiiil,comdat
.Lfunc_end62:
	.size	_ZL15flash_attn_tileILi64ELi64ELi8ELi1ELb0EEvPKcS1_S1_S1_S1_PKiPfP15HIP_vector_typeIfLj2EEffffjfiS5_IjLj3EEiiiiiiiiiiiliiliiiiil, .Lfunc_end62-_ZL15flash_attn_tileILi64ELi64ELi8ELi1ELb0EEvPKcS1_S1_S1_S1_PKiPfP15HIP_vector_typeIfLj2EEffffjfiS5_IjLj3EEiiiiiiiiiiiliiliiiiil
                                        ; -- End function
	.set _ZL15flash_attn_tileILi64ELi64ELi8ELi1ELb0EEvPKcS1_S1_S1_S1_PKiPfP15HIP_vector_typeIfLj2EEffffjfiS5_IjLj3EEiiiiiiiiiiiliiliiiiil.num_vgpr, 60
	.set _ZL15flash_attn_tileILi64ELi64ELi8ELi1ELb0EEvPKcS1_S1_S1_S1_PKiPfP15HIP_vector_typeIfLj2EEffffjfiS5_IjLj3EEiiiiiiiiiiiliiliiiiil.num_agpr, 0
	.set _ZL15flash_attn_tileILi64ELi64ELi8ELi1ELb0EEvPKcS1_S1_S1_S1_PKiPfP15HIP_vector_typeIfLj2EEffffjfiS5_IjLj3EEiiiiiiiiiiiliiliiiiil.numbered_sgpr, 52
	.set _ZL15flash_attn_tileILi64ELi64ELi8ELi1ELb0EEvPKcS1_S1_S1_S1_PKiPfP15HIP_vector_typeIfLj2EEffffjfiS5_IjLj3EEiiiiiiiiiiiliiliiiiil.num_named_barrier, 0
	.set _ZL15flash_attn_tileILi64ELi64ELi8ELi1ELb0EEvPKcS1_S1_S1_S1_PKiPfP15HIP_vector_typeIfLj2EEffffjfiS5_IjLj3EEiiiiiiiiiiiliiliiiiil.private_seg_size, 32
	.set _ZL15flash_attn_tileILi64ELi64ELi8ELi1ELb0EEvPKcS1_S1_S1_S1_PKiPfP15HIP_vector_typeIfLj2EEffffjfiS5_IjLj3EEiiiiiiiiiiiliiliiiiil.uses_vcc, 1
	.set _ZL15flash_attn_tileILi64ELi64ELi8ELi1ELb0EEvPKcS1_S1_S1_S1_PKiPfP15HIP_vector_typeIfLj2EEffffjfiS5_IjLj3EEiiiiiiiiiiiliiliiiiil.uses_flat_scratch, 1
	.set _ZL15flash_attn_tileILi64ELi64ELi8ELi1ELb0EEvPKcS1_S1_S1_S1_PKiPfP15HIP_vector_typeIfLj2EEffffjfiS5_IjLj3EEiiiiiiiiiiiliiliiiiil.has_dyn_sized_stack, 0
	.set _ZL15flash_attn_tileILi64ELi64ELi8ELi1ELb0EEvPKcS1_S1_S1_S1_PKiPfP15HIP_vector_typeIfLj2EEffffjfiS5_IjLj3EEiiiiiiiiiiiliiliiiiil.has_recursion, 0
	.set _ZL15flash_attn_tileILi64ELi64ELi8ELi1ELb0EEvPKcS1_S1_S1_S1_PKiPfP15HIP_vector_typeIfLj2EEffffjfiS5_IjLj3EEiiiiiiiiiiiliiliiiiil.has_indirect_call, 0
	.section	.AMDGPU.csdata,"",@progbits
; Kernel info:
; codeLenInByte = 10648
; TotalNumSgprs: 58
; NumVgprs: 60
; ScratchSize: 32
; MemoryBound: 0
; FloatMode: 240
; IeeeMode: 1
; LDSByteSize: 6144 bytes/workgroup (compile time only)
; SGPRBlocks: 12
; VGPRBlocks: 14
; NumSGPRsForWavesPerEU: 102
; NumVGPRsForWavesPerEU: 60
; Occupancy: 4
; WaveLimiterHint : 1
; COMPUTE_PGM_RSRC2:SCRATCH_EN: 1
; COMPUTE_PGM_RSRC2:USER_SGPR: 8
; COMPUTE_PGM_RSRC2:TRAP_HANDLER: 0
; COMPUTE_PGM_RSRC2:TGID_X_EN: 1
; COMPUTE_PGM_RSRC2:TGID_Y_EN: 1
; COMPUTE_PGM_RSRC2:TGID_Z_EN: 1
; COMPUTE_PGM_RSRC2:TIDIG_COMP_CNT: 1
	.section	.text._ZL33flash_attn_stream_k_fixup_uniformILi64ELi8ELi1EEvPfPK15HIP_vector_typeIfLj2EEiiiiiiS1_IjLj3EES5_S5_,"axG",@progbits,_ZL33flash_attn_stream_k_fixup_uniformILi64ELi8ELi1EEvPfPK15HIP_vector_typeIfLj2EEiiiiiiS1_IjLj3EES5_S5_,comdat
	.globl	_ZL33flash_attn_stream_k_fixup_uniformILi64ELi8ELi1EEvPfPK15HIP_vector_typeIfLj2EEiiiiiiS1_IjLj3EES5_S5_ ; -- Begin function _ZL33flash_attn_stream_k_fixup_uniformILi64ELi8ELi1EEvPfPK15HIP_vector_typeIfLj2EEiiiiiiS1_IjLj3EES5_S5_
	.p2align	8
	.type	_ZL33flash_attn_stream_k_fixup_uniformILi64ELi8ELi1EEvPfPK15HIP_vector_typeIfLj2EEiiiiiiS1_IjLj3EES5_S5_,@function
_ZL33flash_attn_stream_k_fixup_uniformILi64ELi8ELi1EEvPfPK15HIP_vector_typeIfLj2EEiiiiiiS1_IjLj3EES5_S5_: ; @_ZL33flash_attn_stream_k_fixup_uniformILi64ELi8ELi1EEvPfPK15HIP_vector_typeIfLj2EEiiiiiiS1_IjLj3EES5_S5_
; %bb.0:
	s_load_dwordx8 s[12:19], s[4:5], 0x1c
	s_load_dwordx2 s[10:11], s[4:5], 0x10
	s_load_dwordx4 s[0:3], s[4:5], 0x3c
	s_waitcnt lgkmcnt(0)
	s_mul_hi_u32 s9, s15, s6
	s_add_i32 s9, s6, s9
	s_lshr_b32 s9, s9, s16
	s_mul_i32 s15, s9, s17
	s_sub_i32 s15, s6, s15
	s_mul_hi_u32 s16, s15, s18
	s_add_i32 s16, s15, s16
	s_lshr_b32 s16, s16, s19
	s_mul_i32 s0, s16, s0
	s_sub_i32 s0, s15, s0
	;; [unrolled: 5-line block ×3, first 2 shown]
	s_lshl_b32 s0, s17, 3
	s_add_i32 s0, s0, s7
	s_cmp_lt_i32 s0, s10
	s_cselect_b64 s[0:1], -1, 0
	s_add_i32 s2, s15, s8
	s_cmp_lt_i32 s2, s13
	s_cselect_b64 s[2:3], -1, 0
	s_and_b64 s[0:1], s[0:1], s[2:3]
	s_andn2_b64 vcc, exec, s[0:1]
	s_cbranch_vccnz .LBB63_6
; %bb.1:
	s_load_dwordx4 s[0:3], s[4:5], 0x0
	s_mul_i32 s4, s9, s10
	s_add_i32 s4, s4, s7
	s_mul_i32 s4, s4, s11
	s_mul_i32 s16, s16, s13
	s_add_i32 s4, s4, s8
	s_add_i32 s4, s4, s16
	s_mul_i32 s5, s11, s17
	s_add_i32 s4, s4, s15
	s_lshl_b32 s5, s5, 9
	s_lshl_b32 s4, s4, 6
	s_add_i32 s5, s5, s4
	v_or_b32_e32 v1, s5, v0
	v_ashrrev_i32_e32 v2, 31, v1
	v_lshlrev_b64 v[1:2], 2, v[1:2]
	s_waitcnt lgkmcnt(0)
	v_mov_b32_e32 v3, s1
	v_add_co_u32_e32 v1, vcc, s0, v1
	v_addc_co_u32_e32 v2, vcc, v3, v2, vcc
	global_load_dword v8, v[1:2], off
	s_add_i32 s4, s7, s8
	s_mul_i32 s7, s14, s6
	s_add_i32 s5, s7, s14
	s_lshl_b32 s0, s5, 3
	s_add_i32 s0, s4, s0
	s_add_i32 s0, s0, -8
	s_ashr_i32 s1, s0, 31
	s_lshl_b64 s[0:1], s[0:1], 3
	s_add_u32 s0, s2, s0
	s_addc_u32 s1, s3, s1
	s_load_dword s10, s[0:1], 0x4
	s_add_i32 s8, s5, -2
	s_cmp_lt_i32 s8, s7
	s_cbranch_scc1 .LBB63_4
; %bb.2:
	s_lshl_b32 s8, s12, 5
	s_ashr_i32 s9, s8, 31
	s_lshl_b64 s[8:9], s[8:9], 2
	s_add_u32 s8, s2, s8
	s_addc_u32 s11, s3, s9
	s_add_i32 s6, s6, 1
	s_add_i32 s9, s5, -1
	s_mul_i32 s5, s14, s6
	s_load_dword s0, s[0:1], 0x0
	s_lshl_b32 s1, s4, 6
	s_lshl_b32 s6, s5, 9
	s_add_i32 s1, s1, s6
	v_or_b32_e32 v0, s1, v0
	s_lshl_b32 s1, s5, 3
	s_add_i32 s1, s4, s1
	s_lshl_b32 s4, s12, 3
	s_add_i32 s1, s1, s4
	v_add_u32_e32 v3, 0xfffffc00, v0
	s_add_i32 s4, s1, -16
	s_waitcnt lgkmcnt(0)
	v_mov_b32_e32 v7, s10
	v_mov_b32_e32 v6, s0
	;; [unrolled: 1-line block ×3, first 2 shown]
	s_mov_b32 s6, 0x3fb8aa3b
	s_mov_b32 s10, 0xc2ce8ed0
	;; [unrolled: 1-line block ×3, first 2 shown]
	v_mov_b32_e32 v5, 0x7f800000
	s_mov_b32 s12, 0xc1a00000
.LBB63_3:                               ; =>This Inner Loop Header: Depth=1
	v_ashrrev_i32_e32 v4, 31, v3
	v_lshlrev_b64 v[9:10], 2, v[3:4]
	s_ashr_i32 s5, s4, 31
	v_add_co_u32_e32 v9, vcc, s8, v9
	v_addc_co_u32_e32 v10, vcc, v0, v10, vcc
	global_load_dword v4, v[9:10], off
	s_lshl_b64 s[0:1], s[4:5], 3
	s_add_u32 s0, s2, s0
	s_addc_u32 s1, s3, s1
	s_load_dwordx2 s[14:15], s[0:1], 0x0
	s_waitcnt vmcnt(1)
	v_mov_b32_e32 v9, v8
	v_max_f32_e32 v8, v6, v6
	v_mov_b32_e32 v10, v7
	s_add_i32 s9, s9, -1
	s_waitcnt lgkmcnt(0)
	v_max_f32_e64 v7, s14, s14
	v_max_f32_e32 v7, v8, v7
	v_sub_f32_e32 v11, s14, v7
	v_sub_f32_e32 v8, v6, v7
	v_mul_f32_e32 v12, 0x3fb8aa3b, v11
	v_mov_b32_e32 v6, v7
	v_mul_f32_e32 v7, 0x3fb8aa3b, v8
	v_fma_f32 v15, v11, s6, -v12
	v_rndne_f32_e32 v16, v12
	v_fma_f32 v13, v8, s6, -v7
	v_rndne_f32_e32 v14, v7
	v_fmac_f32_e32 v15, 0x32a5705f, v11
	v_sub_f32_e32 v12, v12, v16
	v_fmac_f32_e32 v13, 0x32a5705f, v8
	v_sub_f32_e32 v7, v7, v14
	v_add_f32_e32 v12, v12, v15
	v_cvt_i32_f32_e32 v16, v16
	v_add_f32_e32 v7, v7, v13
	v_exp_f32_e32 v12, v12
	v_cvt_i32_f32_e32 v14, v14
	v_exp_f32_e32 v7, v7
	v_cmp_ngt_f32_e32 vcc, s10, v11
	v_ldexp_f32 v12, v12, v16
	v_cmp_ngt_f32_e64 s[0:1], s10, v8
	v_ldexp_f32 v7, v7, v14
	v_cndmask_b32_e32 v12, 0, v12, vcc
	v_cmp_nlt_f32_e32 vcc, s11, v11
	v_cndmask_b32_e64 v7, 0, v7, s[0:1]
	v_cmp_nlt_f32_e64 s[0:1], s11, v8
	v_cndmask_b32_e32 v12, v5, v12, vcc
	v_cmp_le_f32_e32 vcc, s12, v11
	v_cndmask_b32_e64 v7, v5, v7, s[0:1]
	v_cmp_le_f32_e64 s[0:1], s12, v8
	v_cndmask_b32_e32 v8, 0, v12, vcc
	s_add_i32 s4, s4, -8
	v_cndmask_b32_e64 v11, 0, v7, s[0:1]
	v_mul_f32_e32 v7, s15, v8
	v_add_u32_e32 v3, 0xfffffe00, v3
	s_cmp_le_i32 s9, s7
	v_fmac_f32_e32 v7, v10, v11
	s_waitcnt vmcnt(0)
	v_mul_f32_e32 v8, v4, v8
	v_fmac_f32_e32 v8, v9, v11
	s_cbranch_scc0 .LBB63_3
	s_branch .LBB63_5
.LBB63_4:
	s_waitcnt lgkmcnt(0)
	v_mov_b32_e32 v7, s10
.LBB63_5:
	s_waitcnt vmcnt(0)
	v_div_scale_f32 v0, s[0:1], v7, v7, v8
	v_div_scale_f32 v3, vcc, v8, v7, v8
	v_rcp_f32_e32 v4, v0
	v_fma_f32 v5, -v0, v4, 1.0
	v_fmac_f32_e32 v4, v5, v4
	v_mul_f32_e32 v5, v3, v4
	v_fma_f32 v6, -v0, v5, v3
	v_fmac_f32_e32 v5, v6, v4
	v_fma_f32 v0, -v0, v5, v3
	v_div_fmas_f32 v0, v0, v4, v5
	v_div_fixup_f32 v0, v0, v7, v8
	global_store_dword v[1:2], v0, off
.LBB63_6:
	s_endpgm
	.section	.rodata,"a",@progbits
	.p2align	6, 0x0
	.amdhsa_kernel _ZL33flash_attn_stream_k_fixup_uniformILi64ELi8ELi1EEvPfPK15HIP_vector_typeIfLj2EEiiiiiiS1_IjLj3EES5_S5_
		.amdhsa_group_segment_fixed_size 0
		.amdhsa_private_segment_fixed_size 0
		.amdhsa_kernarg_size 76
		.amdhsa_user_sgpr_count 6
		.amdhsa_user_sgpr_private_segment_buffer 1
		.amdhsa_user_sgpr_dispatch_ptr 0
		.amdhsa_user_sgpr_queue_ptr 0
		.amdhsa_user_sgpr_kernarg_segment_ptr 1
		.amdhsa_user_sgpr_dispatch_id 0
		.amdhsa_user_sgpr_flat_scratch_init 0
		.amdhsa_user_sgpr_private_segment_size 0
		.amdhsa_uses_dynamic_stack 0
		.amdhsa_system_sgpr_private_segment_wavefront_offset 0
		.amdhsa_system_sgpr_workgroup_id_x 1
		.amdhsa_system_sgpr_workgroup_id_y 1
		.amdhsa_system_sgpr_workgroup_id_z 1
		.amdhsa_system_sgpr_workgroup_info 0
		.amdhsa_system_vgpr_workitem_id 0
		.amdhsa_next_free_vgpr 17
		.amdhsa_next_free_sgpr 20
		.amdhsa_reserve_vcc 1
		.amdhsa_reserve_flat_scratch 0
		.amdhsa_float_round_mode_32 0
		.amdhsa_float_round_mode_16_64 0
		.amdhsa_float_denorm_mode_32 3
		.amdhsa_float_denorm_mode_16_64 3
		.amdhsa_dx10_clamp 1
		.amdhsa_ieee_mode 1
		.amdhsa_fp16_overflow 0
		.amdhsa_exception_fp_ieee_invalid_op 0
		.amdhsa_exception_fp_denorm_src 0
		.amdhsa_exception_fp_ieee_div_zero 0
		.amdhsa_exception_fp_ieee_overflow 0
		.amdhsa_exception_fp_ieee_underflow 0
		.amdhsa_exception_fp_ieee_inexact 0
		.amdhsa_exception_int_div_zero 0
	.end_amdhsa_kernel
	.section	.text._ZL33flash_attn_stream_k_fixup_uniformILi64ELi8ELi1EEvPfPK15HIP_vector_typeIfLj2EEiiiiiiS1_IjLj3EES5_S5_,"axG",@progbits,_ZL33flash_attn_stream_k_fixup_uniformILi64ELi8ELi1EEvPfPK15HIP_vector_typeIfLj2EEiiiiiiS1_IjLj3EES5_S5_,comdat
.Lfunc_end63:
	.size	_ZL33flash_attn_stream_k_fixup_uniformILi64ELi8ELi1EEvPfPK15HIP_vector_typeIfLj2EEiiiiiiS1_IjLj3EES5_S5_, .Lfunc_end63-_ZL33flash_attn_stream_k_fixup_uniformILi64ELi8ELi1EEvPfPK15HIP_vector_typeIfLj2EEiiiiiiS1_IjLj3EES5_S5_
                                        ; -- End function
	.set _ZL33flash_attn_stream_k_fixup_uniformILi64ELi8ELi1EEvPfPK15HIP_vector_typeIfLj2EEiiiiiiS1_IjLj3EES5_S5_.num_vgpr, 17
	.set _ZL33flash_attn_stream_k_fixup_uniformILi64ELi8ELi1EEvPfPK15HIP_vector_typeIfLj2EEiiiiiiS1_IjLj3EES5_S5_.num_agpr, 0
	.set _ZL33flash_attn_stream_k_fixup_uniformILi64ELi8ELi1EEvPfPK15HIP_vector_typeIfLj2EEiiiiiiS1_IjLj3EES5_S5_.numbered_sgpr, 20
	.set _ZL33flash_attn_stream_k_fixup_uniformILi64ELi8ELi1EEvPfPK15HIP_vector_typeIfLj2EEiiiiiiS1_IjLj3EES5_S5_.num_named_barrier, 0
	.set _ZL33flash_attn_stream_k_fixup_uniformILi64ELi8ELi1EEvPfPK15HIP_vector_typeIfLj2EEiiiiiiS1_IjLj3EES5_S5_.private_seg_size, 0
	.set _ZL33flash_attn_stream_k_fixup_uniformILi64ELi8ELi1EEvPfPK15HIP_vector_typeIfLj2EEiiiiiiS1_IjLj3EES5_S5_.uses_vcc, 1
	.set _ZL33flash_attn_stream_k_fixup_uniformILi64ELi8ELi1EEvPfPK15HIP_vector_typeIfLj2EEiiiiiiS1_IjLj3EES5_S5_.uses_flat_scratch, 0
	.set _ZL33flash_attn_stream_k_fixup_uniformILi64ELi8ELi1EEvPfPK15HIP_vector_typeIfLj2EEiiiiiiS1_IjLj3EES5_S5_.has_dyn_sized_stack, 0
	.set _ZL33flash_attn_stream_k_fixup_uniformILi64ELi8ELi1EEvPfPK15HIP_vector_typeIfLj2EEiiiiiiS1_IjLj3EES5_S5_.has_recursion, 0
	.set _ZL33flash_attn_stream_k_fixup_uniformILi64ELi8ELi1EEvPfPK15HIP_vector_typeIfLj2EEiiiiiiS1_IjLj3EES5_S5_.has_indirect_call, 0
	.section	.AMDGPU.csdata,"",@progbits
; Kernel info:
; codeLenInByte = 836
; TotalNumSgprs: 24
; NumVgprs: 17
; ScratchSize: 0
; MemoryBound: 0
; FloatMode: 240
; IeeeMode: 1
; LDSByteSize: 0 bytes/workgroup (compile time only)
; SGPRBlocks: 2
; VGPRBlocks: 4
; NumSGPRsForWavesPerEU: 24
; NumVGPRsForWavesPerEU: 17
; Occupancy: 10
; WaveLimiterHint : 0
; COMPUTE_PGM_RSRC2:SCRATCH_EN: 0
; COMPUTE_PGM_RSRC2:USER_SGPR: 6
; COMPUTE_PGM_RSRC2:TRAP_HANDLER: 0
; COMPUTE_PGM_RSRC2:TGID_X_EN: 1
; COMPUTE_PGM_RSRC2:TGID_Y_EN: 1
; COMPUTE_PGM_RSRC2:TGID_Z_EN: 1
; COMPUTE_PGM_RSRC2:TIDIG_COMP_CNT: 0
	.section	.text._ZL33flash_attn_stream_k_fixup_generalILi64ELi8ELi1EEvPfPK15HIP_vector_typeIfLj2EEiiiiS1_IjLj3EES5_S5_S5_,"axG",@progbits,_ZL33flash_attn_stream_k_fixup_generalILi64ELi8ELi1EEvPfPK15HIP_vector_typeIfLj2EEiiiiS1_IjLj3EES5_S5_S5_,comdat
	.globl	_ZL33flash_attn_stream_k_fixup_generalILi64ELi8ELi1EEvPfPK15HIP_vector_typeIfLj2EEiiiiS1_IjLj3EES5_S5_S5_ ; -- Begin function _ZL33flash_attn_stream_k_fixup_generalILi64ELi8ELi1EEvPfPK15HIP_vector_typeIfLj2EEiiiiS1_IjLj3EES5_S5_S5_
	.p2align	8
	.type	_ZL33flash_attn_stream_k_fixup_generalILi64ELi8ELi1EEvPfPK15HIP_vector_typeIfLj2EEiiiiS1_IjLj3EES5_S5_S5_,@function
_ZL33flash_attn_stream_k_fixup_generalILi64ELi8ELi1EEvPfPK15HIP_vector_typeIfLj2EEiiiiS1_IjLj3EES5_S5_S5_: ; @_ZL33flash_attn_stream_k_fixup_generalILi64ELi8ELi1EEvPfPK15HIP_vector_typeIfLj2EEiiiiS1_IjLj3EES5_S5_S5_
; %bb.0:
	s_load_dwordx4 s[0:3], s[4:5], 0x10
	s_load_dword s22, s[4:5], 0x50
	s_mov_b32 s12, 0
	s_waitcnt lgkmcnt(0)
	s_mul_hi_i32 s13, s3, s6
	s_cmp_lg_u64 s[12:13], 0
	s_mul_i32 s9, s3, s6
	s_cbranch_scc0 .LBB64_20
; %bb.1:
	s_add_u32 s10, s22, 0
	s_addc_u32 s11, 0, 0
	s_xor_b64 s[10:11], s[10:11], 0
	v_cvt_f32_u32_e32 v1, s10
	v_cvt_f32_u32_e32 v2, s11
	s_sub_u32 s12, 0, s10
	s_subb_u32 s18, 0, s11
	v_madmk_f32 v1, v2, 0x4f800000, v1
	v_rcp_f32_e32 v1, v1
	v_mul_f32_e32 v1, 0x5f7ffffc, v1
	v_mul_f32_e32 v2, 0x2f800000, v1
	v_trunc_f32_e32 v2, v2
	v_madmk_f32 v1, v2, 0xcf800000, v1
	v_cvt_u32_f32_e32 v2, v2
	v_cvt_u32_f32_e32 v1, v1
	v_readfirstlane_b32 s19, v2
	v_readfirstlane_b32 s14, v1
	s_mul_i32 s15, s12, s19
	s_mul_hi_u32 s21, s12, s14
	s_mul_i32 s20, s18, s14
	s_add_i32 s15, s21, s15
	s_add_i32 s15, s15, s20
	s_mul_i32 s23, s12, s14
	s_mul_i32 s21, s14, s15
	s_mul_hi_u32 s24, s14, s23
	s_mul_hi_u32 s20, s14, s15
	s_add_u32 s21, s24, s21
	s_addc_u32 s20, 0, s20
	s_mul_hi_u32 s25, s19, s23
	s_mul_i32 s23, s19, s23
	s_add_u32 s21, s21, s23
	s_mul_hi_u32 s24, s19, s15
	s_addc_u32 s20, s20, s25
	s_addc_u32 s21, s24, 0
	s_mul_i32 s15, s19, s15
	s_add_u32 s15, s20, s15
	s_addc_u32 s20, 0, s21
	s_add_u32 s21, s14, s15
	s_cselect_b64 s[14:15], -1, 0
	s_cmp_lg_u64 s[14:15], 0
	s_addc_u32 s19, s19, s20
	s_mul_i32 s14, s12, s19
	s_mul_hi_u32 s15, s12, s21
	s_add_i32 s14, s15, s14
	s_mul_i32 s18, s18, s21
	s_add_i32 s14, s14, s18
	s_mul_i32 s12, s12, s21
	s_mul_hi_u32 s18, s19, s12
	s_mul_i32 s20, s19, s12
	s_mul_i32 s24, s21, s14
	s_mul_hi_u32 s12, s21, s12
	s_mul_hi_u32 s23, s21, s14
	s_add_u32 s12, s12, s24
	s_addc_u32 s23, 0, s23
	s_add_u32 s12, s12, s20
	s_mul_hi_u32 s15, s19, s14
	s_addc_u32 s12, s23, s18
	s_addc_u32 s15, s15, 0
	s_mul_i32 s14, s19, s14
	s_add_u32 s12, s12, s14
	s_addc_u32 s18, 0, s15
	s_add_u32 s20, s21, s12
	s_cselect_b64 s[14:15], -1, 0
	s_cmp_lg_u64 s[14:15], 0
	s_addc_u32 s18, s19, s18
	s_ashr_i32 s14, s13, 31
	s_add_u32 s12, s9, s14
	s_mov_b32 s15, s14
	s_addc_u32 s13, s13, s14
	s_xor_b64 s[12:13], s[12:13], s[14:15]
	s_mul_i32 s21, s12, s18
	s_mul_hi_u32 s23, s12, s20
	s_mul_hi_u32 s19, s12, s18
	s_add_u32 s21, s23, s21
	s_addc_u32 s19, 0, s19
	s_mul_hi_u32 s24, s13, s20
	s_mul_i32 s20, s13, s20
	s_add_u32 s20, s21, s20
	s_mul_hi_u32 s23, s13, s18
	s_addc_u32 s19, s19, s24
	s_addc_u32 s20, s23, 0
	s_mul_i32 s18, s13, s18
	s_add_u32 s23, s19, s18
	s_addc_u32 s24, 0, s20
	s_mul_i32 s18, s10, s24
	s_mul_hi_u32 s19, s10, s23
	s_add_i32 s18, s19, s18
	s_mul_i32 s19, s11, s23
	s_add_i32 s25, s18, s19
	s_sub_i32 s20, s13, s25
	s_mul_i32 s18, s10, s23
	s_sub_u32 s12, s12, s18
	s_cselect_b64 s[18:19], -1, 0
	s_cmp_lg_u64 s[18:19], 0
	s_subb_u32 s26, s20, s11
	s_sub_u32 s27, s12, s10
	s_cselect_b64 s[20:21], -1, 0
	s_cmp_lg_u64 s[20:21], 0
	s_subb_u32 s20, s26, 0
	s_cmp_ge_u32 s20, s11
	s_cselect_b32 s21, -1, 0
	s_cmp_ge_u32 s27, s10
	s_cselect_b32 s26, -1, 0
	s_cmp_eq_u32 s20, s11
	s_cselect_b32 s20, s26, s21
	s_add_u32 s21, s23, 1
	s_addc_u32 s26, s24, 0
	s_add_u32 s27, s23, 2
	s_addc_u32 s28, s24, 0
	s_cmp_lg_u32 s20, 0
	s_cselect_b32 s20, s27, s21
	s_cselect_b32 s21, s28, s26
	s_cmp_lg_u64 s[18:19], 0
	s_subb_u32 s13, s13, s25
	s_cmp_ge_u32 s13, s11
	s_cselect_b32 s18, -1, 0
	s_cmp_ge_u32 s12, s10
	s_cselect_b32 s10, -1, 0
	s_cmp_eq_u32 s13, s11
	s_cselect_b32 s10, s10, s18
	s_cmp_lg_u32 s10, 0
	s_cselect_b32 s11, s21, s24
	s_cselect_b32 s10, s20, s23
	s_xor_b64 s[12:13], s[14:15], 0
	s_xor_b64 s[10:11], s[10:11], s[12:13]
	s_sub_u32 s10, s10, s12
	s_load_dwordx4 s[12:15], s[4:5], 0x44
	s_cbranch_execnz .LBB64_3
.LBB64_2:
	v_cvt_f32_u32_e32 v1, s22
	s_sub_i32 s10, 0, s22
	v_rcp_iflag_f32_e32 v1, v1
	v_mul_f32_e32 v1, 0x4f7ffffe, v1
	v_cvt_u32_f32_e32 v1, v1
	v_readfirstlane_b32 s11, v1
	s_mul_i32 s10, s10, s11
	s_mul_hi_u32 s10, s11, s10
	s_add_i32 s11, s11, s10
	s_mul_hi_u32 s10, s9, s11
	s_waitcnt lgkmcnt(0)
	s_mul_i32 s15, s10, s22
	s_sub_i32 s9, s9, s15
	s_add_i32 s11, s10, 1
	s_sub_i32 s15, s9, s22
	s_cmp_ge_u32 s9, s22
	s_cselect_b32 s10, s11, s10
	s_cselect_b32 s9, s15, s9
	s_add_i32 s11, s10, 1
	s_cmp_ge_u32 s9, s22
	s_cselect_b32 s10, s11, s10
.LBB64_3:
	s_add_i32 s9, s6, 1
	s_mul_hi_i32 s21, s3, s9
	s_mov_b32 s20, 0
	s_cmp_lg_u64 s[20:21], 0
	s_mul_i32 s9, s3, s9
	s_cbranch_scc0 .LBB64_21
; %bb.4:
	s_add_u32 s16, s22, 0
	s_addc_u32 s17, 0, 0
	s_xor_b64 s[18:19], s[16:17], 0
	v_cvt_f32_u32_e32 v1, s18
	v_cvt_f32_u32_e32 v2, s19
	s_sub_u32 s11, 0, s18
	s_waitcnt lgkmcnt(0)
	s_subb_u32 s15, 0, s19
	v_madmk_f32 v1, v2, 0x4f800000, v1
	v_rcp_f32_e32 v1, v1
	v_mul_f32_e32 v1, 0x5f7ffffc, v1
	v_mul_f32_e32 v2, 0x2f800000, v1
	v_trunc_f32_e32 v2, v2
	v_madmk_f32 v1, v2, 0xcf800000, v1
	v_cvt_u32_f32_e32 v2, v2
	v_cvt_u32_f32_e32 v1, v1
	v_readfirstlane_b32 s20, v2
	v_readfirstlane_b32 s23, v1
	s_mul_i32 s24, s11, s20
	s_mul_hi_u32 s26, s11, s23
	s_mul_i32 s25, s15, s23
	s_add_i32 s24, s26, s24
	s_add_i32 s24, s24, s25
	s_mul_i32 s27, s11, s23
	s_mul_i32 s26, s23, s24
	s_mul_hi_u32 s28, s23, s27
	s_mul_hi_u32 s25, s23, s24
	s_add_u32 s26, s28, s26
	s_addc_u32 s25, 0, s25
	s_mul_hi_u32 s29, s20, s27
	s_mul_i32 s27, s20, s27
	s_add_u32 s26, s26, s27
	s_mul_hi_u32 s28, s20, s24
	s_addc_u32 s25, s25, s29
	s_addc_u32 s26, s28, 0
	s_mul_i32 s24, s20, s24
	s_add_u32 s24, s25, s24
	s_addc_u32 s26, 0, s26
	s_add_u32 s23, s23, s24
	s_cselect_b64 s[24:25], -1, 0
	s_cmp_lg_u64 s[24:25], 0
	s_addc_u32 s20, s20, s26
	s_mul_i32 s24, s11, s20
	s_mul_hi_u32 s25, s11, s23
	s_add_i32 s24, s25, s24
	s_mul_i32 s15, s15, s23
	s_add_i32 s24, s24, s15
	s_mul_i32 s11, s11, s23
	s_mul_hi_u32 s25, s20, s11
	s_mul_i32 s26, s20, s11
	s_mul_i32 s28, s23, s24
	s_mul_hi_u32 s11, s23, s11
	s_mul_hi_u32 s27, s23, s24
	s_add_u32 s11, s11, s28
	s_addc_u32 s27, 0, s27
	s_add_u32 s11, s11, s26
	s_mul_hi_u32 s15, s20, s24
	s_addc_u32 s11, s27, s25
	s_addc_u32 s15, s15, 0
	s_mul_i32 s24, s20, s24
	s_add_u32 s11, s11, s24
	s_addc_u32 s15, 0, s15
	s_add_u32 s11, s23, s11
	s_cselect_b64 s[24:25], -1, 0
	s_cmp_lg_u64 s[24:25], 0
	s_addc_u32 s15, s20, s15
	s_ashr_i32 s24, s21, 31
	s_add_u32 s20, s9, s24
	s_mov_b32 s25, s24
	s_addc_u32 s21, s21, s24
	s_xor_b64 s[20:21], s[20:21], s[24:25]
	s_mul_i32 s26, s20, s15
	s_mul_hi_u32 s27, s20, s11
	s_mul_hi_u32 s23, s20, s15
	s_add_u32 s26, s27, s26
	s_addc_u32 s23, 0, s23
	s_mul_hi_u32 s28, s21, s11
	s_mul_i32 s11, s21, s11
	s_add_u32 s11, s26, s11
	s_mul_hi_u32 s27, s21, s15
	s_addc_u32 s11, s23, s28
	s_addc_u32 s23, s27, 0
	s_mul_i32 s15, s21, s15
	s_add_u32 s11, s11, s15
	s_addc_u32 s15, 0, s23
	s_mul_i32 s23, s18, s15
	s_mul_hi_u32 s26, s18, s11
	s_add_i32 s23, s26, s23
	s_mul_i32 s26, s19, s11
	s_add_i32 s23, s23, s26
	s_sub_i32 s28, s21, s23
	s_mul_i32 s26, s18, s11
	s_sub_u32 s20, s20, s26
	s_cselect_b64 s[26:27], -1, 0
	s_cmp_lg_u64 s[26:27], 0
	s_subb_u32 s30, s28, s19
	s_sub_u32 s31, s20, s18
	s_cselect_b64 s[28:29], -1, 0
	s_cmp_lg_u64 s[28:29], 0
	s_subb_u32 s28, s30, 0
	s_cmp_ge_u32 s28, s19
	s_cselect_b32 s29, -1, 0
	s_cmp_ge_u32 s31, s18
	s_cselect_b32 s30, -1, 0
	s_cmp_eq_u32 s28, s19
	s_cselect_b32 s28, s30, s29
	s_add_u32 s29, s11, 1
	s_addc_u32 s30, s15, 0
	s_add_u32 s31, s11, 2
	s_addc_u32 s33, s15, 0
	s_cmp_lg_u32 s28, 0
	s_cselect_b32 s28, s31, s29
	s_cselect_b32 s29, s33, s30
	s_cmp_lg_u64 s[26:27], 0
	s_subb_u32 s21, s21, s23
	s_cmp_ge_u32 s21, s19
	s_cselect_b32 s23, -1, 0
	s_cmp_ge_u32 s20, s18
	s_cselect_b32 s18, -1, 0
	s_cmp_eq_u32 s21, s19
	s_cselect_b32 s18, s18, s23
	s_cmp_lg_u32 s18, 0
	s_cselect_b32 s19, s29, s15
	s_cselect_b32 s18, s28, s11
	s_xor_b64 s[20:21], s[24:25], 0
	s_xor_b64 s[18:19], s[18:19], s[20:21]
	s_sub_u32 s18, s18, s20
	s_cbranch_execnz .LBB64_6
.LBB64_5:
	v_cvt_f32_u32_e32 v1, s22
	s_sub_i32 s11, 0, s22
	v_rcp_iflag_f32_e32 v1, v1
	v_mul_f32_e32 v1, 0x4f7ffffe, v1
	v_cvt_u32_f32_e32 v1, v1
	s_waitcnt lgkmcnt(0)
	v_readfirstlane_b32 s15, v1
	s_mul_i32 s11, s11, s15
	s_mul_hi_u32 s11, s15, s11
	s_add_i32 s15, s15, s11
	s_mul_hi_u32 s11, s9, s15
	s_mul_i32 s16, s11, s22
	s_sub_i32 s9, s9, s16
	s_add_i32 s15, s11, 1
	s_sub_i32 s16, s9, s22
	s_cmp_ge_u32 s9, s22
	s_cselect_b32 s11, s15, s11
	s_cselect_b32 s9, s16, s9
	s_add_i32 s15, s11, 1
	s_cmp_ge_u32 s9, s22
	s_cselect_b32 s18, s15, s11
.LBB64_6:
	s_cmp_eq_u32 s10, s18
	s_waitcnt lgkmcnt(0)
	s_mul_hi_u32 s9, s10, s12
	s_cselect_b64 s[16:17], -1, 0
	s_add_i32 s9, s9, s10
	s_lshr_b32 s11, s9, s13
	s_mul_i32 s9, s11, s14
	s_cmp_eq_u32 s9, s10
	s_mul_hi_u32 s9, s18, s12
	s_cselect_b64 s[20:21], -1, 0
	s_add_i32 s9, s9, s18
	s_lshr_b32 s9, s9, s13
	s_cmp_eq_u32 s11, s9
	s_mul_i32 s9, s9, s14
	s_cselect_b64 s[24:25], -1, 0
	s_cmp_lg_u32 s9, s18
	s_cselect_b64 s[18:19], -1, 0
	s_and_b64 s[18:19], s[24:25], s[18:19]
	s_or_b64 s[16:17], s[16:17], s[20:21]
	s_or_b64 s[16:17], s[16:17], s[18:19]
	s_and_b64 vcc, exec, s[16:17]
	s_cbranch_vccnz .LBB64_23
; %bb.7:
	s_load_dwordx8 s[24:31], s[4:5], 0x20
	s_load_dword s15, s[4:5], 0x40
	s_waitcnt lgkmcnt(0)
	s_mul_hi_u32 s9, s10, s24
	s_add_i32 s9, s9, s10
	s_lshr_b32 s9, s9, s25
	s_mul_i32 s16, s9, s26
	s_sub_i32 s16, s10, s16
	s_mul_hi_u32 s17, s16, s27
	s_add_i32 s17, s16, s17
	s_lshr_b32 s24, s17, s28
	s_mul_i32 s17, s24, s29
	s_sub_i32 s16, s16, s17
	;; [unrolled: 5-line block ×3, first 2 shown]
	s_mul_hi_u32 s16, s15, s12
	s_add_i32 s15, s15, s16
	s_lshr_b32 s25, s15, s13
	s_lshl_b32 s15, s25, 3
	s_add_i32 s15, s15, s7
	s_cmp_lt_i32 s15, s0
	s_cselect_b64 s[16:17], -1, 0
	s_add_i32 s15, s23, s8
	s_cmp_lt_i32 s15, s2
	s_cselect_b64 s[18:19], -1, 0
	s_and_b64 s[16:17], s[16:17], s[18:19]
	s_andn2_b64 vcc, exec, s[16:17]
	s_cbranch_vccnz .LBB64_23
; %bb.8:
	s_load_dwordx4 s[16:19], s[4:5], 0x0
	s_mov_b32 s4, 0
	s_lshl_b32 s20, s22, 5
	s_mov_b32 s21, s4
	s_add_i32 s15, s7, s8
	s_lshl_b64 s[20:21], s[20:21], 2
	s_waitcnt lgkmcnt(0)
	s_add_u32 s20, s18, s20
	s_mul_i32 s0, s9, s0
	s_addc_u32 s21, s19, s21
	s_add_i32 s0, s0, s7
	s_mul_i32 s0, s0, s1
	s_mul_i32 s24, s24, s2
	s_add_i32 s0, s0, s8
	s_add_i32 s0, s0, s24
	s_mul_i32 s2, s1, s25
	s_add_i32 s0, s0, s23
	s_lshl_b32 s2, s2, 9
	s_lshl_b32 s0, s0, 6
	s_add_i32 s2, s2, s0
	v_or_b32_e32 v1, s2, v0
	v_ashrrev_i32_e32 v2, 31, v1
	v_lshlrev_b64 v[1:2], 2, v[1:2]
	v_mov_b32_e32 v3, s17
	v_add_co_u32_e32 v1, vcc, s16, v1
	v_addc_co_u32_e32 v2, vcc, v3, v2, vcc
	global_load_dword v3, v[1:2], off
	v_cvt_f32_u32_e32 v4, s22
	s_lshl_b32 s0, s6, 3
	s_add_i32 s0, s0, s15
	s_ashr_i32 s1, s0, 31
	s_lshl_b64 s[0:1], s[0:1], 3
	v_rcp_iflag_f32_e32 v4, v4
	s_add_u32 s0, s18, s0
	s_addc_u32 s1, s19, s1
	s_load_dwordx2 s[0:1], s[0:1], 0x0
	v_mul_f32_e32 v4, 0x4f7ffffe, v4
	v_cvt_u32_f32_e32 v4, v4
	s_add_i32 s24, s6, -1
	v_lshl_or_b32 v0, s15, 6, v0
	s_waitcnt lgkmcnt(0)
	v_mov_b32_e32 v6, s1
	v_mov_b32_e32 v7, s0
	s_mov_b32 s2, 0x3fb8aa3b
	s_mov_b32 s16, 0xc2ce8ed0
	s_mov_b32 s17, 0x42b17218
	s_mov_b32 s23, 0xc1a00000
	v_mov_b32_e32 v5, 0x7f800000
	s_mul_hi_i32 s5, s24, s3
	s_cmp_lg_u64 s[4:5], 0
	s_mul_i32 s8, s24, s3
	s_cbranch_scc0 .LBB64_19
.LBB64_9:
	s_add_u32 s0, s22, 0
	s_addc_u32 s1, 0, 0
	s_xor_b64 s[0:1], s[0:1], 0
	v_cvt_f32_u32_e32 v8, s0
	v_cvt_f32_u32_e32 v9, s1
	s_sub_u32 s9, 0, s0
	s_subb_u32 s25, 0, s1
	v_mac_f32_e32 v8, 0x4f800000, v9
	v_rcp_f32_e32 v8, v8
	v_mul_f32_e32 v8, 0x5f7ffffc, v8
	v_mul_f32_e32 v9, 0x2f800000, v8
	v_trunc_f32_e32 v9, v9
	v_mac_f32_e32 v8, 0xcf800000, v9
	v_cvt_u32_f32_e32 v9, v9
	v_cvt_u32_f32_e32 v8, v8
	v_readfirstlane_b32 s26, v9
	v_readfirstlane_b32 s6, v8
	s_mul_i32 s7, s9, s26
	s_mul_hi_u32 s28, s9, s6
	s_mul_i32 s27, s25, s6
	s_add_i32 s7, s28, s7
	s_mul_i32 s29, s9, s6
	s_add_i32 s7, s7, s27
	s_mul_i32 s28, s6, s7
	s_mul_hi_u32 s30, s6, s29
	s_mul_hi_u32 s27, s6, s7
	s_add_u32 s28, s30, s28
	s_addc_u32 s27, 0, s27
	s_mul_hi_u32 s31, s26, s29
	s_mul_i32 s29, s26, s29
	s_add_u32 s28, s28, s29
	s_mul_hi_u32 s30, s26, s7
	s_addc_u32 s27, s27, s31
	s_addc_u32 s28, s30, 0
	s_mul_i32 s7, s26, s7
	s_add_u32 s7, s27, s7
	s_addc_u32 s27, 0, s28
	s_add_u32 s28, s6, s7
	s_cselect_b64 s[6:7], -1, 0
	s_cmp_lg_u64 s[6:7], 0
	s_addc_u32 s26, s26, s27
	s_mul_i32 s6, s9, s26
	s_mul_hi_u32 s7, s9, s28
	s_add_i32 s6, s7, s6
	s_mul_i32 s25, s25, s28
	s_add_i32 s6, s6, s25
	s_mul_i32 s9, s9, s28
	s_mul_hi_u32 s25, s26, s9
	s_mul_i32 s27, s26, s9
	s_mul_i32 s30, s28, s6
	s_mul_hi_u32 s9, s28, s9
	s_mul_hi_u32 s29, s28, s6
	s_add_u32 s9, s9, s30
	s_addc_u32 s29, 0, s29
	s_add_u32 s9, s9, s27
	s_mul_hi_u32 s7, s26, s6
	s_addc_u32 s9, s29, s25
	s_addc_u32 s7, s7, 0
	s_mul_i32 s6, s26, s6
	s_add_u32 s6, s9, s6
	s_addc_u32 s9, 0, s7
	s_add_u32 s25, s28, s6
	s_cselect_b64 s[6:7], -1, 0
	s_cmp_lg_u64 s[6:7], 0
	s_addc_u32 s9, s26, s9
	s_ashr_i32 s6, s5, 31
	s_add_u32 s26, s8, s6
	s_mov_b32 s7, s6
	s_addc_u32 s27, s5, s6
	s_xor_b64 s[26:27], s[26:27], s[6:7]
	s_mul_i32 s28, s26, s9
	s_mul_hi_u32 s29, s26, s25
	s_mul_hi_u32 s5, s26, s9
	s_add_u32 s28, s29, s28
	s_addc_u32 s5, 0, s5
	s_mul_hi_u32 s30, s27, s25
	s_mul_i32 s25, s27, s25
	s_add_u32 s25, s28, s25
	s_mul_hi_u32 s29, s27, s9
	s_addc_u32 s5, s5, s30
	s_addc_u32 s25, s29, 0
	s_mul_i32 s9, s27, s9
	s_add_u32 s5, s5, s9
	s_addc_u32 s9, 0, s25
	s_mul_i32 s25, s0, s9
	s_mul_hi_u32 s28, s0, s5
	s_add_i32 s25, s28, s25
	s_mul_i32 s28, s1, s5
	s_add_i32 s25, s25, s28
	s_sub_i32 s30, s27, s25
	s_mul_i32 s28, s0, s5
	s_sub_u32 s26, s26, s28
	s_cselect_b64 s[28:29], -1, 0
	s_cmp_lg_u64 s[28:29], 0
	s_subb_u32 s33, s30, s1
	s_sub_u32 s34, s26, s0
	s_cselect_b64 s[30:31], -1, 0
	s_cmp_lg_u64 s[30:31], 0
	s_subb_u32 s30, s33, 0
	s_cmp_ge_u32 s30, s1
	s_cselect_b32 s31, -1, 0
	s_cmp_ge_u32 s34, s0
	s_cselect_b32 s33, -1, 0
	s_cmp_eq_u32 s30, s1
	s_cselect_b32 s30, s33, s31
	s_add_u32 s31, s5, 1
	s_addc_u32 s33, s9, 0
	s_add_u32 s34, s5, 2
	s_addc_u32 s35, s9, 0
	s_cmp_lg_u32 s30, 0
	s_cselect_b32 s30, s34, s31
	s_cselect_b32 s31, s35, s33
	s_cmp_lg_u64 s[28:29], 0
	s_subb_u32 s25, s27, s25
	s_cmp_ge_u32 s25, s1
	s_cselect_b32 s27, -1, 0
	s_cmp_ge_u32 s26, s0
	s_cselect_b32 s0, -1, 0
	s_cmp_eq_u32 s25, s1
	s_cselect_b32 s0, s0, s27
	s_cmp_lg_u32 s0, 0
	s_cselect_b32 s1, s31, s9
	s_cselect_b32 s0, s30, s5
	s_xor_b64 s[6:7], s[6:7], 0
	s_xor_b64 s[0:1], s[0:1], s[6:7]
	s_sub_u32 s6, s0, s6
	s_cbranch_execnz .LBB64_11
.LBB64_10:
	s_sub_i32 s0, 0, s22
	v_readfirstlane_b32 s1, v4
	s_mul_i32 s0, s0, s1
	s_mul_hi_u32 s0, s1, s0
	s_add_i32 s1, s1, s0
	s_mul_hi_u32 s0, s8, s1
	s_mul_i32 s5, s0, s22
	s_sub_i32 s5, s8, s5
	s_add_i32 s1, s0, 1
	s_sub_i32 s6, s5, s22
	s_cmp_ge_u32 s5, s22
	s_cselect_b32 s0, s1, s0
	s_cselect_b32 s5, s6, s5
	s_add_i32 s1, s0, 1
	s_cmp_ge_u32 s5, s22
	s_cselect_b32 s6, s1, s0
.LBB64_11:
	s_cmp_lg_u32 s10, s6
	s_mov_b64 s[8:9], -1
                                        ; implicit-def: $sgpr0_sgpr1
                                        ; implicit-def: $vgpr10
                                        ; implicit-def: $vgpr8
                                        ; implicit-def: $vgpr9
                                        ; implicit-def: $sgpr5
                                        ; implicit-def: $sgpr7
	s_cbranch_scc1 .LBB64_14
; %bb.12:
	s_andn2_b64 vcc, exec, s[8:9]
	s_cbranch_vccz .LBB64_17
.LBB64_13:
	s_andn2_b64 vcc, exec, s[0:1]
	s_cbranch_vccnz .LBB64_18
	s_branch .LBB64_22
.LBB64_14:
	s_add_i32 s0, s24, s22
	s_lshl_b32 s0, s0, 3
	s_add_i32 s0, s0, s15
	s_mov_b32 s1, s4
	s_lshl_b64 s[0:1], s[0:1], 3
	s_add_u32 s8, s18, s0
	s_mul_hi_u32 s0, s6, s12
	s_addc_u32 s9, s19, s1
	s_add_i32 s0, s0, s6
	s_lshr_b32 s5, s0, s13
	s_mul_i32 s0, s5, s14
	s_cmp_eq_u32 s0, s6
	s_cselect_b64 s[0:1], -1, 0
	s_cmp_lt_u32 s5, s11
	s_cselect_b64 s[26:27], -1, 0
	s_or_b64 s[26:27], s[26:27], s[0:1]
	s_mov_b64 s[0:1], -1
	s_and_b64 vcc, exec, s[26:27]
	s_mov_b32 s5, s24
	s_mov_b32 s7, s10
	s_cbranch_vccnz .LBB64_16
; %bb.15:
	s_add_i32 s5, s24, -1
	s_mov_b64 s[0:1], 0
	s_mov_b32 s7, s6
.LBB64_16:
	v_lshl_add_u32 v8, s24, 9, v0
	v_ashrrev_i32_e32 v9, 31, v8
	v_lshlrev_b64 v[8:9], 2, v[8:9]
	v_mov_b32_e32 v10, s21
	v_add_co_u32_e32 v8, vcc, s20, v8
	v_addc_co_u32_e32 v9, vcc, v10, v9, vcc
	global_load_dword v10, v[8:9], off
	s_load_dwordx2 s[8:9], s[8:9], 0x0
	v_max_f32_e32 v8, v7, v7
	s_waitcnt lgkmcnt(0)
	v_max_f32_e64 v9, s8, s8
	v_max_f32_e32 v8, v8, v9
	v_sub_f32_e32 v9, v7, v8
	v_sub_f32_e32 v11, s8, v8
	v_mul_f32_e32 v12, 0x3fb8aa3b, v9
	v_mul_f32_e32 v13, 0x3fb8aa3b, v11
	v_fma_f32 v14, v9, s2, -v12
	v_rndne_f32_e32 v15, v12
	v_fma_f32 v16, v11, s2, -v13
	v_rndne_f32_e32 v17, v13
	v_fmac_f32_e32 v14, 0x32a5705f, v9
	v_sub_f32_e32 v12, v12, v15
	v_fmac_f32_e32 v16, 0x32a5705f, v11
	v_sub_f32_e32 v13, v13, v17
	v_add_f32_e32 v12, v12, v14
	v_cvt_i32_f32_e32 v15, v15
	v_add_f32_e32 v13, v13, v16
	v_exp_f32_e32 v12, v12
	v_cvt_i32_f32_e32 v17, v17
	v_exp_f32_e32 v13, v13
	v_cmp_ngt_f32_e32 vcc, s16, v9
	v_ldexp_f32 v12, v12, v15
	v_cndmask_b32_e32 v12, 0, v12, vcc
	v_ldexp_f32 v13, v13, v17
	v_cmp_ngt_f32_e32 vcc, s16, v11
	v_cndmask_b32_e32 v13, 0, v13, vcc
	v_cmp_nlt_f32_e32 vcc, s17, v9
	v_cndmask_b32_e32 v12, v5, v12, vcc
	v_cmp_nlt_f32_e32 vcc, s17, v11
	v_cndmask_b32_e32 v13, v5, v13, vcc
	v_cmp_le_f32_e32 vcc, s23, v9
	v_cndmask_b32_e32 v12, 0, v12, vcc
	v_cmp_le_f32_e32 vcc, s23, v11
	v_cndmask_b32_e32 v11, 0, v13, vcc
	v_mul_f32_e32 v9, s9, v11
	v_fmac_f32_e32 v9, v6, v12
	s_waitcnt vmcnt(0)
	v_mul_f32_e32 v10, v10, v11
	v_fmac_f32_e32 v10, v3, v12
	s_cbranch_execnz .LBB64_13
.LBB64_17:
	s_add_i32 s5, s24, -1
	s_mov_b32 s7, s10
	v_mov_b32_e32 v9, v6
	v_mov_b32_e32 v8, v7
	s_waitcnt vmcnt(0)
	v_mov_b32_e32 v10, v3
	s_cbranch_execz .LBB64_22
.LBB64_18:
	s_mov_b32 s10, s7
	s_mov_b32 s24, s5
	v_mov_b32_e32 v6, v9
	v_mov_b32_e32 v7, v8
	s_waitcnt vmcnt(0)
	v_mov_b32_e32 v3, v10
	s_mul_hi_i32 s5, s24, s3
	s_cmp_lg_u64 s[4:5], 0
	s_mul_i32 s8, s24, s3
	s_cbranch_scc1 .LBB64_9
.LBB64_19:
                                        ; implicit-def: $sgpr6_sgpr7
	s_branch .LBB64_10
.LBB64_20:
                                        ; implicit-def: $sgpr10_sgpr11
	s_load_dwordx4 s[12:15], s[4:5], 0x44
	s_branch .LBB64_2
.LBB64_21:
                                        ; implicit-def: $sgpr18_sgpr19
	s_branch .LBB64_5
.LBB64_22:
	v_div_scale_f32 v0, s[0:1], v9, v9, v10
	s_waitcnt vmcnt(0)
	v_div_scale_f32 v3, vcc, v10, v9, v10
	v_rcp_f32_e32 v4, v0
	v_fma_f32 v5, -v0, v4, 1.0
	v_fmac_f32_e32 v4, v5, v4
	v_mul_f32_e32 v5, v3, v4
	v_fma_f32 v6, -v0, v5, v3
	v_fmac_f32_e32 v5, v6, v4
	v_fma_f32 v0, -v0, v5, v3
	v_div_fmas_f32 v0, v0, v4, v5
	v_div_fixup_f32 v0, v0, v9, v10
	global_store_dword v[1:2], v0, off
.LBB64_23:
	s_endpgm
	.section	.rodata,"a",@progbits
	.p2align	6, 0x0
	.amdhsa_kernel _ZL33flash_attn_stream_k_fixup_generalILi64ELi8ELi1EEvPfPK15HIP_vector_typeIfLj2EEiiiiS1_IjLj3EES5_S5_S5_
		.amdhsa_group_segment_fixed_size 0
		.amdhsa_private_segment_fixed_size 0
		.amdhsa_kernarg_size 336
		.amdhsa_user_sgpr_count 6
		.amdhsa_user_sgpr_private_segment_buffer 1
		.amdhsa_user_sgpr_dispatch_ptr 0
		.amdhsa_user_sgpr_queue_ptr 0
		.amdhsa_user_sgpr_kernarg_segment_ptr 1
		.amdhsa_user_sgpr_dispatch_id 0
		.amdhsa_user_sgpr_flat_scratch_init 0
		.amdhsa_user_sgpr_private_segment_size 0
		.amdhsa_uses_dynamic_stack 0
		.amdhsa_system_sgpr_private_segment_wavefront_offset 0
		.amdhsa_system_sgpr_workgroup_id_x 1
		.amdhsa_system_sgpr_workgroup_id_y 1
		.amdhsa_system_sgpr_workgroup_id_z 1
		.amdhsa_system_sgpr_workgroup_info 0
		.amdhsa_system_vgpr_workitem_id 0
		.amdhsa_next_free_vgpr 18
		.amdhsa_next_free_sgpr 36
		.amdhsa_reserve_vcc 1
		.amdhsa_reserve_flat_scratch 0
		.amdhsa_float_round_mode_32 0
		.amdhsa_float_round_mode_16_64 0
		.amdhsa_float_denorm_mode_32 3
		.amdhsa_float_denorm_mode_16_64 3
		.amdhsa_dx10_clamp 1
		.amdhsa_ieee_mode 1
		.amdhsa_fp16_overflow 0
		.amdhsa_exception_fp_ieee_invalid_op 0
		.amdhsa_exception_fp_denorm_src 0
		.amdhsa_exception_fp_ieee_div_zero 0
		.amdhsa_exception_fp_ieee_overflow 0
		.amdhsa_exception_fp_ieee_underflow 0
		.amdhsa_exception_fp_ieee_inexact 0
		.amdhsa_exception_int_div_zero 0
	.end_amdhsa_kernel
	.section	.text._ZL33flash_attn_stream_k_fixup_generalILi64ELi8ELi1EEvPfPK15HIP_vector_typeIfLj2EEiiiiS1_IjLj3EES5_S5_S5_,"axG",@progbits,_ZL33flash_attn_stream_k_fixup_generalILi64ELi8ELi1EEvPfPK15HIP_vector_typeIfLj2EEiiiiS1_IjLj3EES5_S5_S5_,comdat
.Lfunc_end64:
	.size	_ZL33flash_attn_stream_k_fixup_generalILi64ELi8ELi1EEvPfPK15HIP_vector_typeIfLj2EEiiiiS1_IjLj3EES5_S5_S5_, .Lfunc_end64-_ZL33flash_attn_stream_k_fixup_generalILi64ELi8ELi1EEvPfPK15HIP_vector_typeIfLj2EEiiiiS1_IjLj3EES5_S5_S5_
                                        ; -- End function
	.set _ZL33flash_attn_stream_k_fixup_generalILi64ELi8ELi1EEvPfPK15HIP_vector_typeIfLj2EEiiiiS1_IjLj3EES5_S5_S5_.num_vgpr, 18
	.set _ZL33flash_attn_stream_k_fixup_generalILi64ELi8ELi1EEvPfPK15HIP_vector_typeIfLj2EEiiiiS1_IjLj3EES5_S5_S5_.num_agpr, 0
	.set _ZL33flash_attn_stream_k_fixup_generalILi64ELi8ELi1EEvPfPK15HIP_vector_typeIfLj2EEiiiiS1_IjLj3EES5_S5_S5_.numbered_sgpr, 36
	.set _ZL33flash_attn_stream_k_fixup_generalILi64ELi8ELi1EEvPfPK15HIP_vector_typeIfLj2EEiiiiS1_IjLj3EES5_S5_S5_.num_named_barrier, 0
	.set _ZL33flash_attn_stream_k_fixup_generalILi64ELi8ELi1EEvPfPK15HIP_vector_typeIfLj2EEiiiiS1_IjLj3EES5_S5_S5_.private_seg_size, 0
	.set _ZL33flash_attn_stream_k_fixup_generalILi64ELi8ELi1EEvPfPK15HIP_vector_typeIfLj2EEiiiiS1_IjLj3EES5_S5_S5_.uses_vcc, 1
	.set _ZL33flash_attn_stream_k_fixup_generalILi64ELi8ELi1EEvPfPK15HIP_vector_typeIfLj2EEiiiiS1_IjLj3EES5_S5_S5_.uses_flat_scratch, 0
	.set _ZL33flash_attn_stream_k_fixup_generalILi64ELi8ELi1EEvPfPK15HIP_vector_typeIfLj2EEiiiiS1_IjLj3EES5_S5_S5_.has_dyn_sized_stack, 0
	.set _ZL33flash_attn_stream_k_fixup_generalILi64ELi8ELi1EEvPfPK15HIP_vector_typeIfLj2EEiiiiS1_IjLj3EES5_S5_S5_.has_recursion, 0
	.set _ZL33flash_attn_stream_k_fixup_generalILi64ELi8ELi1EEvPfPK15HIP_vector_typeIfLj2EEiiiiS1_IjLj3EES5_S5_S5_.has_indirect_call, 0
	.section	.AMDGPU.csdata,"",@progbits
; Kernel info:
; codeLenInByte = 2932
; TotalNumSgprs: 40
; NumVgprs: 18
; ScratchSize: 0
; MemoryBound: 0
; FloatMode: 240
; IeeeMode: 1
; LDSByteSize: 0 bytes/workgroup (compile time only)
; SGPRBlocks: 4
; VGPRBlocks: 4
; NumSGPRsForWavesPerEU: 40
; NumVGPRsForWavesPerEU: 18
; Occupancy: 10
; WaveLimiterHint : 0
; COMPUTE_PGM_RSRC2:SCRATCH_EN: 0
; COMPUTE_PGM_RSRC2:USER_SGPR: 6
; COMPUTE_PGM_RSRC2:TRAP_HANDLER: 0
; COMPUTE_PGM_RSRC2:TGID_X_EN: 1
; COMPUTE_PGM_RSRC2:TGID_Y_EN: 1
; COMPUTE_PGM_RSRC2:TGID_Z_EN: 1
; COMPUTE_PGM_RSRC2:TIDIG_COMP_CNT: 0
	.section	.text._ZL15flash_attn_tileILi64ELi64ELi4ELi1ELb0EEvPKcS1_S1_S1_S1_PKiPfP15HIP_vector_typeIfLj2EEffffjfiS5_IjLj3EEiiiiiiiiiiiliiliiiiil,"axG",@progbits,_ZL15flash_attn_tileILi64ELi64ELi4ELi1ELb0EEvPKcS1_S1_S1_S1_PKiPfP15HIP_vector_typeIfLj2EEffffjfiS5_IjLj3EEiiiiiiiiiiiliiliiiiil,comdat
	.globl	_ZL15flash_attn_tileILi64ELi64ELi4ELi1ELb0EEvPKcS1_S1_S1_S1_PKiPfP15HIP_vector_typeIfLj2EEffffjfiS5_IjLj3EEiiiiiiiiiiiliiliiiiil ; -- Begin function _ZL15flash_attn_tileILi64ELi64ELi4ELi1ELb0EEvPKcS1_S1_S1_S1_PKiPfP15HIP_vector_typeIfLj2EEffffjfiS5_IjLj3EEiiiiiiiiiiiliiliiiiil
	.p2align	8
	.type	_ZL15flash_attn_tileILi64ELi64ELi4ELi1ELb0EEvPKcS1_S1_S1_S1_PKiPfP15HIP_vector_typeIfLj2EEffffjfiS5_IjLj3EEiiiiiiiiiiiliiliiiiil,@function
_ZL15flash_attn_tileILi64ELi64ELi4ELi1ELb0EEvPKcS1_S1_S1_S1_PKiPfP15HIP_vector_typeIfLj2EEffffjfiS5_IjLj3EEiiiiiiiiiiiliiliiiiil: ; @_ZL15flash_attn_tileILi64ELi64ELi4ELi1ELb0EEvPKcS1_S1_S1_S1_PKiPfP15HIP_vector_typeIfLj2EEffffjfiS5_IjLj3EEiiiiiiiiiiiliiliiiiil
; %bb.0:
	s_load_dwordx4 s[28:31], s[4:5], 0x5c
	s_load_dwordx2 s[42:43], s[4:5], 0x80
	s_add_u32 flat_scratch_lo, s6, s11
	s_addc_u32 flat_scratch_hi, s7, 0
	s_add_u32 s0, s0, s11
	s_waitcnt lgkmcnt(0)
	v_cvt_f32_u32_e32 v2, s31
	s_addc_u32 s1, s1, 0
	s_sub_i32 s6, 0, s31
	s_load_dwordx2 s[44:45], s[4:5], 0xb8
	v_rcp_iflag_f32_e32 v2, v2
	s_mov_b64 s[40:41], 0
	v_mul_f32_e32 v2, 0x4f7ffffe, v2
	v_cvt_u32_f32_e32 v2, v2
	v_readfirstlane_b32 s7, v2
	s_mul_i32 s6, s6, s7
	s_mul_hi_u32 s6, s7, s6
	s_add_i32 s7, s7, s6
	s_mul_hi_u32 s6, s10, s7
	s_mul_i32 s7, s6, s31
	s_sub_i32 s7, s10, s7
	s_add_i32 s11, s6, 1
	s_sub_i32 s12, s7, s31
	s_cmp_ge_u32 s7, s31
	s_cselect_b32 s6, s11, s6
	s_cselect_b32 s7, s12, s7
	s_add_i32 s11, s6, 1
	s_cmp_ge_u32 s7, s31
	s_cselect_b32 s33, s11, s6
	s_abs_i32 s6, s43
	v_cvt_f32_u32_e32 v2, s6
	s_mul_i32 s12, s33, s31
	s_sub_i32 s13, 0, s6
	s_sub_i32 s34, s10, s12
	v_rcp_iflag_f32_e32 v2, v2
	s_abs_i32 s11, s31
	s_xor_b32 s7, s31, s43
	s_ashr_i32 s7, s7, 31
	v_mul_f32_e32 v2, 0x4f7ffffe, v2
	v_cvt_u32_f32_e32 v2, v2
	v_readfirstlane_b32 s10, v2
	s_mul_i32 s13, s13, s10
	s_mul_hi_u32 s12, s10, s13
	s_add_i32 s10, s10, s12
	s_mul_hi_u32 s10, s11, s10
	s_mul_i32 s12, s10, s6
	s_sub_i32 s11, s11, s12
	s_add_i32 s13, s10, 1
	s_sub_i32 s12, s11, s6
	s_cmp_ge_u32 s11, s6
	s_cselect_b32 s10, s13, s10
	s_cselect_b32 s11, s12, s11
	s_add_i32 s12, s10, 1
	s_cmp_ge_u32 s11, s6
	s_cselect_b32 s6, s12, s10
	s_xor_b32 s6, s6, s7
	s_sub_i32 s47, s6, s7
	s_abs_i32 s43, s47
	v_cvt_f32_u32_e32 v2, s43
	s_load_dwordx16 s[12:27], s[4:5], 0x0
	s_sub_i32 s6, 0, s43
	s_abs_i32 s46, s34
	v_rcp_iflag_f32_e32 v2, v2
	v_mul_f32_e32 v2, 0x4f7ffffe, v2
	v_cvt_u32_f32_e32 v2, v2
	v_readfirstlane_b32 s7, v2
	s_mul_i32 s6, s6, s7
	s_mul_hi_u32 s6, s7, s6
	s_add_i32 s6, s7, s6
	s_waitcnt lgkmcnt(0)
	s_cmp_eq_u64 s[18:19], 0
	s_cbranch_scc1 .LBB65_2
; %bb.1:
	s_abs_i32 s7, s44
	v_cvt_f32_u32_e32 v2, s7
	s_sub_i32 s37, 0, s7
	s_abs_i32 s36, s33
	s_ashr_i32 s35, s33, 31
	v_rcp_iflag_f32_e32 v2, v2
	s_load_dwordx2 s[10:11], s[4:5], 0xc8
	v_mul_f32_e32 v2, 0x4f7ffffe, v2
	v_cvt_u32_f32_e32 v2, v2
	v_readfirstlane_b32 s38, v2
	s_mul_i32 s37, s37, s38
	s_mul_hi_u32 s37, s38, s37
	s_add_i32 s38, s38, s37
	s_mul_hi_u32 s37, s36, s38
	s_mul_i32 s37, s37, s7
	s_sub_i32 s36, s36, s37
	s_sub_i32 s37, s36, s7
	s_cmp_ge_u32 s36, s7
	s_cselect_b32 s36, s37, s36
	s_sub_i32 s37, s36, s7
	s_cmp_ge_u32 s36, s7
	s_cselect_b32 s7, s37, s36
	s_xor_b32 s7, s7, s35
	s_sub_i32 s7, s7, s35
	s_ashr_i32 s35, s7, 31
	s_waitcnt lgkmcnt(0)
	s_mul_hi_u32 s36, s10, s7
	s_mul_i32 s35, s10, s35
	s_mul_i32 s11, s11, s7
	s_add_i32 s35, s36, s35
	s_add_i32 s35, s35, s11
	s_mul_i32 s7, s10, s7
	s_add_u32 s40, s18, s7
	s_addc_u32 s41, s19, s35
.LBB65_2:
	s_load_dwordx4 s[36:39], s[4:5], 0x40
	s_mul_hi_u32 s44, s46, s6
	s_load_dword s6, s[4:5], 0x50
	v_mov_b32_e32 v26, 1.0
	s_waitcnt lgkmcnt(0)
	v_cmp_le_f32_e64 s[10:11], s37, 0
	s_and_b64 vcc, exec, s[10:11]
	s_cbranch_vccnz .LBB65_4
; %bb.3:
	v_mov_b32_e32 v2, s6
	v_sub_co_u32_e32 v2, vcc, s34, v2
	v_mov_b32_e32 v3, s39
	v_mov_b32_e32 v4, s38
	s_add_i32 s6, s34, 1
	v_lshlrev_b32_e32 v2, 1, v2
	v_cndmask_b32_e32 v4, v3, v4, vcc
	v_or_b32_e32 v2, 1, v2
	v_mov_b32_e32 v3, s6
	v_cndmask_b32_e32 v2, v2, v3, vcc
	v_cvt_f32_i32_e32 v2, v2
	v_cmp_neq_f32_e32 vcc, 1.0, v4
	s_mov_b32 s6, 0x3f2aaaab
	s_movk_i32 s10, 0x204
	v_cndmask_b32_e32 v3, 1.0, v2, vcc
	v_cmp_neq_f32_e32 vcc, 0, v3
	v_cndmask_b32_e32 v2, 1.0, v4, vcc
	v_frexp_mant_f32_e64 v4, |v2|
	v_cmp_gt_f32_e32 vcc, s6, v4
	v_cndmask_b32_e64 v5, 1.0, 2.0, vcc
	v_mul_f32_e32 v4, v4, v5
	v_add_f32_e32 v5, 1.0, v4
	v_rcp_f32_e32 v6, v5
	v_add_f32_e32 v7, -1.0, v4
	v_add_f32_e32 v8, -1.0, v5
	v_sub_f32_e32 v4, v4, v8
	v_mul_f32_e32 v8, v7, v6
	v_mul_f32_e32 v9, v5, v8
	v_fma_f32 v5, v8, v5, -v9
	v_fmac_f32_e32 v5, v8, v4
	v_add_f32_e32 v4, v9, v5
	v_sub_f32_e32 v10, v7, v4
	v_sub_f32_e32 v9, v4, v9
	;; [unrolled: 1-line block ×5, first 2 shown]
	v_add_f32_e32 v4, v5, v4
	v_add_f32_e32 v4, v10, v4
	v_mul_f32_e32 v4, v6, v4
	v_add_f32_e32 v6, v8, v4
	v_sub_f32_e32 v5, v6, v8
	v_sub_f32_e32 v7, v4, v5
	v_mul_f32_e32 v4, v6, v6
	v_fma_f32 v5, v6, v6, -v4
	v_add_f32_e32 v8, v7, v7
	v_fmac_f32_e32 v5, v6, v8
	v_add_f32_e32 v8, v4, v5
	v_mov_b32_e32 v9, 0x3e91f4c4
	v_sub_f32_e32 v4, v8, v4
	v_fmac_f32_e32 v9, 0x3e76c4e1, v8
	v_mov_b32_e32 v10, 0x3ecccdef
	v_sub_f32_e32 v4, v5, v4
	v_mul_f32_e32 v5, v6, v8
	v_fmac_f32_e32 v10, v8, v9
	v_fma_f32 v9, v8, v6, -v5
	v_fmac_f32_e32 v9, v8, v7
	v_fmac_f32_e32 v9, v4, v6
	v_add_f32_e32 v11, v5, v9
	v_sub_f32_e32 v5, v11, v5
	v_sub_f32_e32 v9, v9, v5
	v_mul_f32_e32 v5, v8, v10
	v_fma_f32 v8, v8, v10, -v5
	v_fmac_f32_e32 v8, v4, v10
	v_add_f32_e32 v10, v5, v8
	v_sub_f32_e32 v4, v10, v5
	v_sub_f32_e32 v8, v8, v4
	v_cvt_f64_f32_e64 v[4:5], |v2|
	v_add_f32_e32 v12, 0x3f2aaaaa, v10
	v_add_f32_e32 v13, 0xbf2aaaaa, v12
	;; [unrolled: 1-line block ×3, first 2 shown]
	v_frexp_exp_i32_f64_e32 v4, v[4:5]
	v_sub_f32_e32 v10, v10, v13
	v_add_f32_e32 v5, v8, v10
	v_add_f32_e32 v8, v12, v5
	v_sub_f32_e32 v10, v12, v8
	v_add_f32_e32 v5, v5, v10
	v_mul_f32_e32 v10, v11, v8
	v_fma_f32 v12, v11, v8, -v10
	v_subbrev_co_u32_e32 v4, vcc, 0, v4, vcc
	v_cvt_f32_i32_e32 v4, v4
	v_fmac_f32_e32 v12, v11, v5
	s_mov_b32 s6, 0x3f317218
	v_fmac_f32_e32 v12, v9, v8
	v_mul_f32_e32 v5, 0x3f317218, v4
	v_fma_f32 v8, v4, s6, -v5
	v_fmac_f32_e32 v8, 0xb102e308, v4
	v_ldexp_f32 v4, v7, 1
	v_add_f32_e32 v7, v5, v8
	v_sub_f32_e32 v5, v7, v5
	v_ldexp_f32 v6, v6, 1
	v_sub_f32_e32 v5, v8, v5
	v_add_f32_e32 v8, v10, v12
	v_sub_f32_e32 v9, v8, v10
	v_add_f32_e32 v10, v6, v8
	v_sub_f32_e32 v9, v12, v9
	v_sub_f32_e32 v6, v10, v6
	;; [unrolled: 1-line block ×3, first 2 shown]
	v_add_f32_e32 v4, v4, v9
	v_add_f32_e32 v4, v4, v6
	;; [unrolled: 1-line block ×3, first 2 shown]
	v_sub_f32_e32 v8, v6, v10
	v_sub_f32_e32 v4, v4, v8
	v_add_f32_e32 v8, v7, v6
	v_sub_f32_e32 v9, v8, v7
	v_sub_f32_e32 v10, v8, v9
	;; [unrolled: 1-line block ×4, first 2 shown]
	v_add_f32_e32 v6, v6, v7
	v_add_f32_e32 v7, v5, v4
	v_sub_f32_e32 v9, v7, v5
	v_sub_f32_e32 v10, v7, v9
	;; [unrolled: 1-line block ×4, first 2 shown]
	v_add_f32_e32 v4, v4, v5
	v_add_f32_e32 v5, v7, v6
	;; [unrolled: 1-line block ×3, first 2 shown]
	v_sub_f32_e32 v7, v6, v8
	v_sub_f32_e32 v5, v5, v7
	v_add_f32_e32 v4, v4, v5
	v_add_f32_e32 v5, v6, v4
	v_sub_f32_e32 v6, v5, v6
	v_sub_f32_e32 v4, v4, v6
	v_mul_f32_e32 v6, v3, v5
	v_fma_f32 v5, v3, v5, -v6
	v_fmac_f32_e32 v5, v3, v4
	v_add_f32_e32 v4, v6, v5
	v_cmp_class_f32_e64 vcc, v6, s10
	v_sub_f32_e32 v7, v4, v6
	v_cndmask_b32_e32 v4, v4, v6, vcc
	s_mov_b32 s7, 0x42b17218
	v_mov_b32_e32 v6, 0x37000000
	v_cmp_eq_f32_e32 vcc, s7, v4
	v_cndmask_b32_e32 v6, 0, v6, vcc
	v_sub_f32_e32 v5, v5, v7
	v_sub_f32_e32 v7, v4, v6
	s_mov_b32 s11, 0x3fb8aa3b
	v_mul_f32_e32 v8, 0x3fb8aa3b, v7
	v_fma_f32 v9, v7, s11, -v8
	v_rndne_f32_e32 v10, v8
	v_fmac_f32_e32 v9, 0x32a5705f, v7
	v_sub_f32_e32 v8, v8, v10
	v_add_f32_e32 v8, v8, v9
	v_exp_f32_e32 v8, v8
	v_cvt_i32_f32_e32 v9, v10
	s_mov_b32 s6, 0x7f800000
	v_cmp_neq_f32_e64 vcc, |v4|, s6
	s_mov_b32 s6, 0xc2ce8ed0
	v_cndmask_b32_e32 v4, 0, v5, vcc
	v_ldexp_f32 v5, v8, v9
	v_cmp_ngt_f32_e32 vcc, s6, v7
	v_add_f32_e32 v4, v6, v4
	v_cndmask_b32_e32 v5, 0, v5, vcc
	v_mov_b32_e32 v6, 0x7f800000
	v_cmp_nlt_f32_e32 vcc, s7, v7
	v_cndmask_b32_e32 v5, v6, v5, vcc
	v_fma_f32 v4, v5, v4, v5
	v_cmp_class_f32_e64 vcc, v5, s10
	v_cndmask_b32_e32 v4, v4, v5, vcc
	v_trunc_f32_e32 v5, v3
	v_cmp_eq_f32_e32 vcc, v5, v3
	v_mul_f32_e32 v5, 0.5, v3
	v_trunc_f32_e32 v8, v5
	v_cmp_neq_f32_e64 s[6:7], v8, v5
	s_and_b64 s[6:7], vcc, s[6:7]
	v_cndmask_b32_e64 v5, 1.0, v2, s[6:7]
	s_brev_b32 s35, -2
	v_mov_b32_e32 v7, 0x7fc00000
	v_bfi_b32 v4, s35, v4, v5
	v_cndmask_b32_e32 v5, v7, v4, vcc
	v_cmp_gt_f32_e32 vcc, 0, v2
	v_cndmask_b32_e32 v4, v4, v5, vcc
	v_cmp_class_f32_e64 s[18:19], v2, s10
	v_cmp_eq_f32_e32 vcc, 0, v2
	v_cmp_gt_f32_e64 s[10:11], 0, v3
	s_xor_b64 s[10:11], s[10:11], vcc
	v_cndmask_b32_e64 v3, v6, 0, s[10:11]
	v_cndmask_b32_e64 v5, 0, v2, s[6:7]
	v_bfi_b32 v3, s35, v3, v5
	s_or_b64 vcc, vcc, s[18:19]
	v_cndmask_b32_e32 v3, v4, v3, vcc
	v_cmp_o_f32_e32 vcc, v2, v2
	v_cndmask_b32_e32 v26, v7, v3, vcc
.LBB65_4:
	s_load_dwordx4 s[48:51], s[4:5], 0x70
	v_lshl_add_u32 v22, s8, 2, v1
	v_mul_hi_u32 v2, s28, v22
	s_ashr_i32 s35, s34, 31
	s_ashr_i32 s6, s47, 31
	s_waitcnt lgkmcnt(0)
	s_mul_i32 s7, s33, s50
	v_add_u32_e32 v2, v22, v2
	s_ashr_i32 s10, s7, 31
	v_lshrrev_b32_e32 v2, s29, v2
	s_add_u32 s7, s12, s7
	s_mul_i32 s11, s34, s49
	v_mul_lo_u32 v2, v2, s30
	s_addc_u32 s10, s13, s10
	s_ashr_i32 s12, s11, 31
	s_add_u32 s7, s7, s11
	s_addc_u32 s12, s10, s12
	s_ashr_i32 s49, s48, 31
	v_sub_u32_e32 v29, v22, v2
	s_lshr_b64 s[10:11], s[48:49], 2
	v_mad_u64_u32 v[2:3], s[10:11], s10, v29, 0
	s_lshr_b32 s10, s49, 2
	v_lshlrev_b32_e32 v23, 7, v1
	v_mad_u64_u32 v[3:4], s[10:11], s10, v29, v[3:4]
	v_mov_b32_e32 v4, s12
	v_add_u32_e32 v28, 0x2600, v23
	v_lshlrev_b64 v[2:3], 2, v[2:3]
	v_mov_b32_e32 v20, 0
	v_add_co_u32_e32 v2, vcc, s7, v2
	v_addc_co_u32_e32 v3, vcc, v4, v3, vcc
	v_lshlrev_b32_e32 v4, 3, v0
	v_add_co_u32_e32 v2, vcc, v2, v4
	v_addc_co_u32_e32 v3, vcc, 0, v3, vcc
	global_load_dwordx2 v[2:3], v[2:3], off
	v_lshl_add_u32 v4, v0, 2, v28
	s_cmp_eq_u64 s[22:23], 0
	s_waitcnt vmcnt(0)
	v_fma_mixlo_f16 v3, s36, v3, 0
	v_fma_mixlo_f16 v2, s36, v2, 0
	v_lshlrev_b32_e32 v3, 16, v3
	v_or_b32_sdwa v2, v3, v2 dst_sel:DWORD dst_unused:UNUSED_PAD src0_sel:DWORD src1_sel:WORD_0
	ds_write_b32 v4, v2
	s_waitcnt lgkmcnt(0)
	s_barrier
	s_cbranch_scc1 .LBB65_6
; %bb.5:
	s_load_dword s7, s[4:5], 0xd0
	s_mov_b32 s11, 0
	s_waitcnt lgkmcnt(0)
	s_mul_i32 s7, s7, s33
	s_add_i32 s10, s7, s8
	s_lshl_b64 s[10:11], s[10:11], 2
	s_add_u32 s10, s22, s10
	s_addc_u32 s11, s23, s11
	s_load_dword s42, s[10:11], 0x0
.LBB65_6:
	s_nop 0
	s_load_dwordx2 s[10:11], s[4:5], 0x8c
	s_load_dwordx4 s[36:39], s[4:5], 0x98
	s_load_dwordx2 s[22:23], s[4:5], 0xa8
	s_ashr_i32 s7, s33, 31
	s_ashr_i32 s18, s45, 1
	s_waitcnt lgkmcnt(0)
	s_ashr_i32 s19, s10, 2
	s_mul_hi_u32 s10, s36, s33
	s_mul_i32 s12, s36, s7
	s_add_i32 s10, s10, s12
	s_mul_i32 s12, s37, s33
	s_ashr_i32 s8, s38, 2
	s_add_i32 s10, s10, s12
	s_mul_i32 s12, s36, s33
	s_add_u32 s12, s14, s12
	s_mul_i32 s13, s44, s43
	s_addc_u32 s10, s15, s10
	s_sub_i32 s13, s46, s13
	s_xor_b32 s6, s35, s6
	s_add_i32 s14, s44, 1
	s_sub_i32 s15, s13, s43
	s_cmp_ge_u32 s13, s43
	s_cselect_b32 s14, s14, s44
	s_cselect_b32 s13, s15, s13
	s_add_i32 s15, s14, 1
	s_cmp_ge_u32 s13, s43
	s_cselect_b32 s13, s15, s14
	s_xor_b32 s13, s13, s6
	s_sub_i32 s6, s13, s6
	s_mul_i32 s11, s6, s11
	s_ashr_i32 s13, s11, 31
	s_add_u32 s12, s12, s11
	s_addc_u32 s13, s10, s13
	s_mul_hi_u32 s10, s22, s33
	s_mul_i32 s7, s22, s7
	s_add_i32 s7, s10, s7
	s_mul_i32 s10, s23, s33
	s_add_i32 s7, s7, s10
	s_mul_i32 s10, s22, s33
	s_add_u32 s10, s16, s10
	s_mul_i32 s6, s6, s39
	s_addc_u32 s7, s17, s7
	s_ashr_i32 s11, s6, 31
	s_add_u32 s22, s10, s6
	s_addc_u32 s23, s7, s11
	s_lshl_b32 s28, s9, 6
	s_sub_i32 s14, s42, 64
	s_cmp_ge_i32 s28, s14
	v_lshrrev_b32_e32 v30, 3, v0
	v_lshlrev_b32_e32 v24, 2, v0
	v_mbcnt_lo_u32_b32 v27, -1, 0
	s_cbranch_scc1 .LBB65_15
; %bb.7:
	v_lshl_add_u32 v2, v1, 2, v30
	v_mul_lo_u32 v5, s19, v2
	v_and_b32_e32 v21, 28, v24
	v_lshlrev_b32_e32 v14, 2, v21
	s_movk_i32 s6, 0x90
	v_mad_u32_u24 v31, v2, s6, v14
	s_lshl_b32 s6, s19, 4
	v_mul_lo_u32 v13, s8, v2
	v_add_u32_e32 v7, s6, v5
	v_add_u32_e32 v9, s6, v7
	s_cmp_lg_u64 s[40:41], 0
	v_mad_u64_u32 v[3:4], s[10:11], v29, s18, v[0:1]
	v_add_u32_e32 v11, s6, v9
	s_cselect_b64 s[6:7], -1, 0
	s_lshl_b32 s10, s8, 4
	v_add_u32_e32 v15, s10, v13
	v_add_u32_e32 v17, s10, v15
	;; [unrolled: 1-line block ×3, first 2 shown]
	v_ashrrev_i32_e32 v6, 31, v5
	v_ashrrev_i32_e32 v8, 31, v7
	;; [unrolled: 1-line block ×4, first 2 shown]
	v_lshl_or_b32 v38, v2, 7, v14
	v_ashrrev_i32_e32 v14, 31, v13
	v_ashrrev_i32_e32 v16, 31, v15
	;; [unrolled: 1-line block ×4, first 2 shown]
	v_add_u32_e32 v36, 0x2400, v23
	s_add_u32 s10, s4, 0xd0
	v_lshlrev_b64 v[4:5], 2, v[5:6]
	v_lshlrev_b64 v[6:7], 2, v[7:8]
	;; [unrolled: 1-line block ×4, first 2 shown]
	v_cndmask_b32_e64 v2, 0, 1, s[6:7]
	v_lshlrev_b64 v[12:13], 2, v[13:14]
	v_lshlrev_b64 v[14:15], 2, v[15:16]
	;; [unrolled: 1-line block ×4, first 2 shown]
	v_mov_b32_e32 v25, 0
	v_add_u32_e32 v32, 0x900, v31
	v_add_u32_e32 v33, 0x1200, v31
	;; [unrolled: 1-line block ×3, first 2 shown]
	v_mul_u32_u24_e32 v35, 0x90, v0
	v_lshl_add_u32 v37, v0, 1, v36
	v_add_u32_e32 v39, 0x800, v38
	v_add_u32_e32 v40, 0x1000, v38
	;; [unrolled: 1-line block ×3, first 2 shown]
	s_addc_u32 s11, s5, 0
	v_mov_b32_e32 v46, 0xfeffffff
	v_lshlrev_b32_e32 v42, 2, v21
	s_mov_b32 s15, 0x3fb8aa3b
	s_mov_b32 s16, 0xc2ce8ed0
	;; [unrolled: 1-line block ×4, first 2 shown]
	v_cmp_ne_u32_e64 s[6:7], 1, v2
	v_mbcnt_hi_u32_b32 v43, -1, v27
	v_mov_b32_e32 v44, 0x7f800000
	v_mov_b32_e32 v45, 0
.LBB65_8:                               ; =>This Inner Loop Header: Depth=1
	s_mul_hi_i32 s37, s28, s19
	s_mul_i32 s36, s28, s19
	s_lshl_b64 s[36:37], s[36:37], 2
	s_add_u32 s36, s12, s36
	s_addc_u32 s37, s13, s37
	v_mov_b32_e32 v2, s37
	v_add_co_u32_e32 v20, vcc, s36, v4
	v_addc_co_u32_e32 v2, vcc, v2, v5, vcc
	v_add_co_u32_e32 v20, vcc, v20, v42
	v_addc_co_u32_e32 v21, vcc, 0, v2, vcc
	v_mov_b32_e32 v2, s37
	v_add_co_u32_e32 v47, vcc, s36, v6
	v_addc_co_u32_e32 v2, vcc, v2, v7, vcc
	v_add_co_u32_e32 v51, vcc, v47, v42
	v_addc_co_u32_e32 v52, vcc, 0, v2, vcc
	global_load_dwordx4 v[47:50], v[20:21], off
	s_nop 0
	global_load_dwordx4 v[51:54], v[51:52], off
	v_mov_b32_e32 v2, s37
	v_add_co_u32_e32 v20, vcc, s36, v8
	v_addc_co_u32_e32 v2, vcc, v2, v9, vcc
	v_add_co_u32_e32 v20, vcc, v20, v42
	v_addc_co_u32_e32 v21, vcc, 0, v2, vcc
	v_mov_b32_e32 v2, s37
	v_add_co_u32_e32 v55, vcc, s36, v10
	v_addc_co_u32_e32 v2, vcc, v2, v11, vcc
	v_add_co_u32_e32 v59, vcc, v55, v42
	v_addc_co_u32_e32 v60, vcc, 0, v2, vcc
	global_load_dwordx4 v[55:58], v[20:21], off
	s_nop 0
	global_load_dwordx4 v[59:62], v[59:60], off
	v_mov_b32_e32 v2, 0
	v_add_u32_e32 v20, s28, v3
	v_ashrrev_i32_e32 v21, 31, v20
	s_and_b64 vcc, exec, s[6:7]
	s_waitcnt vmcnt(3)
	ds_write_b128 v31, v[47:50]
	s_waitcnt vmcnt(2)
	ds_write_b128 v32, v[51:54]
	;; [unrolled: 2-line block ×4, first 2 shown]
	s_waitcnt lgkmcnt(0)
	s_barrier
	ds_read_b128 v[48:51], v35
	ds_read_b128 v[52:55], v28
	v_mov_b32_e32 v47, 0
	ds_read_b128 v[56:59], v35 offset:4608
	s_waitcnt lgkmcnt(1)
	;;#ASMSTART
	v_dot2_f32_f16 v47, v48, v52, v47
	;;#ASMEND
	;;#ASMSTART
	v_dot2_f32_f16 v47, v49, v53, v47
	;;#ASMEND
	;;#ASMSTART
	v_dot2_f32_f16 v47, v50, v54, v47
	;;#ASMEND
	;;#ASMSTART
	v_dot2_f32_f16 v47, v51, v55, v47
	;;#ASMEND
	s_waitcnt lgkmcnt(0)
	;;#ASMSTART
	v_dot2_f32_f16 v2, v56, v52, v2
	;;#ASMEND
	;;#ASMSTART
	v_dot2_f32_f16 v2, v57, v53, v2
	;;#ASMEND
	;;#ASMSTART
	v_dot2_f32_f16 v2, v58, v54, v2
	;;#ASMEND
	;;#ASMSTART
	v_dot2_f32_f16 v2, v59, v55, v2
	;;#ASMEND
	ds_read_b128 v[48:51], v35 offset:16
	ds_read_b128 v[52:55], v28 offset:16
	ds_read_b128 v[56:59], v35 offset:4624
	s_waitcnt lgkmcnt(1)
	;;#ASMSTART
	v_dot2_f32_f16 v47, v48, v52, v47
	;;#ASMEND
	;;#ASMSTART
	v_dot2_f32_f16 v47, v49, v53, v47
	;;#ASMEND
	;;#ASMSTART
	v_dot2_f32_f16 v47, v50, v54, v47
	;;#ASMEND
	;;#ASMSTART
	v_dot2_f32_f16 v47, v51, v55, v47
	;;#ASMEND
	s_waitcnt lgkmcnt(0)
	;;#ASMSTART
	v_dot2_f32_f16 v2, v56, v52, v2
	;;#ASMEND
	;;#ASMSTART
	v_dot2_f32_f16 v2, v57, v53, v2
	;;#ASMEND
	;;#ASMSTART
	v_dot2_f32_f16 v2, v58, v54, v2
	;;#ASMEND
	;;#ASMSTART
	v_dot2_f32_f16 v2, v59, v55, v2
	;;#ASMEND
	ds_read_b128 v[48:51], v35 offset:32
	ds_read_b128 v[52:55], v28 offset:32
	;; [unrolled: 29-line block ×7, first 2 shown]
	ds_read_b128 v[56:59], v35 offset:4720
	s_waitcnt lgkmcnt(1)
	;;#ASMSTART
	v_dot2_f32_f16 v47, v48, v52, v47
	;;#ASMEND
	;;#ASMSTART
	v_dot2_f32_f16 v47, v49, v53, v47
	;;#ASMEND
	;; [unrolled: 3-line block ×4, first 2 shown]
	s_waitcnt lgkmcnt(0)
	;;#ASMSTART
	v_dot2_f32_f16 v2, v56, v52, v2
	;;#ASMEND
	;;#ASMSTART
	v_dot2_f32_f16 v2, v57, v53, v2
	;;#ASMEND
	;; [unrolled: 3-line block ×3, first 2 shown]
	v_mov_b32_e32 v48, 0
	;;#ASMSTART
	v_dot2_f32_f16 v2, v59, v55, v2
	;;#ASMEND
	s_cbranch_vccnz .LBB65_10
; %bb.9:                                ;   in Loop: Header=BB65_8 Depth=1
	v_lshlrev_b64 v[48:49], 1, v[20:21]
	v_mov_b32_e32 v50, s41
	v_add_co_u32_e32 v48, vcc, s40, v48
	v_addc_co_u32_e32 v49, vcc, v50, v49, vcc
	global_load_ushort v48, v[48:49], off
	s_waitcnt vmcnt(0)
	v_cvt_f32_f16_e32 v48, v48
	v_mul_f32_e32 v48, v26, v48
.LBB65_10:                              ;   in Loop: Header=BB65_8 Depth=1
	s_and_b64 vcc, exec, s[6:7]
	s_cbranch_vccnz .LBB65_12
; %bb.11:                               ;   in Loop: Header=BB65_8 Depth=1
	v_lshlrev_b64 v[20:21], 1, v[20:21]
	v_mov_b32_e32 v49, s41
	v_add_co_u32_e32 v20, vcc, s40, v20
	v_addc_co_u32_e32 v21, vcc, v49, v21, vcc
	global_load_ushort v20, v[20:21], off offset:64
	s_waitcnt vmcnt(0)
	v_cvt_f32_f16_e32 v20, v20
	v_mul_f32_e32 v21, v26, v20
	s_branch .LBB65_13
.LBB65_12:                              ;   in Loop: Header=BB65_8 Depth=1
	v_mov_b32_e32 v21, 0
.LBB65_13:                              ;   in Loop: Header=BB65_8 Depth=1
	v_add_f32_e32 v20, v47, v48
	v_and_b32_e32 v48, 0x60, v43
	v_add_u32_e32 v63, 32, v48
	v_xor_b32_e32 v48, 4, v43
	v_cmp_lt_i32_e32 vcc, v48, v63
	v_cndmask_b32_e32 v64, v43, v48, vcc
	v_xor_b32_e32 v48, 16, v43
	v_cmp_lt_i32_e32 vcc, v48, v63
	v_add_f32_e32 v21, v2, v21
	v_add_f32_e32 v47, 0x40051340, v20
	v_cndmask_b32_e32 v48, v43, v48, vcc
	v_add_f32_e32 v2, 0x40051340, v21
	v_max3_f32 v2, v46, v47, v2
	v_lshlrev_b32_e32 v47, 2, v48
	ds_bpermute_b32 v47, v47, v2
	v_xor_b32_e32 v48, 8, v43
	s_mul_hi_i32 s37, s28, s8
	s_mul_i32 s36, s28, s8
	v_cmp_lt_i32_e32 vcc, v48, v63
	s_lshl_b64 s[36:37], s[36:37], 2
	v_cndmask_b32_e32 v48, v43, v48, vcc
	s_waitcnt lgkmcnt(0)
	v_max_f32_e32 v47, v47, v47
	s_add_u32 s36, s22, s36
	v_lshlrev_b32_e32 v48, 2, v48
	v_max_f32_e32 v2, v2, v47
	s_addc_u32 s37, s23, s37
	ds_bpermute_b32 v65, v48, v2
	v_mov_b32_e32 v47, s37
	v_add_co_u32_e32 v48, vcc, s36, v12
	v_addc_co_u32_e32 v49, vcc, v47, v13, vcc
	v_add_co_u32_e32 v47, vcc, v48, v42
	v_addc_co_u32_e32 v48, vcc, 0, v49, vcc
	v_mov_b32_e32 v49, s37
	v_add_co_u32_e32 v50, vcc, s36, v14
	v_addc_co_u32_e32 v49, vcc, v49, v15, vcc
	v_add_co_u32_e32 v51, vcc, v50, v42
	v_addc_co_u32_e32 v52, vcc, 0, v49, vcc
	;; [unrolled: 5-line block ×4, first 2 shown]
	s_waitcnt lgkmcnt(0)
	s_barrier
	global_load_dwordx4 v[47:50], v[47:48], off
	s_nop 0
	global_load_dwordx4 v[51:54], v[51:52], off
	s_nop 0
	;; [unrolled: 2-line block ×3, first 2 shown]
	global_load_dwordx4 v[59:62], v[59:60], off
	v_max_f32_e32 v65, v65, v65
	v_lshlrev_b32_e32 v64, 2, v64
	v_max_f32_e32 v2, v2, v65
	ds_bpermute_b32 v64, v64, v2
	v_xor_b32_e32 v65, 2, v43
	v_cmp_lt_i32_e32 vcc, v65, v63
	v_cndmask_b32_e32 v65, v43, v65, vcc
	v_lshlrev_b32_e32 v65, 2, v65
	s_waitcnt lgkmcnt(0)
	v_max_f32_e32 v64, v64, v64
	v_max_f32_e32 v2, v2, v64
	ds_bpermute_b32 v64, v65, v2
	v_xor_b32_e32 v65, 1, v43
	v_cmp_lt_i32_e32 vcc, v65, v63
	v_cndmask_b32_e32 v63, v43, v65, vcc
	v_lshlrev_b32_e32 v63, 2, v63
	s_waitcnt lgkmcnt(0)
	v_max_f32_e32 v64, v64, v64
	v_max_f32_e32 v2, v2, v64
	ds_bpermute_b32 v63, v63, v2
	s_waitcnt lgkmcnt(0)
	v_max_f32_e32 v63, v63, v63
	v_max_f32_e32 v2, v2, v63
	v_sub_f32_e32 v20, v20, v2
	v_mul_f32_e32 v63, 0x3fb8aa3b, v20
	v_fma_f32 v64, v20, s15, -v63
	v_rndne_f32_e32 v65, v63
	v_fmac_f32_e32 v64, 0x32a5705f, v20
	v_sub_f32_e32 v63, v63, v65
	v_add_f32_e32 v63, v63, v64
	v_exp_f32_e32 v63, v63
	v_cvt_i32_f32_e32 v64, v65
	v_sub_f32_e32 v21, v21, v2
	v_sub_f32_e32 v46, v46, v2
	v_cmp_ngt_f32_e32 vcc, s16, v20
	v_ldexp_f32 v63, v63, v64
	v_mul_f32_e32 v64, 0x3fb8aa3b, v21
	v_fma_f32 v65, v21, s15, -v64
	v_rndne_f32_e32 v66, v64
	v_fmac_f32_e32 v65, 0x32a5705f, v21
	v_sub_f32_e32 v64, v64, v66
	v_add_f32_e32 v64, v64, v65
	v_exp_f32_e32 v64, v64
	v_cvt_i32_f32_e32 v65, v66
	v_cndmask_b32_e32 v63, 0, v63, vcc
	v_cmp_nlt_f32_e32 vcc, s17, v20
	v_cndmask_b32_e32 v20, v44, v63, vcc
	v_ldexp_f32 v64, v64, v65
	v_mul_f32_e32 v65, 0x3fb8aa3b, v46
	v_fma_f32 v66, v46, s15, -v65
	v_rndne_f32_e32 v67, v65
	v_fmac_f32_e32 v66, 0x32a5705f, v46
	v_sub_f32_e32 v65, v65, v67
	v_add_f32_e32 v65, v65, v66
	v_exp_f32_e32 v65, v65
	v_cvt_i32_f32_e32 v66, v67
	v_cmp_ngt_f32_e32 vcc, s16, v21
	v_cndmask_b32_e32 v64, 0, v64, vcc
	v_cmp_nlt_f32_e32 vcc, s17, v21
	v_cndmask_b32_e32 v21, v44, v64, vcc
	v_ldexp_f32 v64, v65, v66
	v_cmp_ngt_f32_e32 vcc, s16, v46
	v_cndmask_b32_e32 v64, 0, v64, vcc
	v_cmp_nlt_f32_e32 vcc, s17, v46
	v_cvt_f16_f32_e32 v63, v20
	v_cndmask_b32_e32 v46, v44, v64, vcc
	v_cvt_f16_f32_e32 v64, v46
	v_add_f32_e32 v20, v20, v21
	v_cvt_f16_f32_e32 v21, v21
	v_fmac_f32_e32 v20, v45, v46
	ds_write_b16 v37, v63
	ds_write_b16 v37, v21 offset:64
	s_waitcnt vmcnt(3)
	ds_write_b128 v38, v[47:50]
	s_waitcnt vmcnt(2)
	ds_write_b128 v39, v[51:54]
	;; [unrolled: 2-line block ×4, first 2 shown]
	s_waitcnt lgkmcnt(0)
	s_barrier
	ds_read_b128 v[45:48], v36
	ds_read2_b32 v[61:62], v24 offset1:32
	ds_read_b128 v[49:52], v36 offset:16
	ds_read_b128 v[53:56], v36 offset:32
	;; [unrolled: 1-line block ×3, first 2 shown]
	v_mul_u32_u24_e32 v65, 0x10001, v64
	s_waitcnt lgkmcnt(4)
	v_mul_u32_u24_sdwa v21, v45, s29 dst_sel:DWORD dst_unused:UNUSED_PAD src0_sel:WORD_0 src1_sel:DWORD
	ds_read2_b32 v[63:64], v24 offset0:64 offset1:96
	s_waitcnt lgkmcnt(4)
	v_pk_mul_f16 v21, v61, v21
	v_pk_fma_f16 v21, v25, v65, v21
	v_mul_u32_u24_sdwa v25, v45, s29 dst_sel:DWORD dst_unused:UNUSED_PAD src0_sel:WORD_1 src1_sel:DWORD
	v_pk_fma_f16 v21, v62, v25, v21
	ds_read2_b32 v[61:62], v24 offset0:128 offset1:160
	v_mul_u32_u24_sdwa v25, v46, s29 dst_sel:DWORD dst_unused:UNUSED_PAD src0_sel:WORD_0 src1_sel:DWORD
	s_waitcnt lgkmcnt(1)
	v_pk_fma_f16 v21, v63, v25, v21
	v_mul_u32_u24_sdwa v25, v46, s29 dst_sel:DWORD dst_unused:UNUSED_PAD src0_sel:WORD_1 src1_sel:DWORD
	ds_read2_b32 v[45:46], v24 offset0:192 offset1:224
	v_pk_fma_f16 v21, v64, v25, v21
	v_mul_u32_u24_sdwa v25, v47, s29 dst_sel:DWORD dst_unused:UNUSED_PAD src0_sel:WORD_0 src1_sel:DWORD
	s_waitcnt lgkmcnt(1)
	v_pk_fma_f16 v21, v61, v25, v21
	v_mul_u32_u24_sdwa v25, v47, s29 dst_sel:DWORD dst_unused:UNUSED_PAD src0_sel:WORD_1 src1_sel:DWORD
	v_pk_fma_f16 v21, v62, v25, v21
	v_mul_u32_u24_sdwa v25, v48, s29 dst_sel:DWORD dst_unused:UNUSED_PAD src0_sel:WORD_0 src1_sel:DWORD
	s_waitcnt lgkmcnt(0)
	v_pk_fma_f16 v21, v45, v25, v21
	v_add_u32_e32 v25, 0x400, v24
	ds_read2_b32 v[61:62], v25 offset1:32
	v_mul_u32_u24_sdwa v45, v48, s29 dst_sel:DWORD dst_unused:UNUSED_PAD src0_sel:WORD_1 src1_sel:DWORD
	v_pk_fma_f16 v21, v46, v45, v21
	ds_read2_b32 v[45:46], v25 offset0:64 offset1:96
	v_mul_u32_u24_sdwa v47, v49, s29 dst_sel:DWORD dst_unused:UNUSED_PAD src0_sel:WORD_0 src1_sel:DWORD
	s_waitcnt lgkmcnt(1)
	v_pk_fma_f16 v21, v61, v47, v21
	v_mul_u32_u24_sdwa v47, v49, s29 dst_sel:DWORD dst_unused:UNUSED_PAD src0_sel:WORD_1 src1_sel:DWORD
	v_pk_fma_f16 v21, v62, v47, v21
	v_mul_u32_u24_sdwa v47, v50, s29 dst_sel:DWORD dst_unused:UNUSED_PAD src0_sel:WORD_0 src1_sel:DWORD
	s_waitcnt lgkmcnt(0)
	v_pk_fma_f16 v21, v45, v47, v21
	ds_read2_b32 v[47:48], v25 offset0:128 offset1:160
	v_mul_u32_u24_sdwa v45, v50, s29 dst_sel:DWORD dst_unused:UNUSED_PAD src0_sel:WORD_1 src1_sel:DWORD
	v_pk_fma_f16 v21, v46, v45, v21
	ds_read2_b32 v[45:46], v25 offset0:192 offset1:224
	v_mul_u32_u24_sdwa v49, v51, s29 dst_sel:DWORD dst_unused:UNUSED_PAD src0_sel:WORD_0 src1_sel:DWORD
	s_waitcnt lgkmcnt(1)
	v_pk_fma_f16 v21, v47, v49, v21
	v_mul_u32_u24_sdwa v25, v51, s29 dst_sel:DWORD dst_unused:UNUSED_PAD src0_sel:WORD_1 src1_sel:DWORD
	v_pk_fma_f16 v21, v48, v25, v21
	v_mul_u32_u24_sdwa v25, v52, s29 dst_sel:DWORD dst_unused:UNUSED_PAD src0_sel:WORD_0 src1_sel:DWORD
	s_waitcnt lgkmcnt(0)
	v_pk_fma_f16 v21, v45, v25, v21
	v_add_u32_e32 v25, 0x800, v24
	ds_read2_b32 v[47:48], v25 offset1:32
	v_mul_u32_u24_sdwa v45, v52, s29 dst_sel:DWORD dst_unused:UNUSED_PAD src0_sel:WORD_1 src1_sel:DWORD
	v_pk_fma_f16 v21, v46, v45, v21
	ds_read2_b32 v[45:46], v25 offset0:64 offset1:96
	v_mul_u32_u24_sdwa v49, v53, s29 dst_sel:DWORD dst_unused:UNUSED_PAD src0_sel:WORD_0 src1_sel:DWORD
	s_waitcnt lgkmcnt(1)
	v_pk_fma_f16 v21, v47, v49, v21
	v_mul_u32_u24_sdwa v47, v53, s29 dst_sel:DWORD dst_unused:UNUSED_PAD src0_sel:WORD_1 src1_sel:DWORD
	v_pk_fma_f16 v21, v48, v47, v21
	v_mul_u32_u24_sdwa v47, v54, s29 dst_sel:DWORD dst_unused:UNUSED_PAD src0_sel:WORD_0 src1_sel:DWORD
	s_waitcnt lgkmcnt(0)
	v_pk_fma_f16 v21, v45, v47, v21
	ds_read2_b32 v[47:48], v25 offset0:128 offset1:160
	v_mul_u32_u24_sdwa v45, v54, s29 dst_sel:DWORD dst_unused:UNUSED_PAD src0_sel:WORD_1 src1_sel:DWORD
	v_pk_fma_f16 v21, v46, v45, v21
	ds_read2_b32 v[45:46], v25 offset0:192 offset1:224
	v_mul_u32_u24_sdwa v49, v55, s29 dst_sel:DWORD dst_unused:UNUSED_PAD src0_sel:WORD_0 src1_sel:DWORD
	s_waitcnt lgkmcnt(1)
	v_pk_fma_f16 v21, v47, v49, v21
	v_mul_u32_u24_sdwa v25, v55, s29 dst_sel:DWORD dst_unused:UNUSED_PAD src0_sel:WORD_1 src1_sel:DWORD
	v_pk_fma_f16 v21, v48, v25, v21
	v_mul_u32_u24_sdwa v25, v56, s29 dst_sel:DWORD dst_unused:UNUSED_PAD src0_sel:WORD_0 src1_sel:DWORD
	s_waitcnt lgkmcnt(0)
	v_pk_fma_f16 v21, v45, v25, v21
	v_add_u32_e32 v25, 0xc00, v24
	ds_read2_b32 v[47:48], v25 offset1:32
	v_mul_u32_u24_sdwa v45, v56, s29 dst_sel:DWORD dst_unused:UNUSED_PAD src0_sel:WORD_1 src1_sel:DWORD
	v_pk_fma_f16 v21, v46, v45, v21
	ds_read2_b32 v[45:46], v25 offset0:64 offset1:96
	v_mul_u32_u24_sdwa v49, v57, s29 dst_sel:DWORD dst_unused:UNUSED_PAD src0_sel:WORD_0 src1_sel:DWORD
	s_waitcnt lgkmcnt(1)
	v_pk_fma_f16 v21, v47, v49, v21
	v_mul_u32_u24_sdwa v47, v57, s29 dst_sel:DWORD dst_unused:UNUSED_PAD src0_sel:WORD_1 src1_sel:DWORD
	v_pk_fma_f16 v21, v48, v47, v21
	v_mul_u32_u24_sdwa v47, v58, s29 dst_sel:DWORD dst_unused:UNUSED_PAD src0_sel:WORD_0 src1_sel:DWORD
	s_waitcnt lgkmcnt(0)
	v_pk_fma_f16 v21, v45, v47, v21
	ds_read2_b32 v[47:48], v25 offset0:128 offset1:160
	v_mul_u32_u24_sdwa v45, v58, s29 dst_sel:DWORD dst_unused:UNUSED_PAD src0_sel:WORD_1 src1_sel:DWORD
	v_pk_fma_f16 v21, v46, v45, v21
	v_mul_u32_u24_sdwa v45, v59, s29 dst_sel:DWORD dst_unused:UNUSED_PAD src0_sel:WORD_0 src1_sel:DWORD
	ds_read2_b32 v[49:50], v25 offset0:192 offset1:224
	s_waitcnt lgkmcnt(1)
	v_pk_fma_f16 v21, v47, v45, v21
	v_mul_u32_u24_sdwa v25, v59, s29 dst_sel:DWORD dst_unused:UNUSED_PAD src0_sel:WORD_1 src1_sel:DWORD
	v_pk_fma_f16 v21, v48, v25, v21
	ds_read_b128 v[45:48], v36 offset:64
	v_add_u32_e32 v57, 0x1000, v24
	ds_read2_b32 v[53:54], v57 offset1:32
	v_mul_u32_u24_sdwa v25, v60, s29 dst_sel:DWORD dst_unused:UNUSED_PAD src0_sel:WORD_0 src1_sel:DWORD
	s_waitcnt lgkmcnt(2)
	v_pk_fma_f16 v21, v49, v25, v21
	v_mul_u32_u24_sdwa v25, v60, s29 dst_sel:DWORD dst_unused:UNUSED_PAD src0_sel:WORD_1 src1_sel:DWORD
	ds_read2_b32 v[55:56], v57 offset0:64 offset1:96
	v_pk_fma_f16 v21, v50, v25, v21
	ds_read_b128 v[49:52], v36 offset:80
	s_waitcnt lgkmcnt(3)
	v_mul_u32_u24_sdwa v25, v45, s29 dst_sel:DWORD dst_unused:UNUSED_PAD src0_sel:WORD_0 src1_sel:DWORD
	s_waitcnt lgkmcnt(2)
	v_pk_fma_f16 v21, v53, v25, v21
	v_mul_u32_u24_sdwa v25, v45, s29 dst_sel:DWORD dst_unused:UNUSED_PAD src0_sel:WORD_1 src1_sel:DWORD
	v_pk_fma_f16 v21, v54, v25, v21
	ds_read2_b32 v[53:54], v57 offset0:128 offset1:160
	v_mul_u32_u24_sdwa v25, v46, s29 dst_sel:DWORD dst_unused:UNUSED_PAD src0_sel:WORD_0 src1_sel:DWORD
	s_waitcnt lgkmcnt(2)
	v_pk_fma_f16 v21, v55, v25, v21
	v_mul_u32_u24_sdwa v25, v46, s29 dst_sel:DWORD dst_unused:UNUSED_PAD src0_sel:WORD_1 src1_sel:DWORD
	ds_read2_b32 v[45:46], v57 offset0:192 offset1:224
	v_pk_fma_f16 v21, v56, v25, v21
	v_mul_u32_u24_sdwa v25, v47, s29 dst_sel:DWORD dst_unused:UNUSED_PAD src0_sel:WORD_0 src1_sel:DWORD
	s_waitcnt lgkmcnt(1)
	v_pk_fma_f16 v21, v53, v25, v21
	v_mul_u32_u24_sdwa v25, v47, s29 dst_sel:DWORD dst_unused:UNUSED_PAD src0_sel:WORD_1 src1_sel:DWORD
	v_pk_fma_f16 v21, v54, v25, v21
	v_mul_u32_u24_sdwa v25, v48, s29 dst_sel:DWORD dst_unused:UNUSED_PAD src0_sel:WORD_0 src1_sel:DWORD
	s_waitcnt lgkmcnt(0)
	v_pk_fma_f16 v21, v45, v25, v21
	v_add_u32_e32 v25, 0x1400, v24
	ds_read2_b32 v[53:54], v25 offset1:32
	v_mul_u32_u24_sdwa v45, v48, s29 dst_sel:DWORD dst_unused:UNUSED_PAD src0_sel:WORD_1 src1_sel:DWORD
	v_pk_fma_f16 v21, v46, v45, v21
	ds_read2_b32 v[45:46], v25 offset0:64 offset1:96
	v_mul_u32_u24_sdwa v47, v49, s29 dst_sel:DWORD dst_unused:UNUSED_PAD src0_sel:WORD_0 src1_sel:DWORD
	s_waitcnt lgkmcnt(1)
	v_pk_fma_f16 v21, v53, v47, v21
	v_mul_u32_u24_sdwa v47, v49, s29 dst_sel:DWORD dst_unused:UNUSED_PAD src0_sel:WORD_1 src1_sel:DWORD
	v_pk_fma_f16 v21, v54, v47, v21
	v_mul_u32_u24_sdwa v47, v50, s29 dst_sel:DWORD dst_unused:UNUSED_PAD src0_sel:WORD_0 src1_sel:DWORD
	s_waitcnt lgkmcnt(0)
	v_pk_fma_f16 v21, v45, v47, v21
	ds_read2_b32 v[47:48], v25 offset0:128 offset1:160
	v_mul_u32_u24_sdwa v45, v50, s29 dst_sel:DWORD dst_unused:UNUSED_PAD src0_sel:WORD_1 src1_sel:DWORD
	ds_read2_b32 v[49:50], v25 offset0:192 offset1:224
	v_pk_fma_f16 v21, v46, v45, v21
	v_mul_u32_u24_sdwa v45, v51, s29 dst_sel:DWORD dst_unused:UNUSED_PAD src0_sel:WORD_0 src1_sel:DWORD
	s_waitcnt lgkmcnt(1)
	v_pk_fma_f16 v21, v47, v45, v21
	v_mul_u32_u24_sdwa v25, v51, s29 dst_sel:DWORD dst_unused:UNUSED_PAD src0_sel:WORD_1 src1_sel:DWORD
	v_pk_fma_f16 v21, v48, v25, v21
	v_mul_u32_u24_sdwa v25, v52, s29 dst_sel:DWORD dst_unused:UNUSED_PAD src0_sel:WORD_0 src1_sel:DWORD
	s_waitcnt lgkmcnt(0)
	v_pk_fma_f16 v21, v49, v25, v21
	v_add_u32_e32 v25, 0x1800, v24
	ds_read_b128 v[45:48], v36 offset:96
	ds_read2_b32 v[53:54], v25 offset1:32
	v_mul_u32_u24_sdwa v49, v52, s29 dst_sel:DWORD dst_unused:UNUSED_PAD src0_sel:WORD_1 src1_sel:DWORD
	v_pk_fma_f16 v21, v50, v49, v21
	ds_read_b128 v[49:52], v36 offset:112
	s_waitcnt lgkmcnt(2)
	v_mul_u32_u24_sdwa v55, v45, s29 dst_sel:DWORD dst_unused:UNUSED_PAD src0_sel:WORD_0 src1_sel:DWORD
	s_waitcnt lgkmcnt(1)
	v_pk_fma_f16 v21, v53, v55, v21
	ds_read2_b32 v[55:56], v25 offset0:64 offset1:96
	v_mul_u32_u24_sdwa v45, v45, s29 dst_sel:DWORD dst_unused:UNUSED_PAD src0_sel:WORD_1 src1_sel:DWORD
	v_pk_fma_f16 v21, v54, v45, v21
	ds_read2_b32 v[53:54], v25 offset0:128 offset1:160
	v_mul_u32_u24_sdwa v45, v46, s29 dst_sel:DWORD dst_unused:UNUSED_PAD src0_sel:WORD_0 src1_sel:DWORD
	s_waitcnt lgkmcnt(1)
	v_pk_fma_f16 v21, v55, v45, v21
	v_mul_u32_u24_sdwa v45, v46, s29 dst_sel:DWORD dst_unused:UNUSED_PAD src0_sel:WORD_1 src1_sel:DWORD
	v_pk_fma_f16 v21, v56, v45, v21
	v_mul_u32_u24_sdwa v45, v47, s29 dst_sel:DWORD dst_unused:UNUSED_PAD src0_sel:WORD_0 src1_sel:DWORD
	s_waitcnt lgkmcnt(0)
	v_pk_fma_f16 v21, v53, v45, v21
	ds_read2_b32 v[45:46], v25 offset0:192 offset1:224
	v_mul_u32_u24_sdwa v47, v47, s29 dst_sel:DWORD dst_unused:UNUSED_PAD src0_sel:WORD_1 src1_sel:DWORD
	v_add_u32_e32 v55, 0x1c00, v24
	v_pk_fma_f16 v21, v54, v47, v21
	v_mul_u32_u24_sdwa v25, v48, s29 dst_sel:DWORD dst_unused:UNUSED_PAD src0_sel:WORD_0 src1_sel:DWORD
	ds_read2_b32 v[53:54], v55 offset1:32
	s_waitcnt lgkmcnt(1)
	v_pk_fma_f16 v21, v45, v25, v21
	v_mul_u32_u24_sdwa v25, v48, s29 dst_sel:DWORD dst_unused:UNUSED_PAD src0_sel:WORD_1 src1_sel:DWORD
	v_pk_fma_f16 v21, v46, v25, v21
	ds_read2_b32 v[45:46], v55 offset0:64 offset1:96
	v_mul_u32_u24_sdwa v25, v49, s29 dst_sel:DWORD dst_unused:UNUSED_PAD src0_sel:WORD_0 src1_sel:DWORD
	s_waitcnt lgkmcnt(1)
	v_pk_fma_f16 v21, v53, v25, v21
	v_mul_u32_u24_sdwa v25, v49, s29 dst_sel:DWORD dst_unused:UNUSED_PAD src0_sel:WORD_1 src1_sel:DWORD
	v_pk_fma_f16 v21, v54, v25, v21
	v_mul_u32_u24_sdwa v25, v50, s29 dst_sel:DWORD dst_unused:UNUSED_PAD src0_sel:WORD_0 src1_sel:DWORD
	ds_read2_b32 v[47:48], v55 offset0:128 offset1:160
	s_waitcnt lgkmcnt(1)
	v_pk_fma_f16 v21, v45, v25, v21
	v_mul_u32_u24_sdwa v25, v50, s29 dst_sel:DWORD dst_unused:UNUSED_PAD src0_sel:WORD_1 src1_sel:DWORD
	v_pk_fma_f16 v21, v46, v25, v21
	ds_read2_b32 v[45:46], v55 offset0:192 offset1:224
	s_waitcnt lgkmcnt(0)
	s_barrier
	s_load_dword s36, s[10:11], 0x4
	v_mul_u32_u24_sdwa v25, v51, s29 dst_sel:DWORD dst_unused:UNUSED_PAD src0_sel:WORD_0 src1_sel:DWORD
	v_pk_fma_f16 v21, v47, v25, v21
	v_mul_u32_u24_sdwa v25, v51, s29 dst_sel:DWORD dst_unused:UNUSED_PAD src0_sel:WORD_1 src1_sel:DWORD
	v_pk_fma_f16 v21, v48, v25, v21
	v_mul_u32_u24_sdwa v25, v52, s29 dst_sel:DWORD dst_unused:UNUSED_PAD src0_sel:WORD_0 src1_sel:DWORD
	s_waitcnt lgkmcnt(0)
	s_lshl_b32 s36, s36, 6
	v_pk_fma_f16 v21, v45, v25, v21
	v_mul_u32_u24_sdwa v25, v52, s29 dst_sel:DWORD dst_unused:UNUSED_PAD src0_sel:WORD_1 src1_sel:DWORD
	s_add_i32 s28, s36, s28
	s_cmp_lt_i32 s28, s14
	v_pk_fma_f16 v25, v46, v25, v21
	s_cbranch_scc0 .LBB65_16
; %bb.14:                               ;   in Loop: Header=BB65_8 Depth=1
	v_mov_b32_e32 v46, v2
	v_mov_b32_e32 v45, v20
	s_branch .LBB65_8
.LBB65_15:
	v_mov_b32_e32 v2, 0xfeffffff
	v_mov_b32_e32 v25, 0
.LBB65_16:
	v_lshlrev_b32_e32 v4, 1, v0
	s_cmp_gt_i32 s42, s28
	s_cbranch_scc1 .LBB65_18
; %bb.17:
	v_mbcnt_hi_u32_b32 v3, -1, v27
	v_and_b32_e32 v5, 0x60, v3
	v_add_u32_e32 v5, 32, v5
	v_xor_b32_e32 v10, 16, v3
	v_xor_b32_e32 v9, 8, v3
	;; [unrolled: 1-line block ×5, first 2 shown]
	s_cbranch_execz .LBB65_19
	s_branch .LBB65_29
.LBB65_18:
                                        ; implicit-def: $vgpr3
                                        ; implicit-def: $vgpr5
                                        ; implicit-def: $vgpr10
                                        ; implicit-def: $vgpr9
                                        ; implicit-def: $vgpr8
                                        ; implicit-def: $vgpr7
                                        ; implicit-def: $vgpr6
.LBB65_19:
	v_lshl_add_u32 v13, v1, 2, v30
	v_mul_lo_u32 v9, s19, v13
	s_mul_hi_i32 s11, s28, s19
	s_mul_i32 s10, s28, s19
	s_mov_b64 s[6:7], src_private_base
	s_sub_i32 s29, s42, s28
	s_lshl_b64 s[10:11], s[10:11], 2
	v_ashrrev_i32_e32 v10, 31, v9
	s_add_u32 s6, s12, s10
	v_lshlrev_b64 v[5:6], 2, v[9:10]
	s_addc_u32 s14, s13, s11
	v_and_b32_e32 v1, 28, v24
	v_mov_b32_e32 v7, s14
	v_add_co_u32_e32 v5, vcc, s6, v5
	v_lshlrev_b32_e32 v1, 2, v1
	v_addc_co_u32_e32 v6, vcc, v7, v6, vcc
	v_add_co_u32_e32 v5, vcc, v5, v1
	v_mov_b32_e32 v3, 0
	v_addc_co_u32_e32 v6, vcc, 0, v6, vcc
	v_mov_b32_e32 v12, s7
	v_cmp_gt_i32_e64 s[12:13], s29, v13
	v_mov_b32_e32 v17, 0
	buffer_store_dword v3, off, s[0:3], 0
	buffer_store_dword v3, off, s[0:3], 0 offset:4
	buffer_store_dword v3, off, s[0:3], 0 offset:8
	;; [unrolled: 1-line block ×3, first 2 shown]
	v_cndmask_b32_e64 v6, v12, v6, s[12:13]
	v_cndmask_b32_e64 v5, v17, v5, s[12:13]
	flat_load_dwordx4 v[5:8], v[5:6]
	s_movk_i32 s7, 0x90
	v_mad_u32_u24 v18, v13, s7, v1
	s_lshl_b32 s7, s19, 4
	v_add_u32_e32 v9, s7, v9
	v_ashrrev_i32_e32 v10, 31, v9
	v_lshlrev_b64 v[10:11], 2, v[9:10]
	v_mov_b32_e32 v15, s14
	v_add_co_u32_e32 v10, vcc, s6, v10
	v_addc_co_u32_e32 v11, vcc, v15, v11, vcc
	v_add_u32_e32 v14, 16, v13
	v_add_co_u32_e32 v10, vcc, v10, v1
	v_addc_co_u32_e32 v11, vcc, 0, v11, vcc
	v_cmp_gt_i32_e64 s[10:11], s29, v14
	buffer_store_dword v3, off, s[0:3], 0
	buffer_store_dword v3, off, s[0:3], 0 offset:4
	buffer_store_dword v3, off, s[0:3], 0 offset:8
	;; [unrolled: 1-line block ×3, first 2 shown]
	v_cndmask_b32_e64 v11, v12, v11, s[10:11]
	v_cndmask_b32_e64 v10, v17, v10, s[10:11]
	v_add_u32_e32 v9, s7, v9
	v_mov_b32_e32 v16, s14
	v_add_u32_e32 v15, 32, v13
	v_cmp_gt_i32_e64 s[16:17], s29, v15
	s_cmp_lg_u64 s[40:41], 0
	s_waitcnt vmcnt(0) lgkmcnt(0)
	ds_write_b128 v18, v[5:8]
	flat_load_dwordx4 v[5:8], v[10:11]
	v_ashrrev_i32_e32 v10, 31, v9
	v_lshlrev_b64 v[10:11], 2, v[9:10]
	buffer_store_dword v3, off, s[0:3], 0
	buffer_store_dword v3, off, s[0:3], 0 offset:4
	buffer_store_dword v3, off, s[0:3], 0 offset:8
	;; [unrolled: 1-line block ×3, first 2 shown]
	v_add_co_u32_e32 v10, vcc, s6, v10
	v_addc_co_u32_e32 v11, vcc, v16, v11, vcc
	v_add_co_u32_e32 v10, vcc, v10, v1
	v_addc_co_u32_e32 v11, vcc, 0, v11, vcc
	v_cndmask_b32_e64 v11, v12, v11, s[16:17]
	v_cndmask_b32_e64 v10, v17, v10, s[16:17]
	v_add_u32_e32 v9, s7, v9
	v_add_u32_e32 v16, 48, v13
	s_waitcnt vmcnt(0) lgkmcnt(0)
	ds_write_b128 v18, v[5:8] offset:2304
	flat_load_dwordx4 v[5:8], v[10:11]
	v_ashrrev_i32_e32 v10, 31, v9
	v_lshlrev_b64 v[9:10], 2, v[9:10]
	v_mov_b32_e32 v11, s14
	v_add_co_u32_e32 v9, vcc, s6, v9
	v_addc_co_u32_e32 v10, vcc, v11, v10, vcc
	v_add_co_u32_e32 v9, vcc, v9, v1
	v_addc_co_u32_e32 v10, vcc, 0, v10, vcc
	v_cmp_gt_i32_e64 s[6:7], s29, v16
	v_cndmask_b32_e64 v10, v12, v10, s[6:7]
	v_cndmask_b32_e64 v9, v17, v9, s[6:7]
	buffer_store_dword v3, off, s[0:3], 0
	buffer_store_dword v3, off, s[0:3], 0 offset:4
	buffer_store_dword v3, off, s[0:3], 0 offset:8
	;; [unrolled: 1-line block ×3, first 2 shown]
	v_mov_b32_e32 v11, 0
	v_mul_lo_u32 v12, v29, s18
	s_cselect_b64 s[14:15], -1, 0
	v_cmp_gt_i32_e32 vcc, s29, v0
	s_waitcnt vmcnt(0) lgkmcnt(0)
	ds_write_b128 v18, v[5:8] offset:4608
	flat_load_dwordx4 v[6:9], v[9:10]
	v_mul_u32_u24_e32 v5, 0x90, v0
	s_waitcnt vmcnt(0) lgkmcnt(0)
	ds_write_b128 v18, v[6:9] offset:6912
	s_waitcnt lgkmcnt(0)
	s_barrier
	ds_read_b128 v[6:9], v5
	ds_read_b128 v[30:33], v28
	v_mov_b32_e32 v18, 0
	ds_read_b128 v[34:37], v5 offset:4608
	s_waitcnt lgkmcnt(1)
	;;#ASMSTART
	v_dot2_f32_f16 v18, v6, v30, v18
	;;#ASMEND
	;;#ASMSTART
	v_dot2_f32_f16 v18, v7, v31, v18
	;;#ASMEND
	;;#ASMSTART
	v_dot2_f32_f16 v18, v8, v32, v18
	;;#ASMEND
	;;#ASMSTART
	v_dot2_f32_f16 v18, v9, v33, v18
	;;#ASMEND
	s_waitcnt lgkmcnt(0)
	;;#ASMSTART
	v_dot2_f32_f16 v11, v34, v30, v11
	;;#ASMEND
	;;#ASMSTART
	v_dot2_f32_f16 v11, v35, v31, v11
	;;#ASMEND
	;;#ASMSTART
	v_dot2_f32_f16 v11, v36, v32, v11
	;;#ASMEND
	;;#ASMSTART
	v_dot2_f32_f16 v11, v37, v33, v11
	;;#ASMEND
	ds_read_b128 v[6:9], v5 offset:16
	ds_read_b128 v[30:33], v28 offset:16
	ds_read_b128 v[34:37], v5 offset:4624
	s_waitcnt lgkmcnt(1)
	;;#ASMSTART
	v_dot2_f32_f16 v18, v6, v30, v18
	;;#ASMEND
	;;#ASMSTART
	v_dot2_f32_f16 v18, v7, v31, v18
	;;#ASMEND
	;;#ASMSTART
	v_dot2_f32_f16 v18, v8, v32, v18
	;;#ASMEND
	;;#ASMSTART
	v_dot2_f32_f16 v18, v9, v33, v18
	;;#ASMEND
	s_waitcnt lgkmcnt(0)
	;;#ASMSTART
	v_dot2_f32_f16 v11, v34, v30, v11
	;;#ASMEND
	;;#ASMSTART
	v_dot2_f32_f16 v11, v35, v31, v11
	;;#ASMEND
	;;#ASMSTART
	v_dot2_f32_f16 v11, v36, v32, v11
	;;#ASMEND
	;;#ASMSTART
	v_dot2_f32_f16 v11, v37, v33, v11
	;;#ASMEND
	ds_read_b128 v[6:9], v5 offset:32
	ds_read_b128 v[30:33], v28 offset:32
	;; [unrolled: 29-line block ×7, first 2 shown]
	ds_read_b128 v[32:35], v5 offset:4720
	s_waitcnt lgkmcnt(1)
	;;#ASMSTART
	v_dot2_f32_f16 v18, v7, v28, v18
	;;#ASMEND
	;;#ASMSTART
	v_dot2_f32_f16 v18, v8, v29, v18
	;;#ASMEND
	;; [unrolled: 3-line block ×4, first 2 shown]
	s_waitcnt lgkmcnt(0)
	;;#ASMSTART
	v_dot2_f32_f16 v11, v32, v28, v11
	;;#ASMEND
	v_add_u32_e32 v6, s28, v12
	v_cndmask_b32_e64 v12, 0, 1, s[14:15]
	;;#ASMSTART
	v_dot2_f32_f16 v11, v33, v29, v11
	;;#ASMEND
	v_cmp_ne_u32_e64 s[14:15], 1, v12
	;;#ASMSTART
	v_dot2_f32_f16 v11, v34, v30, v11
	;;#ASMEND
	v_mov_b32_e32 v12, v2
	;;#ASMSTART
	v_dot2_f32_f16 v11, v35, v31, v11
	;;#ASMEND
	s_and_saveexec_b64 s[18:19], vcc
	s_cbranch_execz .LBB65_23
; %bb.20:
	s_and_b64 vcc, exec, s[14:15]
	s_cbranch_vccnz .LBB65_22
; %bb.21:
	v_add_u32_e32 v7, v6, v0
	v_ashrrev_i32_e32 v8, 31, v7
	v_lshlrev_b64 v[7:8], 1, v[7:8]
	v_mov_b32_e32 v3, s41
	v_add_co_u32_e32 v7, vcc, s40, v7
	v_addc_co_u32_e32 v8, vcc, v3, v8, vcc
	global_load_ushort v3, v[7:8], off
	s_waitcnt vmcnt(0)
	v_cvt_f32_f16_e32 v3, v3
	v_mul_f32_e32 v3, v26, v3
.LBB65_22:
	v_add_f32_e32 v18, v18, v3
	v_add_f32_e32 v3, 0x40051340, v18
	v_max_f32_e32 v5, v2, v2
	v_max_f32_e32 v12, v5, v3
.LBB65_23:
	s_or_b64 exec, exec, s[18:19]
	v_add_u32_e32 v19, 32, v0
	v_cmp_gt_i32_e32 vcc, s29, v19
	s_and_saveexec_b64 s[18:19], vcc
	s_cbranch_execz .LBB65_28
; %bb.24:
	s_and_b64 vcc, exec, s[14:15]
	s_cbranch_vccnz .LBB65_26
; %bb.25:
	v_ashrrev_i32_e32 v3, 31, v6
	v_add_co_u32_e32 v5, vcc, v6, v0
	v_addc_co_u32_e32 v6, vcc, 0, v3, vcc
	v_lshlrev_b64 v[5:6], 1, v[5:6]
	v_mov_b32_e32 v3, s41
	v_add_co_u32_e32 v5, vcc, s40, v5
	v_addc_co_u32_e32 v6, vcc, v3, v6, vcc
	global_load_ushort v3, v[5:6], off offset:64
	s_waitcnt vmcnt(0)
	v_cvt_f32_f16_e32 v3, v3
	v_mul_f32_e32 v3, v26, v3
	s_branch .LBB65_27
.LBB65_26:
	v_mov_b32_e32 v3, 0
.LBB65_27:
	v_add_f32_e32 v11, v11, v3
	v_add_f32_e32 v3, 0x40051340, v11
	v_max_f32_e32 v5, v12, v12
	v_max_f32_e32 v12, v5, v3
.LBB65_28:
	s_or_b64 exec, exec, s[18:19]
	v_mbcnt_hi_u32_b32 v3, -1, v27
	v_and_b32_e32 v5, 0x60, v3
	v_xor_b32_e32 v6, 1, v3
	v_add_u32_e32 v5, 32, v5
	v_cmp_lt_i32_e32 vcc, v6, v5
	v_xor_b32_e32 v7, 2, v3
	v_cndmask_b32_e32 v21, v3, v6, vcc
	v_cmp_lt_i32_e32 vcc, v7, v5
	v_xor_b32_e32 v8, 4, v3
	v_cndmask_b32_e32 v26, v3, v7, vcc
	;; [unrolled: 3-line block ×4, first 2 shown]
	v_cmp_lt_i32_e32 vcc, v10, v5
	v_cndmask_b32_e32 v29, v3, v10, vcc
	v_lshlrev_b32_e32 v29, 2, v29
	ds_bpermute_b32 v29, v29, v12
	v_max_f32_e32 v12, v12, v12
	v_lshlrev_b32_e32 v28, 2, v28
	v_lshlrev_b32_e32 v27, 2, v27
	;; [unrolled: 1-line block ×3, first 2 shown]
	s_waitcnt lgkmcnt(0)
	v_max_f32_e32 v29, v29, v29
	v_max_f32_e32 v12, v12, v29
	ds_bpermute_b32 v28, v28, v12
	v_lshlrev_b32_e32 v21, 2, v21
	s_mov_b32 s18, 0x3fb8aa3b
	s_mov_b32 s19, 0xc2ce8ed0
	;; [unrolled: 1-line block ×3, first 2 shown]
	s_waitcnt lgkmcnt(0)
	v_max_f32_e32 v28, v28, v28
	v_max_f32_e32 v12, v12, v28
	ds_bpermute_b32 v27, v27, v12
	v_cmp_gt_u32_e32 vcc, s29, v0
	s_waitcnt lgkmcnt(0)
	s_barrier
	v_max_f32_e32 v27, v27, v27
	v_max_f32_e32 v12, v12, v27
	ds_bpermute_b32 v26, v26, v12
	v_lshl_or_b32 v30, v14, 7, v1
	v_mov_b32_e32 v17, 0
	v_mov_b32_e32 v34, 0
	s_waitcnt lgkmcnt(0)
	v_max_f32_e32 v26, v26, v26
	v_max_f32_e32 v12, v12, v26
	ds_bpermute_b32 v21, v21, v12
	s_waitcnt lgkmcnt(0)
	v_max_f32_e32 v21, v21, v21
	v_max_f32_e32 v12, v12, v21
	v_sub_f32_e32 v18, v18, v12
	v_mul_f32_e32 v21, 0x3fb8aa3b, v18
	v_fma_f32 v26, v18, s18, -v21
	v_rndne_f32_e32 v27, v21
	v_fmac_f32_e32 v26, 0x32a5705f, v18
	v_sub_f32_e32 v21, v21, v27
	v_add_f32_e32 v21, v21, v26
	v_exp_f32_e32 v21, v21
	v_cvt_i32_f32_e32 v26, v27
	v_cmp_ngt_f32_e64 s[14:15], s19, v18
	v_sub_f32_e32 v11, v11, v12
	v_sub_f32_e32 v2, v2, v12
	v_ldexp_f32 v21, v21, v26
	v_cndmask_b32_e64 v21, 0, v21, s[14:15]
	v_cmp_nlt_f32_e64 s[14:15], s36, v18
	v_mov_b32_e32 v18, 0x7f800000
	v_cndmask_b32_e64 v21, v18, v21, s[14:15]
	v_cndmask_b32_e32 v21, 0, v21, vcc
	v_cmp_gt_u32_e32 vcc, s29, v19
	v_mul_f32_e32 v19, 0x3fb8aa3b, v11
	v_fma_f32 v27, v11, s18, -v19
	v_rndne_f32_e32 v28, v19
	v_fmac_f32_e32 v27, 0x32a5705f, v11
	v_sub_f32_e32 v19, v19, v28
	v_add_f32_e32 v19, v19, v27
	v_exp_f32_e32 v19, v19
	v_cvt_i32_f32_e32 v27, v28
	v_cmp_ngt_f32_e64 s[14:15], s19, v11
	v_cvt_f16_f32_e32 v26, v21
	v_ldexp_f32 v19, v19, v27
	v_mul_f32_e32 v27, 0x3fb8aa3b, v2
	v_cndmask_b32_e64 v19, 0, v19, s[14:15]
	v_cmp_nlt_f32_e64 s[14:15], s36, v11
	v_fma_f32 v28, v2, s18, -v27
	v_rndne_f32_e32 v29, v27
	v_cndmask_b32_e64 v11, v18, v19, s[14:15]
	v_fmac_f32_e32 v28, 0x32a5705f, v2
	v_sub_f32_e32 v27, v27, v29
	v_cndmask_b32_e32 v19, 0, v11, vcc
	v_add_f32_e32 v27, v27, v28
	v_add_f32_e32 v11, v21, v19
	v_cvt_f16_f32_e32 v19, v19
	v_exp_f32_e32 v27, v27
	v_cvt_i32_f32_e32 v28, v29
	s_movk_i32 s14, 0x2400
	v_add3_u32 v21, v23, s14, v4
	ds_write_b16 v21, v26
	ds_write_b16 v21, v19 offset:64
	v_mul_lo_u32 v19, s8, v13
	v_ldexp_f32 v27, v27, v28
	v_cmp_ngt_f32_e32 vcc, s19, v2
	v_cndmask_b32_e32 v27, 0, v27, vcc
	v_cmp_nlt_f32_e32 vcc, s36, v2
	v_cndmask_b32_e32 v2, v18, v27, vcc
	s_mul_hi_i32 s15, s28, s8
	s_mul_i32 s14, s28, s8
	v_fmac_f32_e32 v11, v20, v2
	s_lshl_b64 s[14:15], s[14:15], 2
	v_ashrrev_i32_e32 v20, 31, v19
	s_add_u32 s19, s22, s14
	v_lshlrev_b64 v[20:21], 2, v[19:20]
	s_addc_u32 s22, s23, s15
	v_lshl_or_b32 v18, v13, 7, v1
	v_add_co_u32_e32 v13, vcc, s19, v20
	v_mov_b32_e32 v20, s22
	v_addc_co_u32_e32 v20, vcc, v20, v21, vcc
	s_lshl_b32 s8, s8, 4
	v_add_co_u32_e32 v28, vcc, v13, v1
	v_add_u32_e32 v13, s8, v19
	v_ashrrev_i32_e32 v14, 31, v13
	v_addc_co_u32_e32 v29, vcc, 0, v20, vcc
	v_lshlrev_b64 v[19:20], 2, v[13:14]
	s_mov_b64 s[14:15], src_private_base
	v_add_co_u32_e32 v14, vcc, s19, v19
	v_mov_b32_e32 v19, s22
	v_addc_co_u32_e32 v19, vcc, v19, v20, vcc
	v_add_u32_e32 v20, s8, v13
	v_ashrrev_i32_e32 v21, 31, v20
	v_add_co_u32_e32 v31, vcc, v14, v1
	v_lshlrev_b64 v[26:27], 2, v[20:21]
	v_addc_co_u32_e32 v32, vcc, 0, v19, vcc
	v_lshl_or_b32 v14, v15, 7, v1
	v_add_co_u32_e32 v13, vcc, s19, v26
	v_mov_b32_e32 v15, s22
	v_add_u32_e32 v20, s8, v20
	v_addc_co_u32_e32 v15, vcc, v15, v27, vcc
	v_ashrrev_i32_e32 v21, 31, v20
	v_add_co_u32_e32 v19, vcc, v13, v1
	v_lshlrev_b64 v[20:21], 2, v[20:21]
	v_addc_co_u32_e32 v33, vcc, 0, v15, vcc
	v_add_co_u32_e32 v13, vcc, s19, v20
	v_mov_b32_e32 v15, s22
	v_addc_co_u32_e32 v15, vcc, v15, v21, vcc
	v_add_co_u32_e32 v13, vcc, v13, v1
	v_lshl_or_b32 v1, v16, 7, v1
	v_mov_b32_e32 v16, s15
	buffer_store_dword v17, off, s[0:3], 0
	buffer_store_dword v17, off, s[0:3], 0 offset:4
	buffer_store_dword v17, off, s[0:3], 0 offset:8
	;; [unrolled: 1-line block ×3, first 2 shown]
	v_cndmask_b32_e64 v21, v16, v29, s[12:13]
	v_cndmask_b32_e64 v20, v34, v28, s[12:13]
	flat_load_dwordx4 v[26:29], v[20:21]
	v_cndmask_b32_e64 v21, v16, v32, s[10:11]
	v_cndmask_b32_e64 v20, v34, v31, s[10:11]
	;; [unrolled: 1-line block ×3, first 2 shown]
	v_addc_co_u32_e32 v15, vcc, 0, v15, vcc
	v_cndmask_b32_e64 v13, v34, v13, s[6:7]
	v_cvt_f16_f32_e32 v2, v2
	s_mov_b32 s18, 0x10001
	v_mul_u32_u24_e32 v2, 0x10001, v2
	s_waitcnt vmcnt(0) lgkmcnt(0)
	ds_write_b128 v18, v[26:29]
	buffer_store_dword v17, off, s[0:3], 0
	buffer_store_dword v17, off, s[0:3], 0 offset:4
	buffer_store_dword v17, off, s[0:3], 0 offset:8
	;; [unrolled: 1-line block ×3, first 2 shown]
	flat_load_dwordx4 v[26:29], v[20:21]
	v_cndmask_b32_e64 v20, v16, v33, s[16:17]
	s_waitcnt vmcnt(0) lgkmcnt(0)
	ds_write_b128 v30, v[26:29]
	buffer_store_dword v17, off, s[0:3], 0
	buffer_store_dword v17, off, s[0:3], 0 offset:4
	buffer_store_dword v17, off, s[0:3], 0 offset:8
	;; [unrolled: 1-line block ×3, first 2 shown]
	flat_load_dwordx4 v[18:21], v[19:20]
	s_waitcnt vmcnt(0) lgkmcnt(0)
	ds_write_b128 v14, v[18:21]
	buffer_store_dword v17, off, s[0:3], 0
	buffer_store_dword v17, off, s[0:3], 0 offset:4
	buffer_store_dword v17, off, s[0:3], 0 offset:8
	;; [unrolled: 1-line block ×3, first 2 shown]
	v_cndmask_b32_e64 v14, v16, v15, s[6:7]
	flat_load_dwordx4 v[13:16], v[13:14]
	s_waitcnt vmcnt(0) lgkmcnt(0)
	ds_write_b128 v1, v[13:16]
	s_waitcnt lgkmcnt(0)
	s_barrier
	ds_read2_b32 v[34:35], v24 offset1:32
	ds_read_b128 v[13:16], v23 offset:9216
	ds_read_b128 v[17:20], v23 offset:9232
	;; [unrolled: 1-line block ×4, first 2 shown]
	s_waitcnt lgkmcnt(3)
	v_mul_u32_u24_sdwa v1, v13, s18 dst_sel:DWORD dst_unused:UNUSED_PAD src0_sel:WORD_0 src1_sel:DWORD
	v_pk_mul_f16 v1, v34, v1
	v_pk_fma_f16 v1, v25, v2, v1
	v_mul_u32_u24_sdwa v2, v13, s18 dst_sel:DWORD dst_unused:UNUSED_PAD src0_sel:WORD_1 src1_sel:DWORD
	v_pk_fma_f16 v13, v35, v2, v1
	ds_read2_b32 v[1:2], v24 offset0:64 offset1:96
	v_mul_u32_u24_sdwa v21, v14, s18 dst_sel:DWORD dst_unused:UNUSED_PAD src0_sel:WORD_0 src1_sel:DWORD
	s_waitcnt lgkmcnt(0)
	v_pk_fma_f16 v1, v1, v21, v13
	v_mul_u32_u24_sdwa v13, v14, s18 dst_sel:DWORD dst_unused:UNUSED_PAD src0_sel:WORD_1 src1_sel:DWORD
	v_pk_fma_f16 v13, v2, v13, v1
	ds_read2_b32 v[1:2], v24 offset0:128 offset1:160
	v_mul_u32_u24_sdwa v14, v15, s18 dst_sel:DWORD dst_unused:UNUSED_PAD src0_sel:WORD_0 src1_sel:DWORD
	s_waitcnt lgkmcnt(0)
	v_pk_fma_f16 v1, v1, v14, v13
	v_mul_u32_u24_sdwa v13, v15, s18 dst_sel:DWORD dst_unused:UNUSED_PAD src0_sel:WORD_1 src1_sel:DWORD
	v_pk_fma_f16 v13, v2, v13, v1
	ds_read2_b32 v[1:2], v24 offset0:192 offset1:224
	v_mul_u32_u24_sdwa v14, v16, s18 dst_sel:DWORD dst_unused:UNUSED_PAD src0_sel:WORD_0 src1_sel:DWORD
	v_mul_u32_u24_sdwa v15, v17, s18 dst_sel:DWORD dst_unused:UNUSED_PAD src0_sel:WORD_0 src1_sel:DWORD
	s_waitcnt lgkmcnt(0)
	v_pk_fma_f16 v1, v1, v14, v13
	v_mul_u32_u24_sdwa v13, v16, s18 dst_sel:DWORD dst_unused:UNUSED_PAD src0_sel:WORD_1 src1_sel:DWORD
	v_add_u32_e32 v14, 0x400, v24
	v_pk_fma_f16 v13, v2, v13, v1
	ds_read2_b32 v[1:2], v14 offset1:32
	s_waitcnt lgkmcnt(0)
	v_pk_fma_f16 v1, v1, v15, v13
	v_mul_u32_u24_sdwa v13, v17, s18 dst_sel:DWORD dst_unused:UNUSED_PAD src0_sel:WORD_1 src1_sel:DWORD
	v_pk_fma_f16 v13, v2, v13, v1
	ds_read2_b32 v[1:2], v14 offset0:64 offset1:96
	v_mul_u32_u24_sdwa v15, v18, s18 dst_sel:DWORD dst_unused:UNUSED_PAD src0_sel:WORD_0 src1_sel:DWORD
	s_waitcnt lgkmcnt(0)
	v_pk_fma_f16 v1, v1, v15, v13
	v_mul_u32_u24_sdwa v13, v18, s18 dst_sel:DWORD dst_unused:UNUSED_PAD src0_sel:WORD_1 src1_sel:DWORD
	v_pk_fma_f16 v13, v2, v13, v1
	ds_read2_b32 v[1:2], v14 offset0:128 offset1:160
	v_mul_u32_u24_sdwa v15, v19, s18 dst_sel:DWORD dst_unused:UNUSED_PAD src0_sel:WORD_0 src1_sel:DWORD
	s_waitcnt lgkmcnt(0)
	v_pk_fma_f16 v1, v1, v15, v13
	v_mul_u32_u24_sdwa v13, v19, s18 dst_sel:DWORD dst_unused:UNUSED_PAD src0_sel:WORD_1 src1_sel:DWORD
	v_pk_fma_f16 v13, v2, v13, v1
	ds_read2_b32 v[1:2], v14 offset0:192 offset1:224
	v_mul_u32_u24_sdwa v14, v20, s18 dst_sel:DWORD dst_unused:UNUSED_PAD src0_sel:WORD_0 src1_sel:DWORD
	v_mul_u32_u24_sdwa v15, v26, s18 dst_sel:DWORD dst_unused:UNUSED_PAD src0_sel:WORD_0 src1_sel:DWORD
	s_waitcnt lgkmcnt(0)
	v_pk_fma_f16 v1, v1, v14, v13
	v_mul_u32_u24_sdwa v13, v20, s18 dst_sel:DWORD dst_unused:UNUSED_PAD src0_sel:WORD_1 src1_sel:DWORD
	v_add_u32_e32 v14, 0x800, v24
	v_pk_fma_f16 v13, v2, v13, v1
	ds_read2_b32 v[1:2], v14 offset1:32
	v_mov_b32_e32 v20, v11
	s_waitcnt lgkmcnt(0)
	v_pk_fma_f16 v1, v1, v15, v13
	v_mul_u32_u24_sdwa v13, v26, s18 dst_sel:DWORD dst_unused:UNUSED_PAD src0_sel:WORD_1 src1_sel:DWORD
	v_pk_fma_f16 v13, v2, v13, v1
	ds_read2_b32 v[1:2], v14 offset0:64 offset1:96
	v_mul_u32_u24_sdwa v15, v27, s18 dst_sel:DWORD dst_unused:UNUSED_PAD src0_sel:WORD_0 src1_sel:DWORD
	s_waitcnt lgkmcnt(0)
	v_pk_fma_f16 v1, v1, v15, v13
	v_mul_u32_u24_sdwa v13, v27, s18 dst_sel:DWORD dst_unused:UNUSED_PAD src0_sel:WORD_1 src1_sel:DWORD
	v_pk_fma_f16 v13, v2, v13, v1
	ds_read2_b32 v[1:2], v14 offset0:128 offset1:160
	v_mul_u32_u24_sdwa v15, v28, s18 dst_sel:DWORD dst_unused:UNUSED_PAD src0_sel:WORD_0 src1_sel:DWORD
	;; [unrolled: 6-line block ×3, first 2 shown]
	v_mul_u32_u24_sdwa v15, v30, s18 dst_sel:DWORD dst_unused:UNUSED_PAD src0_sel:WORD_0 src1_sel:DWORD
	s_waitcnt lgkmcnt(0)
	v_pk_fma_f16 v1, v1, v14, v13
	v_mul_u32_u24_sdwa v13, v29, s18 dst_sel:DWORD dst_unused:UNUSED_PAD src0_sel:WORD_1 src1_sel:DWORD
	v_add_u32_e32 v14, 0xc00, v24
	v_pk_fma_f16 v13, v2, v13, v1
	ds_read2_b32 v[1:2], v14 offset1:32
	s_waitcnt lgkmcnt(0)
	v_pk_fma_f16 v1, v1, v15, v13
	v_mul_u32_u24_sdwa v13, v30, s18 dst_sel:DWORD dst_unused:UNUSED_PAD src0_sel:WORD_1 src1_sel:DWORD
	v_pk_fma_f16 v13, v2, v13, v1
	ds_read2_b32 v[1:2], v14 offset0:64 offset1:96
	v_mul_u32_u24_sdwa v15, v31, s18 dst_sel:DWORD dst_unused:UNUSED_PAD src0_sel:WORD_0 src1_sel:DWORD
	s_waitcnt lgkmcnt(0)
	v_pk_fma_f16 v1, v1, v15, v13
	v_mul_u32_u24_sdwa v13, v31, s18 dst_sel:DWORD dst_unused:UNUSED_PAD src0_sel:WORD_1 src1_sel:DWORD
	v_pk_fma_f16 v13, v2, v13, v1
	ds_read2_b32 v[1:2], v14 offset0:128 offset1:160
	v_mul_u32_u24_sdwa v15, v32, s18 dst_sel:DWORD dst_unused:UNUSED_PAD src0_sel:WORD_0 src1_sel:DWORD
	;; [unrolled: 6-line block ×3, first 2 shown]
	s_waitcnt lgkmcnt(0)
	v_pk_fma_f16 v1, v1, v14, v13
	v_mul_u32_u24_sdwa v13, v33, s18 dst_sel:DWORD dst_unused:UNUSED_PAD src0_sel:WORD_1 src1_sel:DWORD
	v_pk_fma_f16 v14, v2, v13, v1
	v_add_u32_e32 v13, 0x1000, v24
	ds_read2_b32 v[1:2], v13 offset1:32
	ds_read_b128 v[15:18], v23 offset:9280
	s_waitcnt lgkmcnt(0)
	v_mul_u32_u24_sdwa v19, v15, s18 dst_sel:DWORD dst_unused:UNUSED_PAD src0_sel:WORD_0 src1_sel:DWORD
	v_pk_fma_f16 v1, v1, v19, v14
	v_mul_u32_u24_sdwa v14, v15, s18 dst_sel:DWORD dst_unused:UNUSED_PAD src0_sel:WORD_1 src1_sel:DWORD
	v_pk_fma_f16 v14, v2, v14, v1
	ds_read2_b32 v[1:2], v13 offset0:64 offset1:96
	v_mul_u32_u24_sdwa v15, v16, s18 dst_sel:DWORD dst_unused:UNUSED_PAD src0_sel:WORD_0 src1_sel:DWORD
	s_waitcnt lgkmcnt(0)
	v_pk_fma_f16 v1, v1, v15, v14
	v_mul_u32_u24_sdwa v14, v16, s18 dst_sel:DWORD dst_unused:UNUSED_PAD src0_sel:WORD_1 src1_sel:DWORD
	v_pk_fma_f16 v14, v2, v14, v1
	ds_read2_b32 v[1:2], v13 offset0:128 offset1:160
	v_mul_u32_u24_sdwa v15, v17, s18 dst_sel:DWORD dst_unused:UNUSED_PAD src0_sel:WORD_0 src1_sel:DWORD
	s_waitcnt lgkmcnt(0)
	;; [unrolled: 6-line block ×3, first 2 shown]
	v_pk_fma_f16 v1, v1, v13, v14
	v_mul_u32_u24_sdwa v13, v18, s18 dst_sel:DWORD dst_unused:UNUSED_PAD src0_sel:WORD_1 src1_sel:DWORD
	v_add_u32_e32 v18, 0x1400, v24
	v_pk_fma_f16 v17, v2, v13, v1
	ds_read2_b32 v[1:2], v18 offset1:32
	ds_read_b128 v[13:16], v23 offset:9296
	s_waitcnt lgkmcnt(0)
	v_mul_u32_u24_sdwa v19, v13, s18 dst_sel:DWORD dst_unused:UNUSED_PAD src0_sel:WORD_0 src1_sel:DWORD
	v_pk_fma_f16 v1, v1, v19, v17
	v_mul_u32_u24_sdwa v13, v13, s18 dst_sel:DWORD dst_unused:UNUSED_PAD src0_sel:WORD_1 src1_sel:DWORD
	v_pk_fma_f16 v13, v2, v13, v1
	ds_read2_b32 v[1:2], v18 offset0:64 offset1:96
	v_mul_u32_u24_sdwa v17, v14, s18 dst_sel:DWORD dst_unused:UNUSED_PAD src0_sel:WORD_0 src1_sel:DWORD
	s_waitcnt lgkmcnt(0)
	v_pk_fma_f16 v1, v1, v17, v13
	v_mul_u32_u24_sdwa v13, v14, s18 dst_sel:DWORD dst_unused:UNUSED_PAD src0_sel:WORD_1 src1_sel:DWORD
	v_pk_fma_f16 v13, v2, v13, v1
	ds_read2_b32 v[1:2], v18 offset0:128 offset1:160
	v_mul_u32_u24_sdwa v14, v15, s18 dst_sel:DWORD dst_unused:UNUSED_PAD src0_sel:WORD_0 src1_sel:DWORD
	s_waitcnt lgkmcnt(0)
	v_pk_fma_f16 v1, v1, v14, v13
	v_mul_u32_u24_sdwa v13, v15, s18 dst_sel:DWORD dst_unused:UNUSED_PAD src0_sel:WORD_1 src1_sel:DWORD
	v_pk_fma_f16 v13, v2, v13, v1
	ds_read2_b32 v[1:2], v18 offset0:192 offset1:224
	v_mul_u32_u24_sdwa v14, v16, s18 dst_sel:DWORD dst_unused:UNUSED_PAD src0_sel:WORD_0 src1_sel:DWORD
	v_add_u32_e32 v18, 0x1800, v24
	s_waitcnt lgkmcnt(0)
	v_pk_fma_f16 v1, v1, v14, v13
	v_mul_u32_u24_sdwa v13, v16, s18 dst_sel:DWORD dst_unused:UNUSED_PAD src0_sel:WORD_1 src1_sel:DWORD
	v_pk_fma_f16 v17, v2, v13, v1
	ds_read2_b32 v[1:2], v18 offset1:32
	ds_read_b128 v[13:16], v23 offset:9312
	s_waitcnt lgkmcnt(0)
	v_mul_u32_u24_sdwa v19, v13, s18 dst_sel:DWORD dst_unused:UNUSED_PAD src0_sel:WORD_0 src1_sel:DWORD
	v_pk_fma_f16 v1, v1, v19, v17
	v_mul_u32_u24_sdwa v13, v13, s18 dst_sel:DWORD dst_unused:UNUSED_PAD src0_sel:WORD_1 src1_sel:DWORD
	v_pk_fma_f16 v13, v2, v13, v1
	ds_read2_b32 v[1:2], v18 offset0:64 offset1:96
	v_mul_u32_u24_sdwa v17, v14, s18 dst_sel:DWORD dst_unused:UNUSED_PAD src0_sel:WORD_0 src1_sel:DWORD
	s_waitcnt lgkmcnt(0)
	v_pk_fma_f16 v1, v1, v17, v13
	v_mul_u32_u24_sdwa v13, v14, s18 dst_sel:DWORD dst_unused:UNUSED_PAD src0_sel:WORD_1 src1_sel:DWORD
	v_pk_fma_f16 v13, v2, v13, v1
	ds_read2_b32 v[1:2], v18 offset0:128 offset1:160
	v_mul_u32_u24_sdwa v14, v15, s18 dst_sel:DWORD dst_unused:UNUSED_PAD src0_sel:WORD_0 src1_sel:DWORD
	s_waitcnt lgkmcnt(0)
	v_pk_fma_f16 v1, v1, v14, v13
	v_mul_u32_u24_sdwa v13, v15, s18 dst_sel:DWORD dst_unused:UNUSED_PAD src0_sel:WORD_1 src1_sel:DWORD
	v_pk_fma_f16 v13, v2, v13, v1
	ds_read2_b32 v[1:2], v18 offset0:192 offset1:224
	v_mul_u32_u24_sdwa v14, v16, s18 dst_sel:DWORD dst_unused:UNUSED_PAD src0_sel:WORD_0 src1_sel:DWORD
	v_add_u32_e32 v18, 0x1c00, v24
	s_waitcnt lgkmcnt(0)
	v_pk_fma_f16 v1, v1, v14, v13
	v_mul_u32_u24_sdwa v13, v16, s18 dst_sel:DWORD dst_unused:UNUSED_PAD src0_sel:WORD_1 src1_sel:DWORD
	v_pk_fma_f16 v17, v2, v13, v1
	ds_read2_b32 v[1:2], v18 offset1:32
	ds_read_b128 v[13:16], v23 offset:9328
	s_waitcnt lgkmcnt(0)
	v_mul_u32_u24_sdwa v19, v13, s18 dst_sel:DWORD dst_unused:UNUSED_PAD src0_sel:WORD_0 src1_sel:DWORD
	v_pk_fma_f16 v1, v1, v19, v17
	v_mul_u32_u24_sdwa v13, v13, s18 dst_sel:DWORD dst_unused:UNUSED_PAD src0_sel:WORD_1 src1_sel:DWORD
	v_pk_fma_f16 v13, v2, v13, v1
	ds_read2_b32 v[1:2], v18 offset0:64 offset1:96
	v_mul_u32_u24_sdwa v17, v14, s18 dst_sel:DWORD dst_unused:UNUSED_PAD src0_sel:WORD_0 src1_sel:DWORD
	s_waitcnt lgkmcnt(0)
	v_pk_fma_f16 v1, v1, v17, v13
	v_mul_u32_u24_sdwa v13, v14, s18 dst_sel:DWORD dst_unused:UNUSED_PAD src0_sel:WORD_1 src1_sel:DWORD
	v_pk_fma_f16 v13, v2, v13, v1
	ds_read2_b32 v[1:2], v18 offset0:128 offset1:160
	v_mul_u32_u24_sdwa v14, v15, s18 dst_sel:DWORD dst_unused:UNUSED_PAD src0_sel:WORD_0 src1_sel:DWORD
	s_waitcnt lgkmcnt(0)
	v_pk_fma_f16 v1, v1, v14, v13
	v_mul_u32_u24_sdwa v13, v15, s18 dst_sel:DWORD dst_unused:UNUSED_PAD src0_sel:WORD_1 src1_sel:DWORD
	v_pk_fma_f16 v13, v2, v13, v1
	ds_read2_b32 v[1:2], v18 offset0:192 offset1:224
	v_mul_u32_u24_sdwa v14, v16, s18 dst_sel:DWORD dst_unused:UNUSED_PAD src0_sel:WORD_0 src1_sel:DWORD
	s_waitcnt lgkmcnt(0)
	s_barrier
	v_pk_fma_f16 v1, v1, v14, v13
	v_mul_u32_u24_sdwa v13, v16, s18 dst_sel:DWORD dst_unused:UNUSED_PAD src0_sel:WORD_1 src1_sel:DWORD
	v_pk_fma_f16 v25, v2, v13, v1
	v_mov_b32_e32 v2, v12
.LBB65_29:
	v_cmp_lt_i32_e32 vcc, v10, v5
	v_cndmask_b32_e32 v1, v3, v10, vcc
	v_lshlrev_b32_e32 v1, 2, v1
	ds_bpermute_b32 v1, v1, v20
	v_cmp_lt_i32_e32 vcc, v9, v5
	v_cndmask_b32_e32 v9, v3, v9, vcc
	v_lshlrev_b32_e32 v9, 2, v9
	v_cmp_lt_i32_e32 vcc, v8, v5
	s_waitcnt lgkmcnt(0)
	v_add_f32_e32 v1, v20, v1
	ds_bpermute_b32 v9, v9, v1
	v_cndmask_b32_e32 v8, v3, v8, vcc
	v_lshlrev_b32_e32 v8, 2, v8
	v_cmp_lt_i32_e32 vcc, v7, v5
	v_cndmask_b32_e32 v7, v3, v7, vcc
	s_waitcnt lgkmcnt(0)
	v_add_f32_e32 v1, v1, v9
	ds_bpermute_b32 v8, v8, v1
	v_lshlrev_b32_e32 v7, 2, v7
	v_cmp_lt_i32_e32 vcc, v6, v5
	v_cndmask_b32_e32 v3, v3, v6, vcc
	v_lshlrev_b32_e32 v3, 2, v3
	s_waitcnt lgkmcnt(0)
	v_add_f32_e32 v1, v1, v8
	ds_bpermute_b32 v7, v7, v1
	s_cmp_eq_u64 s[20:21], 0
	s_cselect_b64 s[6:7], -1, 0
	s_cmp_lg_u32 s9, 0
	s_cselect_b64 s[10:11], -1, 0
	s_waitcnt lgkmcnt(0)
	v_add_f32_e32 v1, v1, v7
	ds_bpermute_b32 v3, v3, v1
	s_or_b64 s[6:7], s[10:11], s[6:7]
	s_and_b64 vcc, exec, s[6:7]
	s_waitcnt lgkmcnt(0)
	v_add_f32_e32 v3, v1, v3
	s_cbranch_vccnz .LBB65_31
; %bb.30:
	s_lshl_b64 s[6:7], s[34:35], 2
	s_add_u32 s6, s20, s6
	s_addc_u32 s7, s21, s7
	v_mov_b32_e32 v1, 0
	global_load_dword v1, v1, s[6:7]
	v_max_f32_e32 v5, v2, v2
	s_mov_b32 s6, 0x3fb8aa3b
	s_mov_b32 s7, 0xc2ce8ed0
	s_waitcnt vmcnt(0)
	v_max_f32_e32 v6, v1, v1
	v_max_f32_e32 v5, v5, v6
	v_sub_f32_e32 v2, v2, v5
	v_sub_f32_e32 v1, v1, v5
	v_mul_f32_e32 v6, 0x3fb8aa3b, v2
	v_mul_f32_e32 v7, 0x3fb8aa3b, v1
	v_fma_f32 v8, v2, s6, -v6
	v_rndne_f32_e32 v9, v6
	v_fma_f32 v10, v1, s6, -v7
	v_rndne_f32_e32 v11, v7
	v_fmac_f32_e32 v8, 0x32a5705f, v2
	v_sub_f32_e32 v6, v6, v9
	v_fmac_f32_e32 v10, 0x32a5705f, v1
	v_sub_f32_e32 v7, v7, v11
	v_add_f32_e32 v6, v6, v8
	v_cvt_i32_f32_e32 v9, v9
	v_add_f32_e32 v7, v7, v10
	v_exp_f32_e32 v6, v6
	v_cvt_i32_f32_e32 v11, v11
	v_exp_f32_e32 v7, v7
	v_cmp_ngt_f32_e32 vcc, s7, v2
	v_ldexp_f32 v6, v6, v9
	s_mov_b32 s6, 0x42b17218
	v_ldexp_f32 v7, v7, v11
	v_cndmask_b32_e32 v6, 0, v6, vcc
	v_cmp_ngt_f32_e32 vcc, s7, v1
	v_mov_b32_e32 v8, 0x7f800000
	v_cndmask_b32_e32 v7, 0, v7, vcc
	v_cmp_nlt_f32_e32 vcc, s6, v2
	v_cndmask_b32_e32 v2, v8, v6, vcc
	v_cvt_f16_f32_e32 v6, v2
	v_cmp_nlt_f32_e32 vcc, s6, v1
	v_cndmask_b32_e32 v1, v8, v7, vcc
	v_fmac_f32_e32 v1, v3, v2
	v_mov_b32_e32 v3, v1
	v_mul_u32_u24_e32 v1, 0x10001, v6
	v_pk_mul_f16 v25, v25, v1
	v_mov_b32_e32 v2, v5
.LBB65_31:
	v_cmp_gt_i32_e32 vcc, s30, v22
	s_and_saveexec_b64 s[6:7], vcc
	s_cbranch_execz .LBB65_34
; %bb.32:
	v_div_scale_f32 v1, s[6:7], v3, v3, 1.0
	v_div_scale_f32 v5, vcc, 1.0, v3, 1.0
	s_mul_i32 s33, s33, s30
	v_add_u32_e32 v7, s33, v22
	s_load_dword s4, s[4:5], 0xd4
	v_mul_lo_u32 v7, v7, s31
	v_add_u32_e32 v7, s34, v7
	s_waitcnt lgkmcnt(0)
	v_mul_lo_u32 v7, s4, v7
	s_cmp_lg_u32 s4, 1
	v_rcp_f32_e32 v6, v1
	v_fma_f32 v8, -v1, v6, 1.0
	v_fmac_f32_e32 v6, v8, v6
	v_mul_f32_e32 v8, v5, v6
	v_fma_f32 v9, -v1, v8, v5
	v_fmac_f32_e32 v8, v9, v6
	v_fma_f32 v1, -v1, v8, v5
	v_div_fmas_f32 v1, v1, v6, v8
	v_cmp_eq_u32_e32 vcc, 0, v0
	v_add_u32_e32 v0, s9, v7
	v_mov_b32_e32 v5, 0
	v_lshl_add_u32 v4, v0, 6, v4
	v_lshlrev_b64 v[4:5], 2, v[4:5]
	v_cvt_f32_f16_e32 v6, v25
	v_cvt_f32_f16_sdwa v8, v25 dst_sel:DWORD dst_unused:UNUSED_PAD src0_sel:WORD_1
	v_mov_b32_e32 v9, s25
	v_add_co_u32_e64 v4, s[4:5], s24, v4
	v_addc_co_u32_e64 v5, s[4:5], v9, v5, s[4:5]
	s_cselect_b64 s[4:5], -1, 0
	v_div_fixup_f32 v1, v1, v3, 1.0
	v_cndmask_b32_e64 v1, v1, 1.0, s[4:5]
	v_mul_f32_e32 v6, v1, v6
	v_mul_f32_e32 v7, v1, v8
	s_and_b64 s[4:5], vcc, s[4:5]
	global_store_dwordx2 v[4:5], v[6:7], off
	s_and_b64 exec, exec, s[4:5]
	s_cbranch_execz .LBB65_34
; %bb.33:
	v_ashrrev_i32_e32 v1, 31, v0
	v_lshlrev_b64 v[0:1], 3, v[0:1]
	v_mov_b32_e32 v4, s27
	v_add_co_u32_e32 v0, vcc, s26, v0
	v_addc_co_u32_e32 v1, vcc, v4, v1, vcc
	global_store_dwordx2 v[0:1], v[2:3], off
.LBB65_34:
	s_endpgm
	.section	.rodata,"a",@progbits
	.p2align	6, 0x0
	.amdhsa_kernel _ZL15flash_attn_tileILi64ELi64ELi4ELi1ELb0EEvPKcS1_S1_S1_S1_PKiPfP15HIP_vector_typeIfLj2EEffffjfiS5_IjLj3EEiiiiiiiiiiiliiliiiiil
		.amdhsa_group_segment_fixed_size 10240
		.amdhsa_private_segment_fixed_size 32
		.amdhsa_kernarg_size 464
		.amdhsa_user_sgpr_count 8
		.amdhsa_user_sgpr_private_segment_buffer 1
		.amdhsa_user_sgpr_dispatch_ptr 0
		.amdhsa_user_sgpr_queue_ptr 0
		.amdhsa_user_sgpr_kernarg_segment_ptr 1
		.amdhsa_user_sgpr_dispatch_id 0
		.amdhsa_user_sgpr_flat_scratch_init 1
		.amdhsa_user_sgpr_private_segment_size 0
		.amdhsa_uses_dynamic_stack 0
		.amdhsa_system_sgpr_private_segment_wavefront_offset 1
		.amdhsa_system_sgpr_workgroup_id_x 1
		.amdhsa_system_sgpr_workgroup_id_y 1
		.amdhsa_system_sgpr_workgroup_id_z 1
		.amdhsa_system_sgpr_workgroup_info 0
		.amdhsa_system_vgpr_workitem_id 1
		.amdhsa_next_free_vgpr 68
		.amdhsa_next_free_sgpr 96
		.amdhsa_reserve_vcc 1
		.amdhsa_reserve_flat_scratch 1
		.amdhsa_float_round_mode_32 0
		.amdhsa_float_round_mode_16_64 0
		.amdhsa_float_denorm_mode_32 3
		.amdhsa_float_denorm_mode_16_64 3
		.amdhsa_dx10_clamp 1
		.amdhsa_ieee_mode 1
		.amdhsa_fp16_overflow 0
		.amdhsa_exception_fp_ieee_invalid_op 0
		.amdhsa_exception_fp_denorm_src 0
		.amdhsa_exception_fp_ieee_div_zero 0
		.amdhsa_exception_fp_ieee_overflow 0
		.amdhsa_exception_fp_ieee_underflow 0
		.amdhsa_exception_fp_ieee_inexact 0
		.amdhsa_exception_int_div_zero 0
	.end_amdhsa_kernel
	.section	.text._ZL15flash_attn_tileILi64ELi64ELi4ELi1ELb0EEvPKcS1_S1_S1_S1_PKiPfP15HIP_vector_typeIfLj2EEffffjfiS5_IjLj3EEiiiiiiiiiiiliiliiiiil,"axG",@progbits,_ZL15flash_attn_tileILi64ELi64ELi4ELi1ELb0EEvPKcS1_S1_S1_S1_PKiPfP15HIP_vector_typeIfLj2EEffffjfiS5_IjLj3EEiiiiiiiiiiiliiliiiiil,comdat
.Lfunc_end65:
	.size	_ZL15flash_attn_tileILi64ELi64ELi4ELi1ELb0EEvPKcS1_S1_S1_S1_PKiPfP15HIP_vector_typeIfLj2EEffffjfiS5_IjLj3EEiiiiiiiiiiiliiliiiiil, .Lfunc_end65-_ZL15flash_attn_tileILi64ELi64ELi4ELi1ELb0EEvPKcS1_S1_S1_S1_PKiPfP15HIP_vector_typeIfLj2EEffffjfiS5_IjLj3EEiiiiiiiiiiiliiliiiiil
                                        ; -- End function
	.set _ZL15flash_attn_tileILi64ELi64ELi4ELi1ELb0EEvPKcS1_S1_S1_S1_PKiPfP15HIP_vector_typeIfLj2EEffffjfiS5_IjLj3EEiiiiiiiiiiiliiliiiiil.num_vgpr, 68
	.set _ZL15flash_attn_tileILi64ELi64ELi4ELi1ELb0EEvPKcS1_S1_S1_S1_PKiPfP15HIP_vector_typeIfLj2EEffffjfiS5_IjLj3EEiiiiiiiiiiiliiliiiiil.num_agpr, 0
	.set _ZL15flash_attn_tileILi64ELi64ELi4ELi1ELb0EEvPKcS1_S1_S1_S1_PKiPfP15HIP_vector_typeIfLj2EEffffjfiS5_IjLj3EEiiiiiiiiiiiliiliiiiil.numbered_sgpr, 52
	.set _ZL15flash_attn_tileILi64ELi64ELi4ELi1ELb0EEvPKcS1_S1_S1_S1_PKiPfP15HIP_vector_typeIfLj2EEffffjfiS5_IjLj3EEiiiiiiiiiiiliiliiiiil.num_named_barrier, 0
	.set _ZL15flash_attn_tileILi64ELi64ELi4ELi1ELb0EEvPKcS1_S1_S1_S1_PKiPfP15HIP_vector_typeIfLj2EEffffjfiS5_IjLj3EEiiiiiiiiiiiliiliiiiil.private_seg_size, 32
	.set _ZL15flash_attn_tileILi64ELi64ELi4ELi1ELb0EEvPKcS1_S1_S1_S1_PKiPfP15HIP_vector_typeIfLj2EEffffjfiS5_IjLj3EEiiiiiiiiiiiliiliiiiil.uses_vcc, 1
	.set _ZL15flash_attn_tileILi64ELi64ELi4ELi1ELb0EEvPKcS1_S1_S1_S1_PKiPfP15HIP_vector_typeIfLj2EEffffjfiS5_IjLj3EEiiiiiiiiiiiliiliiiiil.uses_flat_scratch, 1
	.set _ZL15flash_attn_tileILi64ELi64ELi4ELi1ELb0EEvPKcS1_S1_S1_S1_PKiPfP15HIP_vector_typeIfLj2EEffffjfiS5_IjLj3EEiiiiiiiiiiiliiliiiiil.has_dyn_sized_stack, 0
	.set _ZL15flash_attn_tileILi64ELi64ELi4ELi1ELb0EEvPKcS1_S1_S1_S1_PKiPfP15HIP_vector_typeIfLj2EEffffjfiS5_IjLj3EEiiiiiiiiiiiliiliiiiil.has_recursion, 0
	.set _ZL15flash_attn_tileILi64ELi64ELi4ELi1ELb0EEvPKcS1_S1_S1_S1_PKiPfP15HIP_vector_typeIfLj2EEffffjfiS5_IjLj3EEiiiiiiiiiiiliiliiiiil.has_indirect_call, 0
	.section	.AMDGPU.csdata,"",@progbits
; Kernel info:
; codeLenInByte = 10584
; TotalNumSgprs: 58
; NumVgprs: 68
; ScratchSize: 32
; MemoryBound: 0
; FloatMode: 240
; IeeeMode: 1
; LDSByteSize: 10240 bytes/workgroup (compile time only)
; SGPRBlocks: 12
; VGPRBlocks: 16
; NumSGPRsForWavesPerEU: 102
; NumVGPRsForWavesPerEU: 68
; Occupancy: 3
; WaveLimiterHint : 1
; COMPUTE_PGM_RSRC2:SCRATCH_EN: 1
; COMPUTE_PGM_RSRC2:USER_SGPR: 8
; COMPUTE_PGM_RSRC2:TRAP_HANDLER: 0
; COMPUTE_PGM_RSRC2:TGID_X_EN: 1
; COMPUTE_PGM_RSRC2:TGID_Y_EN: 1
; COMPUTE_PGM_RSRC2:TGID_Z_EN: 1
; COMPUTE_PGM_RSRC2:TIDIG_COMP_CNT: 1
	.section	.text._ZL33flash_attn_stream_k_fixup_uniformILi64ELi4ELi1EEvPfPK15HIP_vector_typeIfLj2EEiiiiiiS1_IjLj3EES5_S5_,"axG",@progbits,_ZL33flash_attn_stream_k_fixup_uniformILi64ELi4ELi1EEvPfPK15HIP_vector_typeIfLj2EEiiiiiiS1_IjLj3EES5_S5_,comdat
	.globl	_ZL33flash_attn_stream_k_fixup_uniformILi64ELi4ELi1EEvPfPK15HIP_vector_typeIfLj2EEiiiiiiS1_IjLj3EES5_S5_ ; -- Begin function _ZL33flash_attn_stream_k_fixup_uniformILi64ELi4ELi1EEvPfPK15HIP_vector_typeIfLj2EEiiiiiiS1_IjLj3EES5_S5_
	.p2align	8
	.type	_ZL33flash_attn_stream_k_fixup_uniformILi64ELi4ELi1EEvPfPK15HIP_vector_typeIfLj2EEiiiiiiS1_IjLj3EES5_S5_,@function
_ZL33flash_attn_stream_k_fixup_uniformILi64ELi4ELi1EEvPfPK15HIP_vector_typeIfLj2EEiiiiiiS1_IjLj3EES5_S5_: ; @_ZL33flash_attn_stream_k_fixup_uniformILi64ELi4ELi1EEvPfPK15HIP_vector_typeIfLj2EEiiiiiiS1_IjLj3EES5_S5_
; %bb.0:
	s_load_dwordx8 s[12:19], s[4:5], 0x1c
	s_load_dwordx2 s[10:11], s[4:5], 0x10
	s_load_dwordx4 s[0:3], s[4:5], 0x3c
	s_waitcnt lgkmcnt(0)
	s_mul_hi_u32 s9, s15, s6
	s_add_i32 s9, s6, s9
	s_lshr_b32 s9, s9, s16
	s_mul_i32 s15, s9, s17
	s_sub_i32 s15, s6, s15
	s_mul_hi_u32 s16, s15, s18
	s_add_i32 s16, s15, s16
	s_lshr_b32 s16, s16, s19
	s_mul_i32 s0, s16, s0
	s_sub_i32 s0, s15, s0
	;; [unrolled: 5-line block ×3, first 2 shown]
	s_lshl_b32 s0, s17, 2
	s_add_i32 s0, s0, s7
	s_cmp_lt_i32 s0, s10
	s_cselect_b64 s[0:1], -1, 0
	s_add_i32 s2, s15, s8
	s_cmp_lt_i32 s2, s13
	s_cselect_b64 s[2:3], -1, 0
	s_and_b64 s[0:1], s[0:1], s[2:3]
	s_andn2_b64 vcc, exec, s[0:1]
	s_cbranch_vccnz .LBB66_6
; %bb.1:
	s_load_dwordx4 s[0:3], s[4:5], 0x0
	s_mul_i32 s4, s9, s10
	s_add_i32 s4, s4, s7
	s_mul_i32 s4, s4, s11
	s_mul_i32 s16, s16, s13
	s_add_i32 s4, s4, s8
	s_add_i32 s4, s4, s16
	s_mul_i32 s5, s11, s17
	s_add_i32 s4, s4, s15
	s_lshl_b32 s5, s5, 8
	s_lshl_b32 s4, s4, 6
	s_add_i32 s5, s5, s4
	v_or_b32_e32 v1, s5, v0
	v_ashrrev_i32_e32 v2, 31, v1
	v_lshlrev_b64 v[1:2], 2, v[1:2]
	s_waitcnt lgkmcnt(0)
	v_mov_b32_e32 v3, s1
	v_add_co_u32_e32 v1, vcc, s0, v1
	v_addc_co_u32_e32 v2, vcc, v3, v2, vcc
	global_load_dword v8, v[1:2], off
	s_add_i32 s4, s7, s8
	s_mul_i32 s7, s14, s6
	s_add_i32 s5, s7, s14
	s_lshl_b32 s0, s5, 2
	s_add_i32 s0, s4, s0
	s_add_i32 s0, s0, -4
	s_ashr_i32 s1, s0, 31
	s_lshl_b64 s[0:1], s[0:1], 3
	s_add_u32 s0, s2, s0
	s_addc_u32 s1, s3, s1
	s_load_dword s10, s[0:1], 0x4
	s_add_i32 s8, s5, -2
	s_cmp_lt_i32 s8, s7
	s_cbranch_scc1 .LBB66_4
; %bb.2:
	s_lshl_b32 s8, s12, 4
	s_ashr_i32 s9, s8, 31
	s_lshl_b64 s[8:9], s[8:9], 2
	s_add_u32 s8, s2, s8
	s_addc_u32 s11, s3, s9
	s_add_i32 s6, s6, 1
	s_add_i32 s9, s5, -1
	s_mul_i32 s5, s14, s6
	s_load_dword s0, s[0:1], 0x0
	s_lshl_b32 s1, s4, 6
	s_lshl_b32 s6, s5, 8
	s_add_i32 s1, s1, s6
	v_or_b32_e32 v0, s1, v0
	s_lshl_b32 s1, s5, 2
	s_add_i32 s1, s4, s1
	s_lshl_b32 s4, s12, 2
	s_add_i32 s1, s1, s4
	v_add_u32_e32 v3, 0xfffffe00, v0
	s_add_i32 s4, s1, -8
	s_waitcnt lgkmcnt(0)
	v_mov_b32_e32 v7, s10
	v_mov_b32_e32 v6, s0
	;; [unrolled: 1-line block ×3, first 2 shown]
	s_mov_b32 s6, 0x3fb8aa3b
	s_mov_b32 s10, 0xc2ce8ed0
	;; [unrolled: 1-line block ×3, first 2 shown]
	v_mov_b32_e32 v5, 0x7f800000
	s_mov_b32 s12, 0xc1a00000
.LBB66_3:                               ; =>This Inner Loop Header: Depth=1
	v_ashrrev_i32_e32 v4, 31, v3
	v_lshlrev_b64 v[9:10], 2, v[3:4]
	s_ashr_i32 s5, s4, 31
	v_add_co_u32_e32 v9, vcc, s8, v9
	v_addc_co_u32_e32 v10, vcc, v0, v10, vcc
	global_load_dword v4, v[9:10], off
	s_lshl_b64 s[0:1], s[4:5], 3
	s_add_u32 s0, s2, s0
	s_addc_u32 s1, s3, s1
	s_load_dwordx2 s[14:15], s[0:1], 0x0
	s_waitcnt vmcnt(1)
	v_mov_b32_e32 v9, v8
	v_max_f32_e32 v8, v6, v6
	v_mov_b32_e32 v10, v7
	s_add_i32 s9, s9, -1
	s_waitcnt lgkmcnt(0)
	v_max_f32_e64 v7, s14, s14
	v_max_f32_e32 v7, v8, v7
	v_sub_f32_e32 v11, s14, v7
	v_sub_f32_e32 v8, v6, v7
	v_mul_f32_e32 v12, 0x3fb8aa3b, v11
	v_mov_b32_e32 v6, v7
	v_mul_f32_e32 v7, 0x3fb8aa3b, v8
	v_fma_f32 v15, v11, s6, -v12
	v_rndne_f32_e32 v16, v12
	v_fma_f32 v13, v8, s6, -v7
	v_rndne_f32_e32 v14, v7
	v_fmac_f32_e32 v15, 0x32a5705f, v11
	v_sub_f32_e32 v12, v12, v16
	v_fmac_f32_e32 v13, 0x32a5705f, v8
	v_sub_f32_e32 v7, v7, v14
	v_add_f32_e32 v12, v12, v15
	v_cvt_i32_f32_e32 v16, v16
	v_add_f32_e32 v7, v7, v13
	v_exp_f32_e32 v12, v12
	v_cvt_i32_f32_e32 v14, v14
	v_exp_f32_e32 v7, v7
	v_cmp_ngt_f32_e32 vcc, s10, v11
	v_ldexp_f32 v12, v12, v16
	v_cmp_ngt_f32_e64 s[0:1], s10, v8
	v_ldexp_f32 v7, v7, v14
	v_cndmask_b32_e32 v12, 0, v12, vcc
	v_cmp_nlt_f32_e32 vcc, s11, v11
	v_cndmask_b32_e64 v7, 0, v7, s[0:1]
	v_cmp_nlt_f32_e64 s[0:1], s11, v8
	v_cndmask_b32_e32 v12, v5, v12, vcc
	v_cmp_le_f32_e32 vcc, s12, v11
	v_cndmask_b32_e64 v7, v5, v7, s[0:1]
	v_cmp_le_f32_e64 s[0:1], s12, v8
	v_cndmask_b32_e32 v8, 0, v12, vcc
	s_add_i32 s4, s4, -4
	v_cndmask_b32_e64 v11, 0, v7, s[0:1]
	v_mul_f32_e32 v7, s15, v8
	v_add_u32_e32 v3, 0xffffff00, v3
	s_cmp_le_i32 s9, s7
	v_fmac_f32_e32 v7, v10, v11
	s_waitcnt vmcnt(0)
	v_mul_f32_e32 v8, v4, v8
	v_fmac_f32_e32 v8, v9, v11
	s_cbranch_scc0 .LBB66_3
	s_branch .LBB66_5
.LBB66_4:
	s_waitcnt lgkmcnt(0)
	v_mov_b32_e32 v7, s10
.LBB66_5:
	s_waitcnt vmcnt(0)
	v_div_scale_f32 v0, s[0:1], v7, v7, v8
	v_div_scale_f32 v3, vcc, v8, v7, v8
	v_rcp_f32_e32 v4, v0
	v_fma_f32 v5, -v0, v4, 1.0
	v_fmac_f32_e32 v4, v5, v4
	v_mul_f32_e32 v5, v3, v4
	v_fma_f32 v6, -v0, v5, v3
	v_fmac_f32_e32 v5, v6, v4
	v_fma_f32 v0, -v0, v5, v3
	v_div_fmas_f32 v0, v0, v4, v5
	v_div_fixup_f32 v0, v0, v7, v8
	global_store_dword v[1:2], v0, off
.LBB66_6:
	s_endpgm
	.section	.rodata,"a",@progbits
	.p2align	6, 0x0
	.amdhsa_kernel _ZL33flash_attn_stream_k_fixup_uniformILi64ELi4ELi1EEvPfPK15HIP_vector_typeIfLj2EEiiiiiiS1_IjLj3EES5_S5_
		.amdhsa_group_segment_fixed_size 0
		.amdhsa_private_segment_fixed_size 0
		.amdhsa_kernarg_size 76
		.amdhsa_user_sgpr_count 6
		.amdhsa_user_sgpr_private_segment_buffer 1
		.amdhsa_user_sgpr_dispatch_ptr 0
		.amdhsa_user_sgpr_queue_ptr 0
		.amdhsa_user_sgpr_kernarg_segment_ptr 1
		.amdhsa_user_sgpr_dispatch_id 0
		.amdhsa_user_sgpr_flat_scratch_init 0
		.amdhsa_user_sgpr_private_segment_size 0
		.amdhsa_uses_dynamic_stack 0
		.amdhsa_system_sgpr_private_segment_wavefront_offset 0
		.amdhsa_system_sgpr_workgroup_id_x 1
		.amdhsa_system_sgpr_workgroup_id_y 1
		.amdhsa_system_sgpr_workgroup_id_z 1
		.amdhsa_system_sgpr_workgroup_info 0
		.amdhsa_system_vgpr_workitem_id 0
		.amdhsa_next_free_vgpr 17
		.amdhsa_next_free_sgpr 20
		.amdhsa_reserve_vcc 1
		.amdhsa_reserve_flat_scratch 0
		.amdhsa_float_round_mode_32 0
		.amdhsa_float_round_mode_16_64 0
		.amdhsa_float_denorm_mode_32 3
		.amdhsa_float_denorm_mode_16_64 3
		.amdhsa_dx10_clamp 1
		.amdhsa_ieee_mode 1
		.amdhsa_fp16_overflow 0
		.amdhsa_exception_fp_ieee_invalid_op 0
		.amdhsa_exception_fp_denorm_src 0
		.amdhsa_exception_fp_ieee_div_zero 0
		.amdhsa_exception_fp_ieee_overflow 0
		.amdhsa_exception_fp_ieee_underflow 0
		.amdhsa_exception_fp_ieee_inexact 0
		.amdhsa_exception_int_div_zero 0
	.end_amdhsa_kernel
	.section	.text._ZL33flash_attn_stream_k_fixup_uniformILi64ELi4ELi1EEvPfPK15HIP_vector_typeIfLj2EEiiiiiiS1_IjLj3EES5_S5_,"axG",@progbits,_ZL33flash_attn_stream_k_fixup_uniformILi64ELi4ELi1EEvPfPK15HIP_vector_typeIfLj2EEiiiiiiS1_IjLj3EES5_S5_,comdat
.Lfunc_end66:
	.size	_ZL33flash_attn_stream_k_fixup_uniformILi64ELi4ELi1EEvPfPK15HIP_vector_typeIfLj2EEiiiiiiS1_IjLj3EES5_S5_, .Lfunc_end66-_ZL33flash_attn_stream_k_fixup_uniformILi64ELi4ELi1EEvPfPK15HIP_vector_typeIfLj2EEiiiiiiS1_IjLj3EES5_S5_
                                        ; -- End function
	.set _ZL33flash_attn_stream_k_fixup_uniformILi64ELi4ELi1EEvPfPK15HIP_vector_typeIfLj2EEiiiiiiS1_IjLj3EES5_S5_.num_vgpr, 17
	.set _ZL33flash_attn_stream_k_fixup_uniformILi64ELi4ELi1EEvPfPK15HIP_vector_typeIfLj2EEiiiiiiS1_IjLj3EES5_S5_.num_agpr, 0
	.set _ZL33flash_attn_stream_k_fixup_uniformILi64ELi4ELi1EEvPfPK15HIP_vector_typeIfLj2EEiiiiiiS1_IjLj3EES5_S5_.numbered_sgpr, 20
	.set _ZL33flash_attn_stream_k_fixup_uniformILi64ELi4ELi1EEvPfPK15HIP_vector_typeIfLj2EEiiiiiiS1_IjLj3EES5_S5_.num_named_barrier, 0
	.set _ZL33flash_attn_stream_k_fixup_uniformILi64ELi4ELi1EEvPfPK15HIP_vector_typeIfLj2EEiiiiiiS1_IjLj3EES5_S5_.private_seg_size, 0
	.set _ZL33flash_attn_stream_k_fixup_uniformILi64ELi4ELi1EEvPfPK15HIP_vector_typeIfLj2EEiiiiiiS1_IjLj3EES5_S5_.uses_vcc, 1
	.set _ZL33flash_attn_stream_k_fixup_uniformILi64ELi4ELi1EEvPfPK15HIP_vector_typeIfLj2EEiiiiiiS1_IjLj3EES5_S5_.uses_flat_scratch, 0
	.set _ZL33flash_attn_stream_k_fixup_uniformILi64ELi4ELi1EEvPfPK15HIP_vector_typeIfLj2EEiiiiiiS1_IjLj3EES5_S5_.has_dyn_sized_stack, 0
	.set _ZL33flash_attn_stream_k_fixup_uniformILi64ELi4ELi1EEvPfPK15HIP_vector_typeIfLj2EEiiiiiiS1_IjLj3EES5_S5_.has_recursion, 0
	.set _ZL33flash_attn_stream_k_fixup_uniformILi64ELi4ELi1EEvPfPK15HIP_vector_typeIfLj2EEiiiiiiS1_IjLj3EES5_S5_.has_indirect_call, 0
	.section	.AMDGPU.csdata,"",@progbits
; Kernel info:
; codeLenInByte = 836
; TotalNumSgprs: 24
; NumVgprs: 17
; ScratchSize: 0
; MemoryBound: 0
; FloatMode: 240
; IeeeMode: 1
; LDSByteSize: 0 bytes/workgroup (compile time only)
; SGPRBlocks: 2
; VGPRBlocks: 4
; NumSGPRsForWavesPerEU: 24
; NumVGPRsForWavesPerEU: 17
; Occupancy: 10
; WaveLimiterHint : 0
; COMPUTE_PGM_RSRC2:SCRATCH_EN: 0
; COMPUTE_PGM_RSRC2:USER_SGPR: 6
; COMPUTE_PGM_RSRC2:TRAP_HANDLER: 0
; COMPUTE_PGM_RSRC2:TGID_X_EN: 1
; COMPUTE_PGM_RSRC2:TGID_Y_EN: 1
; COMPUTE_PGM_RSRC2:TGID_Z_EN: 1
; COMPUTE_PGM_RSRC2:TIDIG_COMP_CNT: 0
	.section	.text._ZL33flash_attn_stream_k_fixup_generalILi64ELi4ELi1EEvPfPK15HIP_vector_typeIfLj2EEiiiiS1_IjLj3EES5_S5_S5_,"axG",@progbits,_ZL33flash_attn_stream_k_fixup_generalILi64ELi4ELi1EEvPfPK15HIP_vector_typeIfLj2EEiiiiS1_IjLj3EES5_S5_S5_,comdat
	.globl	_ZL33flash_attn_stream_k_fixup_generalILi64ELi4ELi1EEvPfPK15HIP_vector_typeIfLj2EEiiiiS1_IjLj3EES5_S5_S5_ ; -- Begin function _ZL33flash_attn_stream_k_fixup_generalILi64ELi4ELi1EEvPfPK15HIP_vector_typeIfLj2EEiiiiS1_IjLj3EES5_S5_S5_
	.p2align	8
	.type	_ZL33flash_attn_stream_k_fixup_generalILi64ELi4ELi1EEvPfPK15HIP_vector_typeIfLj2EEiiiiS1_IjLj3EES5_S5_S5_,@function
_ZL33flash_attn_stream_k_fixup_generalILi64ELi4ELi1EEvPfPK15HIP_vector_typeIfLj2EEiiiiS1_IjLj3EES5_S5_S5_: ; @_ZL33flash_attn_stream_k_fixup_generalILi64ELi4ELi1EEvPfPK15HIP_vector_typeIfLj2EEiiiiS1_IjLj3EES5_S5_S5_
; %bb.0:
	s_load_dwordx4 s[0:3], s[4:5], 0x10
	s_load_dword s22, s[4:5], 0x50
	s_mov_b32 s12, 0
	s_waitcnt lgkmcnt(0)
	s_mul_hi_i32 s13, s3, s6
	s_cmp_lg_u64 s[12:13], 0
	s_mul_i32 s9, s3, s6
	s_cbranch_scc0 .LBB67_20
; %bb.1:
	s_add_u32 s10, s22, 0
	s_addc_u32 s11, 0, 0
	s_xor_b64 s[10:11], s[10:11], 0
	v_cvt_f32_u32_e32 v1, s10
	v_cvt_f32_u32_e32 v2, s11
	s_sub_u32 s12, 0, s10
	s_subb_u32 s18, 0, s11
	v_madmk_f32 v1, v2, 0x4f800000, v1
	v_rcp_f32_e32 v1, v1
	v_mul_f32_e32 v1, 0x5f7ffffc, v1
	v_mul_f32_e32 v2, 0x2f800000, v1
	v_trunc_f32_e32 v2, v2
	v_madmk_f32 v1, v2, 0xcf800000, v1
	v_cvt_u32_f32_e32 v2, v2
	v_cvt_u32_f32_e32 v1, v1
	v_readfirstlane_b32 s19, v2
	v_readfirstlane_b32 s14, v1
	s_mul_i32 s15, s12, s19
	s_mul_hi_u32 s21, s12, s14
	s_mul_i32 s20, s18, s14
	s_add_i32 s15, s21, s15
	s_add_i32 s15, s15, s20
	s_mul_i32 s23, s12, s14
	s_mul_i32 s21, s14, s15
	s_mul_hi_u32 s24, s14, s23
	s_mul_hi_u32 s20, s14, s15
	s_add_u32 s21, s24, s21
	s_addc_u32 s20, 0, s20
	s_mul_hi_u32 s25, s19, s23
	s_mul_i32 s23, s19, s23
	s_add_u32 s21, s21, s23
	s_mul_hi_u32 s24, s19, s15
	s_addc_u32 s20, s20, s25
	s_addc_u32 s21, s24, 0
	s_mul_i32 s15, s19, s15
	s_add_u32 s15, s20, s15
	s_addc_u32 s20, 0, s21
	s_add_u32 s21, s14, s15
	s_cselect_b64 s[14:15], -1, 0
	s_cmp_lg_u64 s[14:15], 0
	s_addc_u32 s19, s19, s20
	s_mul_i32 s14, s12, s19
	s_mul_hi_u32 s15, s12, s21
	s_add_i32 s14, s15, s14
	s_mul_i32 s18, s18, s21
	s_add_i32 s14, s14, s18
	s_mul_i32 s12, s12, s21
	s_mul_hi_u32 s18, s19, s12
	s_mul_i32 s20, s19, s12
	s_mul_i32 s24, s21, s14
	s_mul_hi_u32 s12, s21, s12
	s_mul_hi_u32 s23, s21, s14
	s_add_u32 s12, s12, s24
	s_addc_u32 s23, 0, s23
	s_add_u32 s12, s12, s20
	s_mul_hi_u32 s15, s19, s14
	s_addc_u32 s12, s23, s18
	s_addc_u32 s15, s15, 0
	s_mul_i32 s14, s19, s14
	s_add_u32 s12, s12, s14
	s_addc_u32 s18, 0, s15
	s_add_u32 s20, s21, s12
	s_cselect_b64 s[14:15], -1, 0
	s_cmp_lg_u64 s[14:15], 0
	s_addc_u32 s18, s19, s18
	s_ashr_i32 s14, s13, 31
	s_add_u32 s12, s9, s14
	s_mov_b32 s15, s14
	s_addc_u32 s13, s13, s14
	s_xor_b64 s[12:13], s[12:13], s[14:15]
	s_mul_i32 s21, s12, s18
	s_mul_hi_u32 s23, s12, s20
	s_mul_hi_u32 s19, s12, s18
	s_add_u32 s21, s23, s21
	s_addc_u32 s19, 0, s19
	s_mul_hi_u32 s24, s13, s20
	s_mul_i32 s20, s13, s20
	s_add_u32 s20, s21, s20
	s_mul_hi_u32 s23, s13, s18
	s_addc_u32 s19, s19, s24
	s_addc_u32 s20, s23, 0
	s_mul_i32 s18, s13, s18
	s_add_u32 s23, s19, s18
	s_addc_u32 s24, 0, s20
	s_mul_i32 s18, s10, s24
	s_mul_hi_u32 s19, s10, s23
	s_add_i32 s18, s19, s18
	s_mul_i32 s19, s11, s23
	s_add_i32 s25, s18, s19
	s_sub_i32 s20, s13, s25
	s_mul_i32 s18, s10, s23
	s_sub_u32 s12, s12, s18
	s_cselect_b64 s[18:19], -1, 0
	s_cmp_lg_u64 s[18:19], 0
	s_subb_u32 s26, s20, s11
	s_sub_u32 s27, s12, s10
	s_cselect_b64 s[20:21], -1, 0
	s_cmp_lg_u64 s[20:21], 0
	s_subb_u32 s20, s26, 0
	s_cmp_ge_u32 s20, s11
	s_cselect_b32 s21, -1, 0
	s_cmp_ge_u32 s27, s10
	s_cselect_b32 s26, -1, 0
	s_cmp_eq_u32 s20, s11
	s_cselect_b32 s20, s26, s21
	s_add_u32 s21, s23, 1
	s_addc_u32 s26, s24, 0
	s_add_u32 s27, s23, 2
	s_addc_u32 s28, s24, 0
	s_cmp_lg_u32 s20, 0
	s_cselect_b32 s20, s27, s21
	s_cselect_b32 s21, s28, s26
	s_cmp_lg_u64 s[18:19], 0
	s_subb_u32 s13, s13, s25
	s_cmp_ge_u32 s13, s11
	s_cselect_b32 s18, -1, 0
	s_cmp_ge_u32 s12, s10
	s_cselect_b32 s10, -1, 0
	s_cmp_eq_u32 s13, s11
	s_cselect_b32 s10, s10, s18
	s_cmp_lg_u32 s10, 0
	s_cselect_b32 s11, s21, s24
	s_cselect_b32 s10, s20, s23
	s_xor_b64 s[12:13], s[14:15], 0
	s_xor_b64 s[10:11], s[10:11], s[12:13]
	s_sub_u32 s10, s10, s12
	s_load_dwordx4 s[12:15], s[4:5], 0x44
	s_cbranch_execnz .LBB67_3
.LBB67_2:
	v_cvt_f32_u32_e32 v1, s22
	s_sub_i32 s10, 0, s22
	v_rcp_iflag_f32_e32 v1, v1
	v_mul_f32_e32 v1, 0x4f7ffffe, v1
	v_cvt_u32_f32_e32 v1, v1
	v_readfirstlane_b32 s11, v1
	s_mul_i32 s10, s10, s11
	s_mul_hi_u32 s10, s11, s10
	s_add_i32 s11, s11, s10
	s_mul_hi_u32 s10, s9, s11
	s_waitcnt lgkmcnt(0)
	s_mul_i32 s15, s10, s22
	s_sub_i32 s9, s9, s15
	s_add_i32 s11, s10, 1
	s_sub_i32 s15, s9, s22
	s_cmp_ge_u32 s9, s22
	s_cselect_b32 s10, s11, s10
	s_cselect_b32 s9, s15, s9
	s_add_i32 s11, s10, 1
	s_cmp_ge_u32 s9, s22
	s_cselect_b32 s10, s11, s10
.LBB67_3:
	s_add_i32 s9, s6, 1
	s_mul_hi_i32 s21, s3, s9
	s_mov_b32 s20, 0
	s_cmp_lg_u64 s[20:21], 0
	s_mul_i32 s9, s3, s9
	s_cbranch_scc0 .LBB67_21
; %bb.4:
	s_add_u32 s16, s22, 0
	s_addc_u32 s17, 0, 0
	s_xor_b64 s[18:19], s[16:17], 0
	v_cvt_f32_u32_e32 v1, s18
	v_cvt_f32_u32_e32 v2, s19
	s_sub_u32 s11, 0, s18
	s_waitcnt lgkmcnt(0)
	s_subb_u32 s15, 0, s19
	v_madmk_f32 v1, v2, 0x4f800000, v1
	v_rcp_f32_e32 v1, v1
	v_mul_f32_e32 v1, 0x5f7ffffc, v1
	v_mul_f32_e32 v2, 0x2f800000, v1
	v_trunc_f32_e32 v2, v2
	v_madmk_f32 v1, v2, 0xcf800000, v1
	v_cvt_u32_f32_e32 v2, v2
	v_cvt_u32_f32_e32 v1, v1
	v_readfirstlane_b32 s20, v2
	v_readfirstlane_b32 s23, v1
	s_mul_i32 s24, s11, s20
	s_mul_hi_u32 s26, s11, s23
	s_mul_i32 s25, s15, s23
	s_add_i32 s24, s26, s24
	s_add_i32 s24, s24, s25
	s_mul_i32 s27, s11, s23
	s_mul_i32 s26, s23, s24
	s_mul_hi_u32 s28, s23, s27
	s_mul_hi_u32 s25, s23, s24
	s_add_u32 s26, s28, s26
	s_addc_u32 s25, 0, s25
	s_mul_hi_u32 s29, s20, s27
	s_mul_i32 s27, s20, s27
	s_add_u32 s26, s26, s27
	s_mul_hi_u32 s28, s20, s24
	s_addc_u32 s25, s25, s29
	s_addc_u32 s26, s28, 0
	s_mul_i32 s24, s20, s24
	s_add_u32 s24, s25, s24
	s_addc_u32 s26, 0, s26
	s_add_u32 s23, s23, s24
	s_cselect_b64 s[24:25], -1, 0
	s_cmp_lg_u64 s[24:25], 0
	s_addc_u32 s20, s20, s26
	s_mul_i32 s24, s11, s20
	s_mul_hi_u32 s25, s11, s23
	s_add_i32 s24, s25, s24
	s_mul_i32 s15, s15, s23
	s_add_i32 s24, s24, s15
	s_mul_i32 s11, s11, s23
	s_mul_hi_u32 s25, s20, s11
	s_mul_i32 s26, s20, s11
	s_mul_i32 s28, s23, s24
	s_mul_hi_u32 s11, s23, s11
	s_mul_hi_u32 s27, s23, s24
	s_add_u32 s11, s11, s28
	s_addc_u32 s27, 0, s27
	s_add_u32 s11, s11, s26
	s_mul_hi_u32 s15, s20, s24
	s_addc_u32 s11, s27, s25
	s_addc_u32 s15, s15, 0
	s_mul_i32 s24, s20, s24
	s_add_u32 s11, s11, s24
	s_addc_u32 s15, 0, s15
	s_add_u32 s11, s23, s11
	s_cselect_b64 s[24:25], -1, 0
	s_cmp_lg_u64 s[24:25], 0
	s_addc_u32 s15, s20, s15
	s_ashr_i32 s24, s21, 31
	s_add_u32 s20, s9, s24
	s_mov_b32 s25, s24
	s_addc_u32 s21, s21, s24
	s_xor_b64 s[20:21], s[20:21], s[24:25]
	s_mul_i32 s26, s20, s15
	s_mul_hi_u32 s27, s20, s11
	s_mul_hi_u32 s23, s20, s15
	s_add_u32 s26, s27, s26
	s_addc_u32 s23, 0, s23
	s_mul_hi_u32 s28, s21, s11
	s_mul_i32 s11, s21, s11
	s_add_u32 s11, s26, s11
	s_mul_hi_u32 s27, s21, s15
	s_addc_u32 s11, s23, s28
	s_addc_u32 s23, s27, 0
	s_mul_i32 s15, s21, s15
	s_add_u32 s11, s11, s15
	s_addc_u32 s15, 0, s23
	s_mul_i32 s23, s18, s15
	s_mul_hi_u32 s26, s18, s11
	s_add_i32 s23, s26, s23
	s_mul_i32 s26, s19, s11
	s_add_i32 s23, s23, s26
	s_sub_i32 s28, s21, s23
	s_mul_i32 s26, s18, s11
	s_sub_u32 s20, s20, s26
	s_cselect_b64 s[26:27], -1, 0
	s_cmp_lg_u64 s[26:27], 0
	s_subb_u32 s30, s28, s19
	s_sub_u32 s31, s20, s18
	s_cselect_b64 s[28:29], -1, 0
	s_cmp_lg_u64 s[28:29], 0
	s_subb_u32 s28, s30, 0
	s_cmp_ge_u32 s28, s19
	s_cselect_b32 s29, -1, 0
	s_cmp_ge_u32 s31, s18
	s_cselect_b32 s30, -1, 0
	s_cmp_eq_u32 s28, s19
	s_cselect_b32 s28, s30, s29
	s_add_u32 s29, s11, 1
	s_addc_u32 s30, s15, 0
	s_add_u32 s31, s11, 2
	s_addc_u32 s33, s15, 0
	s_cmp_lg_u32 s28, 0
	s_cselect_b32 s28, s31, s29
	s_cselect_b32 s29, s33, s30
	s_cmp_lg_u64 s[26:27], 0
	s_subb_u32 s21, s21, s23
	s_cmp_ge_u32 s21, s19
	s_cselect_b32 s23, -1, 0
	s_cmp_ge_u32 s20, s18
	s_cselect_b32 s18, -1, 0
	s_cmp_eq_u32 s21, s19
	s_cselect_b32 s18, s18, s23
	s_cmp_lg_u32 s18, 0
	s_cselect_b32 s19, s29, s15
	s_cselect_b32 s18, s28, s11
	s_xor_b64 s[20:21], s[24:25], 0
	s_xor_b64 s[18:19], s[18:19], s[20:21]
	s_sub_u32 s18, s18, s20
	s_cbranch_execnz .LBB67_6
.LBB67_5:
	v_cvt_f32_u32_e32 v1, s22
	s_sub_i32 s11, 0, s22
	v_rcp_iflag_f32_e32 v1, v1
	v_mul_f32_e32 v1, 0x4f7ffffe, v1
	v_cvt_u32_f32_e32 v1, v1
	s_waitcnt lgkmcnt(0)
	v_readfirstlane_b32 s15, v1
	s_mul_i32 s11, s11, s15
	s_mul_hi_u32 s11, s15, s11
	s_add_i32 s15, s15, s11
	s_mul_hi_u32 s11, s9, s15
	s_mul_i32 s16, s11, s22
	s_sub_i32 s9, s9, s16
	s_add_i32 s15, s11, 1
	s_sub_i32 s16, s9, s22
	s_cmp_ge_u32 s9, s22
	s_cselect_b32 s11, s15, s11
	s_cselect_b32 s9, s16, s9
	s_add_i32 s15, s11, 1
	s_cmp_ge_u32 s9, s22
	s_cselect_b32 s18, s15, s11
.LBB67_6:
	s_cmp_eq_u32 s10, s18
	s_waitcnt lgkmcnt(0)
	s_mul_hi_u32 s9, s10, s12
	s_cselect_b64 s[16:17], -1, 0
	s_add_i32 s9, s9, s10
	s_lshr_b32 s11, s9, s13
	s_mul_i32 s9, s11, s14
	s_cmp_eq_u32 s9, s10
	s_mul_hi_u32 s9, s18, s12
	s_cselect_b64 s[20:21], -1, 0
	s_add_i32 s9, s9, s18
	s_lshr_b32 s9, s9, s13
	s_cmp_eq_u32 s11, s9
	s_mul_i32 s9, s9, s14
	s_cselect_b64 s[24:25], -1, 0
	s_cmp_lg_u32 s9, s18
	s_cselect_b64 s[18:19], -1, 0
	s_and_b64 s[18:19], s[24:25], s[18:19]
	s_or_b64 s[16:17], s[16:17], s[20:21]
	s_or_b64 s[16:17], s[16:17], s[18:19]
	s_and_b64 vcc, exec, s[16:17]
	s_cbranch_vccnz .LBB67_23
; %bb.7:
	s_load_dwordx8 s[24:31], s[4:5], 0x20
	s_load_dword s15, s[4:5], 0x40
	s_waitcnt lgkmcnt(0)
	s_mul_hi_u32 s9, s10, s24
	s_add_i32 s9, s9, s10
	s_lshr_b32 s9, s9, s25
	s_mul_i32 s16, s9, s26
	s_sub_i32 s16, s10, s16
	s_mul_hi_u32 s17, s16, s27
	s_add_i32 s17, s16, s17
	s_lshr_b32 s24, s17, s28
	s_mul_i32 s17, s24, s29
	s_sub_i32 s16, s16, s17
	;; [unrolled: 5-line block ×3, first 2 shown]
	s_mul_hi_u32 s16, s15, s12
	s_add_i32 s15, s15, s16
	s_lshr_b32 s25, s15, s13
	s_lshl_b32 s15, s25, 2
	s_add_i32 s15, s15, s7
	s_cmp_lt_i32 s15, s0
	s_cselect_b64 s[16:17], -1, 0
	s_add_i32 s15, s23, s8
	s_cmp_lt_i32 s15, s2
	s_cselect_b64 s[18:19], -1, 0
	s_and_b64 s[16:17], s[16:17], s[18:19]
	s_andn2_b64 vcc, exec, s[16:17]
	s_cbranch_vccnz .LBB67_23
; %bb.8:
	s_load_dwordx4 s[16:19], s[4:5], 0x0
	s_mov_b32 s4, 0
	s_lshl_b32 s20, s22, 4
	s_mov_b32 s21, s4
	s_add_i32 s15, s7, s8
	s_lshl_b64 s[20:21], s[20:21], 2
	s_waitcnt lgkmcnt(0)
	s_add_u32 s20, s18, s20
	s_mul_i32 s0, s9, s0
	s_addc_u32 s21, s19, s21
	s_add_i32 s0, s0, s7
	s_mul_i32 s0, s0, s1
	s_mul_i32 s24, s24, s2
	s_add_i32 s0, s0, s8
	s_add_i32 s0, s0, s24
	s_mul_i32 s2, s1, s25
	s_add_i32 s0, s0, s23
	s_lshl_b32 s2, s2, 8
	s_lshl_b32 s0, s0, 6
	s_add_i32 s2, s2, s0
	v_or_b32_e32 v1, s2, v0
	v_ashrrev_i32_e32 v2, 31, v1
	v_lshlrev_b64 v[1:2], 2, v[1:2]
	v_mov_b32_e32 v3, s17
	v_add_co_u32_e32 v1, vcc, s16, v1
	v_addc_co_u32_e32 v2, vcc, v3, v2, vcc
	global_load_dword v3, v[1:2], off
	v_cvt_f32_u32_e32 v4, s22
	s_lshl_b32 s0, s6, 2
	s_add_i32 s0, s0, s15
	s_ashr_i32 s1, s0, 31
	s_lshl_b64 s[0:1], s[0:1], 3
	v_rcp_iflag_f32_e32 v4, v4
	s_add_u32 s0, s18, s0
	s_addc_u32 s1, s19, s1
	s_load_dwordx2 s[0:1], s[0:1], 0x0
	v_mul_f32_e32 v4, 0x4f7ffffe, v4
	v_cvt_u32_f32_e32 v4, v4
	s_add_i32 s24, s6, -1
	v_lshl_or_b32 v0, s15, 6, v0
	s_waitcnt lgkmcnt(0)
	v_mov_b32_e32 v6, s1
	v_mov_b32_e32 v7, s0
	s_mov_b32 s2, 0x3fb8aa3b
	s_mov_b32 s16, 0xc2ce8ed0
	s_mov_b32 s17, 0x42b17218
	s_mov_b32 s23, 0xc1a00000
	v_mov_b32_e32 v5, 0x7f800000
	s_mul_hi_i32 s5, s24, s3
	s_cmp_lg_u64 s[4:5], 0
	s_mul_i32 s8, s24, s3
	s_cbranch_scc0 .LBB67_19
.LBB67_9:
	s_add_u32 s0, s22, 0
	s_addc_u32 s1, 0, 0
	s_xor_b64 s[0:1], s[0:1], 0
	v_cvt_f32_u32_e32 v8, s0
	v_cvt_f32_u32_e32 v9, s1
	s_sub_u32 s9, 0, s0
	s_subb_u32 s25, 0, s1
	v_mac_f32_e32 v8, 0x4f800000, v9
	v_rcp_f32_e32 v8, v8
	v_mul_f32_e32 v8, 0x5f7ffffc, v8
	v_mul_f32_e32 v9, 0x2f800000, v8
	v_trunc_f32_e32 v9, v9
	v_mac_f32_e32 v8, 0xcf800000, v9
	v_cvt_u32_f32_e32 v9, v9
	v_cvt_u32_f32_e32 v8, v8
	v_readfirstlane_b32 s26, v9
	v_readfirstlane_b32 s6, v8
	s_mul_i32 s7, s9, s26
	s_mul_hi_u32 s28, s9, s6
	s_mul_i32 s27, s25, s6
	s_add_i32 s7, s28, s7
	s_mul_i32 s29, s9, s6
	s_add_i32 s7, s7, s27
	s_mul_i32 s28, s6, s7
	s_mul_hi_u32 s30, s6, s29
	s_mul_hi_u32 s27, s6, s7
	s_add_u32 s28, s30, s28
	s_addc_u32 s27, 0, s27
	s_mul_hi_u32 s31, s26, s29
	s_mul_i32 s29, s26, s29
	s_add_u32 s28, s28, s29
	s_mul_hi_u32 s30, s26, s7
	s_addc_u32 s27, s27, s31
	s_addc_u32 s28, s30, 0
	s_mul_i32 s7, s26, s7
	s_add_u32 s7, s27, s7
	s_addc_u32 s27, 0, s28
	s_add_u32 s28, s6, s7
	s_cselect_b64 s[6:7], -1, 0
	s_cmp_lg_u64 s[6:7], 0
	s_addc_u32 s26, s26, s27
	s_mul_i32 s6, s9, s26
	s_mul_hi_u32 s7, s9, s28
	s_add_i32 s6, s7, s6
	s_mul_i32 s25, s25, s28
	s_add_i32 s6, s6, s25
	s_mul_i32 s9, s9, s28
	s_mul_hi_u32 s25, s26, s9
	s_mul_i32 s27, s26, s9
	s_mul_i32 s30, s28, s6
	s_mul_hi_u32 s9, s28, s9
	s_mul_hi_u32 s29, s28, s6
	s_add_u32 s9, s9, s30
	s_addc_u32 s29, 0, s29
	s_add_u32 s9, s9, s27
	s_mul_hi_u32 s7, s26, s6
	s_addc_u32 s9, s29, s25
	s_addc_u32 s7, s7, 0
	s_mul_i32 s6, s26, s6
	s_add_u32 s6, s9, s6
	s_addc_u32 s9, 0, s7
	s_add_u32 s25, s28, s6
	s_cselect_b64 s[6:7], -1, 0
	s_cmp_lg_u64 s[6:7], 0
	s_addc_u32 s9, s26, s9
	s_ashr_i32 s6, s5, 31
	s_add_u32 s26, s8, s6
	s_mov_b32 s7, s6
	s_addc_u32 s27, s5, s6
	s_xor_b64 s[26:27], s[26:27], s[6:7]
	s_mul_i32 s28, s26, s9
	s_mul_hi_u32 s29, s26, s25
	s_mul_hi_u32 s5, s26, s9
	s_add_u32 s28, s29, s28
	s_addc_u32 s5, 0, s5
	s_mul_hi_u32 s30, s27, s25
	s_mul_i32 s25, s27, s25
	s_add_u32 s25, s28, s25
	s_mul_hi_u32 s29, s27, s9
	s_addc_u32 s5, s5, s30
	s_addc_u32 s25, s29, 0
	s_mul_i32 s9, s27, s9
	s_add_u32 s5, s5, s9
	s_addc_u32 s9, 0, s25
	s_mul_i32 s25, s0, s9
	s_mul_hi_u32 s28, s0, s5
	s_add_i32 s25, s28, s25
	s_mul_i32 s28, s1, s5
	s_add_i32 s25, s25, s28
	s_sub_i32 s30, s27, s25
	s_mul_i32 s28, s0, s5
	s_sub_u32 s26, s26, s28
	s_cselect_b64 s[28:29], -1, 0
	s_cmp_lg_u64 s[28:29], 0
	s_subb_u32 s33, s30, s1
	s_sub_u32 s34, s26, s0
	s_cselect_b64 s[30:31], -1, 0
	s_cmp_lg_u64 s[30:31], 0
	s_subb_u32 s30, s33, 0
	s_cmp_ge_u32 s30, s1
	s_cselect_b32 s31, -1, 0
	s_cmp_ge_u32 s34, s0
	s_cselect_b32 s33, -1, 0
	s_cmp_eq_u32 s30, s1
	s_cselect_b32 s30, s33, s31
	s_add_u32 s31, s5, 1
	s_addc_u32 s33, s9, 0
	s_add_u32 s34, s5, 2
	s_addc_u32 s35, s9, 0
	s_cmp_lg_u32 s30, 0
	s_cselect_b32 s30, s34, s31
	s_cselect_b32 s31, s35, s33
	s_cmp_lg_u64 s[28:29], 0
	s_subb_u32 s25, s27, s25
	s_cmp_ge_u32 s25, s1
	s_cselect_b32 s27, -1, 0
	s_cmp_ge_u32 s26, s0
	s_cselect_b32 s0, -1, 0
	s_cmp_eq_u32 s25, s1
	s_cselect_b32 s0, s0, s27
	s_cmp_lg_u32 s0, 0
	s_cselect_b32 s1, s31, s9
	s_cselect_b32 s0, s30, s5
	s_xor_b64 s[6:7], s[6:7], 0
	s_xor_b64 s[0:1], s[0:1], s[6:7]
	s_sub_u32 s6, s0, s6
	s_cbranch_execnz .LBB67_11
.LBB67_10:
	s_sub_i32 s0, 0, s22
	v_readfirstlane_b32 s1, v4
	s_mul_i32 s0, s0, s1
	s_mul_hi_u32 s0, s1, s0
	s_add_i32 s1, s1, s0
	s_mul_hi_u32 s0, s8, s1
	s_mul_i32 s5, s0, s22
	s_sub_i32 s5, s8, s5
	s_add_i32 s1, s0, 1
	s_sub_i32 s6, s5, s22
	s_cmp_ge_u32 s5, s22
	s_cselect_b32 s0, s1, s0
	s_cselect_b32 s5, s6, s5
	s_add_i32 s1, s0, 1
	s_cmp_ge_u32 s5, s22
	s_cselect_b32 s6, s1, s0
.LBB67_11:
	s_cmp_lg_u32 s10, s6
	s_mov_b64 s[8:9], -1
                                        ; implicit-def: $sgpr0_sgpr1
                                        ; implicit-def: $vgpr10
                                        ; implicit-def: $vgpr8
                                        ; implicit-def: $vgpr9
                                        ; implicit-def: $sgpr5
                                        ; implicit-def: $sgpr7
	s_cbranch_scc1 .LBB67_14
; %bb.12:
	s_andn2_b64 vcc, exec, s[8:9]
	s_cbranch_vccz .LBB67_17
.LBB67_13:
	s_andn2_b64 vcc, exec, s[0:1]
	s_cbranch_vccnz .LBB67_18
	s_branch .LBB67_22
.LBB67_14:
	s_add_i32 s0, s24, s22
	s_lshl_b32 s0, s0, 2
	s_add_i32 s0, s0, s15
	s_mov_b32 s1, s4
	s_lshl_b64 s[0:1], s[0:1], 3
	s_add_u32 s8, s18, s0
	s_mul_hi_u32 s0, s6, s12
	s_addc_u32 s9, s19, s1
	s_add_i32 s0, s0, s6
	s_lshr_b32 s5, s0, s13
	s_mul_i32 s0, s5, s14
	s_cmp_eq_u32 s0, s6
	s_cselect_b64 s[0:1], -1, 0
	s_cmp_lt_u32 s5, s11
	s_cselect_b64 s[26:27], -1, 0
	s_or_b64 s[26:27], s[26:27], s[0:1]
	s_mov_b64 s[0:1], -1
	s_and_b64 vcc, exec, s[26:27]
	s_mov_b32 s5, s24
	s_mov_b32 s7, s10
	s_cbranch_vccnz .LBB67_16
; %bb.15:
	s_add_i32 s5, s24, -1
	s_mov_b64 s[0:1], 0
	s_mov_b32 s7, s6
.LBB67_16:
	v_lshl_add_u32 v8, s24, 8, v0
	v_ashrrev_i32_e32 v9, 31, v8
	v_lshlrev_b64 v[8:9], 2, v[8:9]
	v_mov_b32_e32 v10, s21
	v_add_co_u32_e32 v8, vcc, s20, v8
	v_addc_co_u32_e32 v9, vcc, v10, v9, vcc
	global_load_dword v10, v[8:9], off
	s_load_dwordx2 s[8:9], s[8:9], 0x0
	v_max_f32_e32 v8, v7, v7
	s_waitcnt lgkmcnt(0)
	v_max_f32_e64 v9, s8, s8
	v_max_f32_e32 v8, v8, v9
	v_sub_f32_e32 v9, v7, v8
	v_sub_f32_e32 v11, s8, v8
	v_mul_f32_e32 v12, 0x3fb8aa3b, v9
	v_mul_f32_e32 v13, 0x3fb8aa3b, v11
	v_fma_f32 v14, v9, s2, -v12
	v_rndne_f32_e32 v15, v12
	v_fma_f32 v16, v11, s2, -v13
	v_rndne_f32_e32 v17, v13
	v_fmac_f32_e32 v14, 0x32a5705f, v9
	v_sub_f32_e32 v12, v12, v15
	v_fmac_f32_e32 v16, 0x32a5705f, v11
	v_sub_f32_e32 v13, v13, v17
	v_add_f32_e32 v12, v12, v14
	v_cvt_i32_f32_e32 v15, v15
	v_add_f32_e32 v13, v13, v16
	v_exp_f32_e32 v12, v12
	v_cvt_i32_f32_e32 v17, v17
	v_exp_f32_e32 v13, v13
	v_cmp_ngt_f32_e32 vcc, s16, v9
	v_ldexp_f32 v12, v12, v15
	v_cndmask_b32_e32 v12, 0, v12, vcc
	v_ldexp_f32 v13, v13, v17
	v_cmp_ngt_f32_e32 vcc, s16, v11
	v_cndmask_b32_e32 v13, 0, v13, vcc
	v_cmp_nlt_f32_e32 vcc, s17, v9
	v_cndmask_b32_e32 v12, v5, v12, vcc
	v_cmp_nlt_f32_e32 vcc, s17, v11
	v_cndmask_b32_e32 v13, v5, v13, vcc
	v_cmp_le_f32_e32 vcc, s23, v9
	v_cndmask_b32_e32 v12, 0, v12, vcc
	v_cmp_le_f32_e32 vcc, s23, v11
	v_cndmask_b32_e32 v11, 0, v13, vcc
	v_mul_f32_e32 v9, s9, v11
	v_fmac_f32_e32 v9, v6, v12
	s_waitcnt vmcnt(0)
	v_mul_f32_e32 v10, v10, v11
	v_fmac_f32_e32 v10, v3, v12
	s_cbranch_execnz .LBB67_13
.LBB67_17:
	s_add_i32 s5, s24, -1
	s_mov_b32 s7, s10
	v_mov_b32_e32 v9, v6
	v_mov_b32_e32 v8, v7
	s_waitcnt vmcnt(0)
	v_mov_b32_e32 v10, v3
	s_cbranch_execz .LBB67_22
.LBB67_18:
	s_mov_b32 s10, s7
	s_mov_b32 s24, s5
	v_mov_b32_e32 v6, v9
	v_mov_b32_e32 v7, v8
	s_waitcnt vmcnt(0)
	v_mov_b32_e32 v3, v10
	s_mul_hi_i32 s5, s24, s3
	s_cmp_lg_u64 s[4:5], 0
	s_mul_i32 s8, s24, s3
	s_cbranch_scc1 .LBB67_9
.LBB67_19:
                                        ; implicit-def: $sgpr6_sgpr7
	s_branch .LBB67_10
.LBB67_20:
                                        ; implicit-def: $sgpr10_sgpr11
	s_load_dwordx4 s[12:15], s[4:5], 0x44
	s_branch .LBB67_2
.LBB67_21:
                                        ; implicit-def: $sgpr18_sgpr19
	s_branch .LBB67_5
.LBB67_22:
	v_div_scale_f32 v0, s[0:1], v9, v9, v10
	s_waitcnt vmcnt(0)
	v_div_scale_f32 v3, vcc, v10, v9, v10
	v_rcp_f32_e32 v4, v0
	v_fma_f32 v5, -v0, v4, 1.0
	v_fmac_f32_e32 v4, v5, v4
	v_mul_f32_e32 v5, v3, v4
	v_fma_f32 v6, -v0, v5, v3
	v_fmac_f32_e32 v5, v6, v4
	v_fma_f32 v0, -v0, v5, v3
	v_div_fmas_f32 v0, v0, v4, v5
	v_div_fixup_f32 v0, v0, v9, v10
	global_store_dword v[1:2], v0, off
.LBB67_23:
	s_endpgm
	.section	.rodata,"a",@progbits
	.p2align	6, 0x0
	.amdhsa_kernel _ZL33flash_attn_stream_k_fixup_generalILi64ELi4ELi1EEvPfPK15HIP_vector_typeIfLj2EEiiiiS1_IjLj3EES5_S5_S5_
		.amdhsa_group_segment_fixed_size 0
		.amdhsa_private_segment_fixed_size 0
		.amdhsa_kernarg_size 336
		.amdhsa_user_sgpr_count 6
		.amdhsa_user_sgpr_private_segment_buffer 1
		.amdhsa_user_sgpr_dispatch_ptr 0
		.amdhsa_user_sgpr_queue_ptr 0
		.amdhsa_user_sgpr_kernarg_segment_ptr 1
		.amdhsa_user_sgpr_dispatch_id 0
		.amdhsa_user_sgpr_flat_scratch_init 0
		.amdhsa_user_sgpr_private_segment_size 0
		.amdhsa_uses_dynamic_stack 0
		.amdhsa_system_sgpr_private_segment_wavefront_offset 0
		.amdhsa_system_sgpr_workgroup_id_x 1
		.amdhsa_system_sgpr_workgroup_id_y 1
		.amdhsa_system_sgpr_workgroup_id_z 1
		.amdhsa_system_sgpr_workgroup_info 0
		.amdhsa_system_vgpr_workitem_id 0
		.amdhsa_next_free_vgpr 18
		.amdhsa_next_free_sgpr 36
		.amdhsa_reserve_vcc 1
		.amdhsa_reserve_flat_scratch 0
		.amdhsa_float_round_mode_32 0
		.amdhsa_float_round_mode_16_64 0
		.amdhsa_float_denorm_mode_32 3
		.amdhsa_float_denorm_mode_16_64 3
		.amdhsa_dx10_clamp 1
		.amdhsa_ieee_mode 1
		.amdhsa_fp16_overflow 0
		.amdhsa_exception_fp_ieee_invalid_op 0
		.amdhsa_exception_fp_denorm_src 0
		.amdhsa_exception_fp_ieee_div_zero 0
		.amdhsa_exception_fp_ieee_overflow 0
		.amdhsa_exception_fp_ieee_underflow 0
		.amdhsa_exception_fp_ieee_inexact 0
		.amdhsa_exception_int_div_zero 0
	.end_amdhsa_kernel
	.section	.text._ZL33flash_attn_stream_k_fixup_generalILi64ELi4ELi1EEvPfPK15HIP_vector_typeIfLj2EEiiiiS1_IjLj3EES5_S5_S5_,"axG",@progbits,_ZL33flash_attn_stream_k_fixup_generalILi64ELi4ELi1EEvPfPK15HIP_vector_typeIfLj2EEiiiiS1_IjLj3EES5_S5_S5_,comdat
.Lfunc_end67:
	.size	_ZL33flash_attn_stream_k_fixup_generalILi64ELi4ELi1EEvPfPK15HIP_vector_typeIfLj2EEiiiiS1_IjLj3EES5_S5_S5_, .Lfunc_end67-_ZL33flash_attn_stream_k_fixup_generalILi64ELi4ELi1EEvPfPK15HIP_vector_typeIfLj2EEiiiiS1_IjLj3EES5_S5_S5_
                                        ; -- End function
	.set _ZL33flash_attn_stream_k_fixup_generalILi64ELi4ELi1EEvPfPK15HIP_vector_typeIfLj2EEiiiiS1_IjLj3EES5_S5_S5_.num_vgpr, 18
	.set _ZL33flash_attn_stream_k_fixup_generalILi64ELi4ELi1EEvPfPK15HIP_vector_typeIfLj2EEiiiiS1_IjLj3EES5_S5_S5_.num_agpr, 0
	.set _ZL33flash_attn_stream_k_fixup_generalILi64ELi4ELi1EEvPfPK15HIP_vector_typeIfLj2EEiiiiS1_IjLj3EES5_S5_S5_.numbered_sgpr, 36
	.set _ZL33flash_attn_stream_k_fixup_generalILi64ELi4ELi1EEvPfPK15HIP_vector_typeIfLj2EEiiiiS1_IjLj3EES5_S5_S5_.num_named_barrier, 0
	.set _ZL33flash_attn_stream_k_fixup_generalILi64ELi4ELi1EEvPfPK15HIP_vector_typeIfLj2EEiiiiS1_IjLj3EES5_S5_S5_.private_seg_size, 0
	.set _ZL33flash_attn_stream_k_fixup_generalILi64ELi4ELi1EEvPfPK15HIP_vector_typeIfLj2EEiiiiS1_IjLj3EES5_S5_S5_.uses_vcc, 1
	.set _ZL33flash_attn_stream_k_fixup_generalILi64ELi4ELi1EEvPfPK15HIP_vector_typeIfLj2EEiiiiS1_IjLj3EES5_S5_S5_.uses_flat_scratch, 0
	.set _ZL33flash_attn_stream_k_fixup_generalILi64ELi4ELi1EEvPfPK15HIP_vector_typeIfLj2EEiiiiS1_IjLj3EES5_S5_S5_.has_dyn_sized_stack, 0
	.set _ZL33flash_attn_stream_k_fixup_generalILi64ELi4ELi1EEvPfPK15HIP_vector_typeIfLj2EEiiiiS1_IjLj3EES5_S5_S5_.has_recursion, 0
	.set _ZL33flash_attn_stream_k_fixup_generalILi64ELi4ELi1EEvPfPK15HIP_vector_typeIfLj2EEiiiiS1_IjLj3EES5_S5_S5_.has_indirect_call, 0
	.section	.AMDGPU.csdata,"",@progbits
; Kernel info:
; codeLenInByte = 2932
; TotalNumSgprs: 40
; NumVgprs: 18
; ScratchSize: 0
; MemoryBound: 0
; FloatMode: 240
; IeeeMode: 1
; LDSByteSize: 0 bytes/workgroup (compile time only)
; SGPRBlocks: 4
; VGPRBlocks: 4
; NumSGPRsForWavesPerEU: 40
; NumVGPRsForWavesPerEU: 18
; Occupancy: 10
; WaveLimiterHint : 0
; COMPUTE_PGM_RSRC2:SCRATCH_EN: 0
; COMPUTE_PGM_RSRC2:USER_SGPR: 6
; COMPUTE_PGM_RSRC2:TRAP_HANDLER: 0
; COMPUTE_PGM_RSRC2:TGID_X_EN: 1
; COMPUTE_PGM_RSRC2:TGID_Y_EN: 1
; COMPUTE_PGM_RSRC2:TGID_Z_EN: 1
; COMPUTE_PGM_RSRC2:TIDIG_COMP_CNT: 0
	.section	.text._ZL15flash_attn_tileILi64ELi64ELi2ELi1ELb0EEvPKcS1_S1_S1_S1_PKiPfP15HIP_vector_typeIfLj2EEffffjfiS5_IjLj3EEiiiiiiiiiiiliiliiiiil,"axG",@progbits,_ZL15flash_attn_tileILi64ELi64ELi2ELi1ELb0EEvPKcS1_S1_S1_S1_PKiPfP15HIP_vector_typeIfLj2EEffffjfiS5_IjLj3EEiiiiiiiiiiiliiliiiiil,comdat
	.globl	_ZL15flash_attn_tileILi64ELi64ELi2ELi1ELb0EEvPKcS1_S1_S1_S1_PKiPfP15HIP_vector_typeIfLj2EEffffjfiS5_IjLj3EEiiiiiiiiiiiliiliiiiil ; -- Begin function _ZL15flash_attn_tileILi64ELi64ELi2ELi1ELb0EEvPKcS1_S1_S1_S1_PKiPfP15HIP_vector_typeIfLj2EEffffjfiS5_IjLj3EEiiiiiiiiiiiliiliiiiil
	.p2align	8
	.type	_ZL15flash_attn_tileILi64ELi64ELi2ELi1ELb0EEvPKcS1_S1_S1_S1_PKiPfP15HIP_vector_typeIfLj2EEffffjfiS5_IjLj3EEiiiiiiiiiiiliiliiiiil,@function
_ZL15flash_attn_tileILi64ELi64ELi2ELi1ELb0EEvPKcS1_S1_S1_S1_PKiPfP15HIP_vector_typeIfLj2EEffffjfiS5_IjLj3EEiiiiiiiiiiiliiliiiiil: ; @_ZL15flash_attn_tileILi64ELi64ELi2ELi1ELb0EEvPKcS1_S1_S1_S1_PKiPfP15HIP_vector_typeIfLj2EEffffjfiS5_IjLj3EEiiiiiiiiiiiliiliiiiil
; %bb.0:
	s_load_dwordx4 s[28:31], s[4:5], 0x5c
	s_load_dwordx2 s[42:43], s[4:5], 0x80
	s_add_u32 flat_scratch_lo, s6, s11
	s_addc_u32 flat_scratch_hi, s7, 0
	s_add_u32 s0, s0, s11
	s_waitcnt lgkmcnt(0)
	v_cvt_f32_u32_e32 v2, s31
	s_addc_u32 s1, s1, 0
	s_sub_i32 s6, 0, s31
	s_load_dwordx2 s[44:45], s[4:5], 0xb8
	v_rcp_iflag_f32_e32 v2, v2
	s_mov_b64 s[40:41], 0
	v_mul_f32_e32 v2, 0x4f7ffffe, v2
	v_cvt_u32_f32_e32 v2, v2
	v_readfirstlane_b32 s7, v2
	s_mul_i32 s6, s6, s7
	s_mul_hi_u32 s6, s7, s6
	s_add_i32 s7, s7, s6
	s_mul_hi_u32 s6, s10, s7
	s_mul_i32 s7, s6, s31
	s_sub_i32 s7, s10, s7
	s_add_i32 s11, s6, 1
	s_sub_i32 s12, s7, s31
	s_cmp_ge_u32 s7, s31
	s_cselect_b32 s6, s11, s6
	s_cselect_b32 s7, s12, s7
	s_add_i32 s11, s6, 1
	s_cmp_ge_u32 s7, s31
	s_cselect_b32 s33, s11, s6
	s_abs_i32 s6, s43
	v_cvt_f32_u32_e32 v2, s6
	s_mul_i32 s12, s33, s31
	s_sub_i32 s13, 0, s6
	s_sub_i32 s34, s10, s12
	v_rcp_iflag_f32_e32 v2, v2
	s_abs_i32 s11, s31
	s_xor_b32 s7, s31, s43
	s_ashr_i32 s7, s7, 31
	v_mul_f32_e32 v2, 0x4f7ffffe, v2
	v_cvt_u32_f32_e32 v2, v2
	v_readfirstlane_b32 s10, v2
	s_mul_i32 s13, s13, s10
	s_mul_hi_u32 s12, s10, s13
	s_add_i32 s10, s10, s12
	s_mul_hi_u32 s10, s11, s10
	s_mul_i32 s12, s10, s6
	s_sub_i32 s11, s11, s12
	s_add_i32 s13, s10, 1
	s_sub_i32 s12, s11, s6
	s_cmp_ge_u32 s11, s6
	s_cselect_b32 s10, s13, s10
	s_cselect_b32 s11, s12, s11
	s_add_i32 s12, s10, 1
	s_cmp_ge_u32 s11, s6
	s_cselect_b32 s6, s12, s10
	s_xor_b32 s6, s6, s7
	s_sub_i32 s47, s6, s7
	s_abs_i32 s43, s47
	v_cvt_f32_u32_e32 v2, s43
	s_load_dwordx16 s[12:27], s[4:5], 0x0
	s_sub_i32 s6, 0, s43
	s_abs_i32 s46, s34
	v_rcp_iflag_f32_e32 v2, v2
	v_mul_f32_e32 v2, 0x4f7ffffe, v2
	v_cvt_u32_f32_e32 v2, v2
	v_readfirstlane_b32 s7, v2
	s_mul_i32 s6, s6, s7
	s_mul_hi_u32 s6, s7, s6
	s_add_i32 s6, s7, s6
	s_waitcnt lgkmcnt(0)
	s_cmp_eq_u64 s[18:19], 0
	s_cbranch_scc1 .LBB68_2
; %bb.1:
	s_abs_i32 s7, s44
	v_cvt_f32_u32_e32 v2, s7
	s_sub_i32 s37, 0, s7
	s_abs_i32 s36, s33
	s_ashr_i32 s35, s33, 31
	v_rcp_iflag_f32_e32 v2, v2
	s_load_dwordx2 s[10:11], s[4:5], 0xc8
	v_mul_f32_e32 v2, 0x4f7ffffe, v2
	v_cvt_u32_f32_e32 v2, v2
	v_readfirstlane_b32 s38, v2
	s_mul_i32 s37, s37, s38
	s_mul_hi_u32 s37, s38, s37
	s_add_i32 s38, s38, s37
	s_mul_hi_u32 s37, s36, s38
	s_mul_i32 s37, s37, s7
	s_sub_i32 s36, s36, s37
	s_sub_i32 s37, s36, s7
	s_cmp_ge_u32 s36, s7
	s_cselect_b32 s36, s37, s36
	s_sub_i32 s37, s36, s7
	s_cmp_ge_u32 s36, s7
	s_cselect_b32 s7, s37, s36
	s_xor_b32 s7, s7, s35
	s_sub_i32 s7, s7, s35
	s_ashr_i32 s35, s7, 31
	s_waitcnt lgkmcnt(0)
	s_mul_hi_u32 s36, s10, s7
	s_mul_i32 s35, s10, s35
	s_mul_i32 s11, s11, s7
	s_add_i32 s35, s36, s35
	s_add_i32 s35, s35, s11
	s_mul_i32 s7, s10, s7
	s_add_u32 s40, s18, s7
	s_addc_u32 s41, s19, s35
.LBB68_2:
	s_load_dwordx4 s[36:39], s[4:5], 0x40
	s_mul_hi_u32 s18, s46, s6
	s_load_dword s6, s[4:5], 0x50
	v_mov_b32_e32 v23, 1.0
	s_waitcnt lgkmcnt(0)
	v_cmp_le_f32_e64 s[10:11], s37, 0
	s_and_b64 vcc, exec, s[10:11]
	s_cbranch_vccnz .LBB68_4
; %bb.3:
	v_mov_b32_e32 v2, s6
	v_sub_co_u32_e32 v2, vcc, s34, v2
	v_mov_b32_e32 v3, s39
	v_mov_b32_e32 v4, s38
	s_add_i32 s6, s34, 1
	v_lshlrev_b32_e32 v2, 1, v2
	v_cndmask_b32_e32 v4, v3, v4, vcc
	v_or_b32_e32 v2, 1, v2
	v_mov_b32_e32 v3, s6
	v_cndmask_b32_e32 v2, v2, v3, vcc
	v_cvt_f32_i32_e32 v2, v2
	v_cmp_neq_f32_e32 vcc, 1.0, v4
	s_mov_b32 s6, 0x3f2aaaab
	s_movk_i32 s10, 0x204
	v_cndmask_b32_e32 v3, 1.0, v2, vcc
	v_cmp_neq_f32_e32 vcc, 0, v3
	v_cndmask_b32_e32 v2, 1.0, v4, vcc
	v_frexp_mant_f32_e64 v4, |v2|
	v_cmp_gt_f32_e32 vcc, s6, v4
	v_cndmask_b32_e64 v5, 1.0, 2.0, vcc
	v_mul_f32_e32 v4, v4, v5
	v_add_f32_e32 v5, 1.0, v4
	v_rcp_f32_e32 v6, v5
	v_add_f32_e32 v7, -1.0, v4
	v_add_f32_e32 v8, -1.0, v5
	v_sub_f32_e32 v4, v4, v8
	v_mul_f32_e32 v8, v7, v6
	v_mul_f32_e32 v9, v5, v8
	v_fma_f32 v5, v8, v5, -v9
	v_fmac_f32_e32 v5, v8, v4
	v_add_f32_e32 v4, v9, v5
	v_sub_f32_e32 v10, v7, v4
	v_sub_f32_e32 v9, v4, v9
	;; [unrolled: 1-line block ×5, first 2 shown]
	v_add_f32_e32 v4, v5, v4
	v_add_f32_e32 v4, v10, v4
	v_mul_f32_e32 v4, v6, v4
	v_add_f32_e32 v6, v8, v4
	v_sub_f32_e32 v5, v6, v8
	v_sub_f32_e32 v7, v4, v5
	v_mul_f32_e32 v4, v6, v6
	v_fma_f32 v5, v6, v6, -v4
	v_add_f32_e32 v8, v7, v7
	v_fmac_f32_e32 v5, v6, v8
	v_add_f32_e32 v8, v4, v5
	v_mov_b32_e32 v9, 0x3e91f4c4
	v_sub_f32_e32 v4, v8, v4
	v_fmac_f32_e32 v9, 0x3e76c4e1, v8
	v_mov_b32_e32 v10, 0x3ecccdef
	v_sub_f32_e32 v4, v5, v4
	v_mul_f32_e32 v5, v6, v8
	v_fmac_f32_e32 v10, v8, v9
	v_fma_f32 v9, v8, v6, -v5
	v_fmac_f32_e32 v9, v8, v7
	v_fmac_f32_e32 v9, v4, v6
	v_add_f32_e32 v11, v5, v9
	v_sub_f32_e32 v5, v11, v5
	v_sub_f32_e32 v9, v9, v5
	v_mul_f32_e32 v5, v8, v10
	v_fma_f32 v8, v8, v10, -v5
	v_fmac_f32_e32 v8, v4, v10
	v_add_f32_e32 v10, v5, v8
	v_sub_f32_e32 v4, v10, v5
	v_sub_f32_e32 v8, v8, v4
	v_cvt_f64_f32_e64 v[4:5], |v2|
	v_add_f32_e32 v12, 0x3f2aaaaa, v10
	v_add_f32_e32 v13, 0xbf2aaaaa, v12
	;; [unrolled: 1-line block ×3, first 2 shown]
	v_frexp_exp_i32_f64_e32 v4, v[4:5]
	v_sub_f32_e32 v10, v10, v13
	v_add_f32_e32 v5, v8, v10
	v_add_f32_e32 v8, v12, v5
	v_sub_f32_e32 v10, v12, v8
	v_add_f32_e32 v5, v5, v10
	v_mul_f32_e32 v10, v11, v8
	v_fma_f32 v12, v11, v8, -v10
	v_subbrev_co_u32_e32 v4, vcc, 0, v4, vcc
	v_cvt_f32_i32_e32 v4, v4
	v_fmac_f32_e32 v12, v11, v5
	s_mov_b32 s6, 0x3f317218
	v_fmac_f32_e32 v12, v9, v8
	v_mul_f32_e32 v5, 0x3f317218, v4
	v_fma_f32 v8, v4, s6, -v5
	v_fmac_f32_e32 v8, 0xb102e308, v4
	v_ldexp_f32 v4, v7, 1
	v_add_f32_e32 v7, v5, v8
	v_sub_f32_e32 v5, v7, v5
	v_ldexp_f32 v6, v6, 1
	v_sub_f32_e32 v5, v8, v5
	v_add_f32_e32 v8, v10, v12
	v_sub_f32_e32 v9, v8, v10
	v_add_f32_e32 v10, v6, v8
	v_sub_f32_e32 v9, v12, v9
	v_sub_f32_e32 v6, v10, v6
	;; [unrolled: 1-line block ×3, first 2 shown]
	v_add_f32_e32 v4, v4, v9
	v_add_f32_e32 v4, v4, v6
	;; [unrolled: 1-line block ×3, first 2 shown]
	v_sub_f32_e32 v8, v6, v10
	v_sub_f32_e32 v4, v4, v8
	v_add_f32_e32 v8, v7, v6
	v_sub_f32_e32 v9, v8, v7
	v_sub_f32_e32 v10, v8, v9
	;; [unrolled: 1-line block ×4, first 2 shown]
	v_add_f32_e32 v6, v6, v7
	v_add_f32_e32 v7, v5, v4
	v_sub_f32_e32 v9, v7, v5
	v_sub_f32_e32 v10, v7, v9
	;; [unrolled: 1-line block ×4, first 2 shown]
	v_add_f32_e32 v4, v4, v5
	v_add_f32_e32 v5, v7, v6
	v_add_f32_e32 v6, v8, v5
	v_sub_f32_e32 v7, v6, v8
	v_sub_f32_e32 v5, v5, v7
	v_add_f32_e32 v4, v4, v5
	v_add_f32_e32 v5, v6, v4
	v_sub_f32_e32 v6, v5, v6
	v_sub_f32_e32 v4, v4, v6
	v_mul_f32_e32 v6, v3, v5
	v_fma_f32 v5, v3, v5, -v6
	v_fmac_f32_e32 v5, v3, v4
	v_add_f32_e32 v4, v6, v5
	v_cmp_class_f32_e64 vcc, v6, s10
	v_sub_f32_e32 v7, v4, v6
	v_cndmask_b32_e32 v4, v4, v6, vcc
	s_mov_b32 s7, 0x42b17218
	v_mov_b32_e32 v6, 0x37000000
	v_cmp_eq_f32_e32 vcc, s7, v4
	v_cndmask_b32_e32 v6, 0, v6, vcc
	v_sub_f32_e32 v5, v5, v7
	v_sub_f32_e32 v7, v4, v6
	s_mov_b32 s11, 0x3fb8aa3b
	v_mul_f32_e32 v8, 0x3fb8aa3b, v7
	v_fma_f32 v9, v7, s11, -v8
	v_rndne_f32_e32 v10, v8
	v_fmac_f32_e32 v9, 0x32a5705f, v7
	v_sub_f32_e32 v8, v8, v10
	v_add_f32_e32 v8, v8, v9
	v_exp_f32_e32 v8, v8
	v_cvt_i32_f32_e32 v9, v10
	s_mov_b32 s6, 0x7f800000
	v_cmp_neq_f32_e64 vcc, |v4|, s6
	s_mov_b32 s6, 0xc2ce8ed0
	v_cndmask_b32_e32 v4, 0, v5, vcc
	v_ldexp_f32 v5, v8, v9
	v_cmp_ngt_f32_e32 vcc, s6, v7
	v_add_f32_e32 v4, v6, v4
	v_cndmask_b32_e32 v5, 0, v5, vcc
	v_mov_b32_e32 v6, 0x7f800000
	v_cmp_nlt_f32_e32 vcc, s7, v7
	v_cndmask_b32_e32 v5, v6, v5, vcc
	v_fma_f32 v4, v5, v4, v5
	v_cmp_class_f32_e64 vcc, v5, s10
	v_cndmask_b32_e32 v4, v4, v5, vcc
	v_trunc_f32_e32 v5, v3
	v_cmp_eq_f32_e32 vcc, v5, v3
	v_mul_f32_e32 v5, 0.5, v3
	v_trunc_f32_e32 v8, v5
	v_cmp_neq_f32_e64 s[6:7], v8, v5
	s_and_b64 s[6:7], vcc, s[6:7]
	v_cndmask_b32_e64 v5, 1.0, v2, s[6:7]
	s_brev_b32 s19, -2
	v_mov_b32_e32 v7, 0x7fc00000
	v_bfi_b32 v4, s19, v4, v5
	v_cndmask_b32_e32 v5, v7, v4, vcc
	v_cmp_gt_f32_e32 vcc, 0, v2
	v_cndmask_b32_e32 v4, v4, v5, vcc
	v_cmp_class_f32_e64 s[38:39], v2, s10
	v_cmp_eq_f32_e32 vcc, 0, v2
	v_cmp_gt_f32_e64 s[10:11], 0, v3
	s_xor_b64 s[10:11], s[10:11], vcc
	v_cndmask_b32_e64 v3, v6, 0, s[10:11]
	v_cndmask_b32_e64 v5, 0, v2, s[6:7]
	v_bfi_b32 v3, s19, v3, v5
	s_or_b64 vcc, vcc, s[38:39]
	v_cndmask_b32_e32 v3, v4, v3, vcc
	v_cmp_o_f32_e32 vcc, v2, v2
	v_cndmask_b32_e32 v23, v7, v3, vcc
.LBB68_4:
	s_load_dwordx4 s[48:51], s[4:5], 0x70
	v_lshl_add_u32 v20, s8, 1, v1
	v_mul_hi_u32 v2, s28, v20
	s_ashr_i32 s35, s34, 31
	s_ashr_i32 s6, s47, 31
	s_waitcnt lgkmcnt(0)
	s_mul_i32 s7, s33, s50
	v_add_u32_e32 v2, v20, v2
	s_ashr_i32 s10, s7, 31
	v_lshrrev_b32_e32 v2, s29, v2
	s_add_u32 s7, s12, s7
	s_mul_i32 s11, s34, s49
	v_mul_lo_u32 v2, v2, s30
	s_addc_u32 s10, s13, s10
	s_ashr_i32 s12, s11, 31
	s_add_u32 s7, s7, s11
	s_addc_u32 s12, s10, s12
	s_ashr_i32 s49, s48, 31
	v_sub_u32_e32 v25, v20, v2
	s_lshr_b64 s[10:11], s[48:49], 2
	v_mad_u64_u32 v[2:3], s[10:11], s10, v25, 0
	s_lshr_b32 s10, s49, 2
	v_mov_b32_e32 v24, 0
	v_mad_u64_u32 v[3:4], s[10:11], s10, v25, v[3:4]
	v_mov_b32_e32 v4, s12
	s_cmp_eq_u64 s[22:23], 0
	v_lshlrev_b64 v[2:3], 2, v[2:3]
	v_add_co_u32_e32 v2, vcc, s7, v2
	v_addc_co_u32_e32 v3, vcc, v4, v3, vcc
	v_lshlrev_b32_e32 v4, 3, v0
	v_add_co_u32_e32 v2, vcc, v2, v4
	v_addc_co_u32_e32 v3, vcc, 0, v3, vcc
	global_load_dwordx2 v[2:3], v[2:3], off
	v_mov_b32_e32 v4, 0x1200
	v_lshl_add_u32 v26, v1, 7, v4
	v_lshl_add_u32 v4, v0, 2, v26
	s_waitcnt vmcnt(0)
	v_fma_mixlo_f16 v3, s36, v3, 0
	v_fma_mixlo_f16 v2, s36, v2, 0
	v_lshlrev_b32_e32 v3, 16, v3
	v_or_b32_sdwa v2, v3, v2 dst_sel:DWORD dst_unused:UNUSED_PAD src0_sel:DWORD src1_sel:WORD_0
	ds_write_b32 v4, v2
	s_waitcnt lgkmcnt(0)
	; wave barrier
	s_cbranch_scc1 .LBB68_6
; %bb.5:
	s_load_dword s7, s[4:5], 0xd0
	s_mov_b32 s11, 0
	s_waitcnt lgkmcnt(0)
	s_mul_i32 s7, s7, s33
	s_add_i32 s10, s7, s8
	s_lshl_b64 s[10:11], s[10:11], 2
	s_add_u32 s10, s22, s10
	s_addc_u32 s11, s23, s11
	s_load_dword s42, s[10:11], 0x0
.LBB68_6:
	s_nop 0
	s_load_dwordx2 s[10:11], s[4:5], 0x8c
	s_load_dwordx4 s[36:39], s[4:5], 0x98
	s_load_dwordx2 s[28:29], s[4:5], 0xa8
	s_ashr_i32 s7, s33, 31
	s_ashr_i32 s23, s45, 1
	s_waitcnt lgkmcnt(0)
	s_ashr_i32 s12, s10, 2
	s_mul_hi_u32 s10, s36, s33
	s_mul_i32 s13, s36, s7
	s_add_i32 s10, s10, s13
	s_mul_i32 s13, s37, s33
	s_ashr_i32 s8, s38, 2
	s_add_i32 s10, s10, s13
	s_mul_i32 s13, s36, s33
	s_add_u32 s13, s14, s13
	s_mul_i32 s14, s18, s43
	s_addc_u32 s10, s15, s10
	s_sub_i32 s14, s46, s14
	s_xor_b32 s6, s35, s6
	s_add_i32 s15, s18, 1
	s_sub_i32 s19, s14, s43
	s_cmp_ge_u32 s14, s43
	s_cselect_b32 s15, s15, s18
	s_cselect_b32 s14, s19, s14
	s_add_i32 s18, s15, 1
	s_cmp_ge_u32 s14, s43
	s_cselect_b32 s14, s18, s15
	s_xor_b32 s14, s14, s6
	s_sub_i32 s6, s14, s6
	s_mul_i32 s11, s6, s11
	s_ashr_i32 s14, s11, 31
	s_add_u32 s13, s13, s11
	s_addc_u32 s14, s10, s14
	s_mul_hi_u32 s10, s28, s33
	s_mul_i32 s7, s28, s7
	s_add_i32 s7, s10, s7
	s_mul_i32 s10, s29, s33
	s_add_i32 s7, s7, s10
	s_mul_i32 s10, s28, s33
	s_add_u32 s10, s16, s10
	s_mul_i32 s6, s6, s39
	s_addc_u32 s7, s17, s7
	s_ashr_i32 s11, s6, 31
	s_add_u32 s18, s10, s6
	s_addc_u32 s19, s7, s11
	s_lshl_b32 s22, s9, 5
	s_sub_i32 s15, s42, 32
	s_cmp_ge_i32 s22, s15
	v_lshrrev_b32_e32 v28, 3, v0
	v_lshlrev_b32_e32 v22, 2, v0
	v_mbcnt_lo_u32_b32 v27, -1, 0
	s_cbranch_scc1 .LBB68_12
; %bb.7:
	v_lshl_add_u32 v2, v1, 2, v28
	v_mul_lo_u32 v5, s12, v2
	v_and_b32_e32 v19, 28, v22
	v_lshlrev_b32_e32 v14, 2, v19
	s_movk_i32 s6, 0x90
	v_mad_u32_u24 v29, v2, s6, v14
	s_lshl_b32 s6, s12, 3
	v_mul_lo_u32 v13, s8, v2
	v_add_u32_e32 v7, s6, v5
	v_add_u32_e32 v9, s6, v7
	s_cmp_lg_u64 s[40:41], 0
	v_mad_u64_u32 v[3:4], s[10:11], v25, s23, v[0:1]
	v_add_u32_e32 v11, s6, v9
	s_cselect_b64 s[6:7], -1, 0
	s_lshl_b32 s10, s8, 3
	v_add_u32_e32 v15, s10, v13
	v_add_u32_e32 v17, s10, v15
	v_add_u32_e32 v41, s10, v17
	v_ashrrev_i32_e32 v6, 31, v5
	v_ashrrev_i32_e32 v8, 31, v7
	;; [unrolled: 1-line block ×4, first 2 shown]
	v_mov_b32_e32 v4, 0x1300
	v_lshl_or_b32 v36, v2, 7, v14
	v_ashrrev_i32_e32 v14, 31, v13
	v_ashrrev_i32_e32 v16, 31, v15
	;; [unrolled: 1-line block ×4, first 2 shown]
	v_lshl_add_u32 v34, v1, 6, v4
	s_add_u32 s10, s4, 0xd0
	v_lshlrev_b64 v[4:5], 2, v[5:6]
	v_lshlrev_b32_e32 v40, 2, v19
	v_lshlrev_b64 v[6:7], 2, v[7:8]
	v_lshlrev_b64 v[8:9], 2, v[9:10]
	;; [unrolled: 1-line block ×3, first 2 shown]
	v_cndmask_b32_e64 v2, 0, 1, s[6:7]
	v_lshlrev_b64 v[12:13], 2, v[13:14]
	v_lshlrev_b64 v[14:15], 2, v[15:16]
	;; [unrolled: 1-line block ×4, first 2 shown]
	v_mov_b32_e32 v21, 0
	v_add_u32_e32 v30, 0x480, v29
	v_add_u32_e32 v31, 0x900, v29
	;; [unrolled: 1-line block ×3, first 2 shown]
	v_mul_u32_u24_e32 v33, 0x90, v0
	v_lshl_add_u32 v35, v0, 1, v34
	v_add_u32_e32 v37, 0x400, v36
	v_add_u32_e32 v38, 0x800, v36
	v_add_u32_e32 v39, 0xc00, v36
	s_addc_u32 s11, s5, 0
	v_mov_b32_e32 v43, 0xfeffffff
	s_mov_b32 s16, 0x3fb8aa3b
	s_mov_b32 s17, 0xc2ce8ed0
	;; [unrolled: 1-line block ×4, first 2 shown]
	v_cmp_ne_u32_e64 s[6:7], 1, v2
	v_mbcnt_hi_u32_b32 v41, -1, v27
	v_mov_b32_e32 v42, 0x7f800000
	v_mov_b32_e32 v44, 0
.LBB68_8:                               ; =>This Inner Loop Header: Depth=1
	s_mul_hi_i32 s37, s22, s12
	s_mul_i32 s36, s22, s12
	s_lshl_b64 s[36:37], s[36:37], 2
	s_add_u32 s36, s13, s36
	s_addc_u32 s37, s14, s37
	v_mov_b32_e32 v2, s37
	v_add_co_u32_e32 v24, vcc, s36, v4
	v_addc_co_u32_e32 v2, vcc, v2, v5, vcc
	v_add_co_u32_e32 v45, vcc, v24, v40
	v_addc_co_u32_e32 v46, vcc, 0, v2, vcc
	v_mov_b32_e32 v2, s37
	v_add_co_u32_e32 v24, vcc, s36, v6
	v_addc_co_u32_e32 v2, vcc, v2, v7, vcc
	v_add_co_u32_e32 v49, vcc, v24, v40
	v_addc_co_u32_e32 v50, vcc, 0, v2, vcc
	;; [unrolled: 5-line block ×4, first 2 shown]
	global_load_dwordx4 v[45:48], v[45:46], off
	s_nop 0
	global_load_dwordx4 v[49:52], v[49:50], off
	s_nop 0
	;; [unrolled: 2-line block ×3, first 2 shown]
	global_load_dwordx4 v[57:60], v[57:58], off
	v_mov_b32_e32 v2, 0
	s_and_b64 vcc, exec, s[6:7]
	v_mov_b32_e32 v24, 0
	s_waitcnt vmcnt(3)
	ds_write_b128 v29, v[45:48]
	s_waitcnt vmcnt(2)
	ds_write_b128 v30, v[49:52]
	;; [unrolled: 2-line block ×4, first 2 shown]
	s_waitcnt lgkmcnt(0)
	; wave barrier
	ds_read_b128 v[45:48], v33
	ds_read_b128 v[49:52], v26
	s_waitcnt lgkmcnt(0)
	;;#ASMSTART
	v_dot2_f32_f16 v2, v45, v49, v2
	;;#ASMEND
	;;#ASMSTART
	v_dot2_f32_f16 v2, v46, v50, v2
	;;#ASMEND
	;;#ASMSTART
	v_dot2_f32_f16 v2, v47, v51, v2
	;;#ASMEND
	;;#ASMSTART
	v_dot2_f32_f16 v2, v48, v52, v2
	;;#ASMEND
	ds_read_b128 v[45:48], v33 offset:16
	ds_read_b128 v[49:52], v26 offset:16
	s_waitcnt lgkmcnt(0)
	;;#ASMSTART
	v_dot2_f32_f16 v2, v45, v49, v2
	;;#ASMEND
	;;#ASMSTART
	v_dot2_f32_f16 v2, v46, v50, v2
	;;#ASMEND
	;;#ASMSTART
	v_dot2_f32_f16 v2, v47, v51, v2
	;;#ASMEND
	;;#ASMSTART
	v_dot2_f32_f16 v2, v48, v52, v2
	;;#ASMEND
	ds_read_b128 v[45:48], v33 offset:32
	ds_read_b128 v[49:52], v26 offset:32
	;; [unrolled: 15-line block ×7, first 2 shown]
	s_waitcnt lgkmcnt(0)
	;;#ASMSTART
	v_dot2_f32_f16 v2, v45, v49, v2
	;;#ASMEND
	;;#ASMSTART
	v_dot2_f32_f16 v2, v46, v50, v2
	;;#ASMEND
	;; [unrolled: 3-line block ×4, first 2 shown]
	s_cbranch_vccnz .LBB68_10
; %bb.9:                                ;   in Loop: Header=BB68_8 Depth=1
	v_add_u32_e32 v45, s22, v3
	v_ashrrev_i32_e32 v46, 31, v45
	v_lshlrev_b64 v[45:46], 1, v[45:46]
	v_mov_b32_e32 v24, s41
	v_add_co_u32_e32 v45, vcc, s40, v45
	v_addc_co_u32_e32 v46, vcc, v24, v46, vcc
	global_load_ushort v24, v[45:46], off
	s_waitcnt vmcnt(0)
	v_cvt_f32_f16_e32 v24, v24
	v_mul_f32_e32 v24, v23, v24
.LBB68_10:                              ;   in Loop: Header=BB68_8 Depth=1
	v_and_b32_e32 v46, 0x60, v41
	v_xor_b32_e32 v45, 1, v41
	v_add_u32_e32 v46, 32, v46
	v_cmp_lt_i32_e32 vcc, v45, v46
	v_xor_b32_e32 v47, 2, v41
	v_cndmask_b32_e32 v45, v41, v45, vcc
	v_cmp_lt_i32_e32 vcc, v47, v46
	v_xor_b32_e32 v48, 4, v41
	v_cndmask_b32_e32 v47, v41, v47, vcc
	;; [unrolled: 3-line block ×4, first 2 shown]
	v_cmp_lt_i32_e32 vcc, v50, v46
	v_add_f32_e32 v24, v2, v24
	v_cndmask_b32_e32 v46, v41, v50, vcc
	v_add_f32_e32 v2, 0x40051340, v24
	v_max_f32_e32 v50, v43, v43
	v_lshlrev_b32_e32 v46, 2, v46
	v_max_f32_e32 v2, v50, v2
	ds_bpermute_b32 v46, v46, v2
	v_lshlrev_b32_e32 v49, 2, v49
	v_lshlrev_b32_e32 v48, 2, v48
	;; [unrolled: 1-line block ×4, first 2 shown]
	s_waitcnt lgkmcnt(0)
	v_max_f32_e32 v46, v46, v46
	v_max_f32_e32 v2, v2, v46
	ds_bpermute_b32 v46, v49, v2
	s_mul_hi_i32 s37, s22, s8
	s_mul_i32 s36, s22, s8
	s_lshl_b64 s[36:37], s[36:37], 2
	s_add_u32 s36, s18, s36
	s_waitcnt lgkmcnt(0)
	v_max_f32_e32 v46, v46, v46
	v_max_f32_e32 v2, v2, v46
	ds_bpermute_b32 v46, v48, v2
	s_addc_u32 s37, s19, s37
	s_waitcnt lgkmcnt(0)
	; wave barrier
	v_max_f32_e32 v46, v46, v46
	v_max_f32_e32 v2, v2, v46
	ds_bpermute_b32 v46, v47, v2
	s_waitcnt lgkmcnt(0)
	v_max_f32_e32 v46, v46, v46
	v_max_f32_e32 v2, v2, v46
	ds_bpermute_b32 v45, v45, v2
	s_waitcnt lgkmcnt(0)
	v_max_f32_e32 v45, v45, v45
	v_max_f32_e32 v2, v2, v45
	v_sub_f32_e32 v24, v24, v2
	v_mul_f32_e32 v45, 0x3fb8aa3b, v24
	v_fma_f32 v46, v24, s16, -v45
	v_rndne_f32_e32 v47, v45
	v_fmac_f32_e32 v46, 0x32a5705f, v24
	v_sub_f32_e32 v45, v45, v47
	v_add_f32_e32 v45, v45, v46
	v_exp_f32_e32 v45, v45
	v_cvt_i32_f32_e32 v46, v47
	v_sub_f32_e32 v43, v43, v2
	v_cmp_ngt_f32_e32 vcc, s17, v24
	v_ldexp_f32 v45, v45, v46
	v_mul_f32_e32 v46, 0x3fb8aa3b, v43
	v_fma_f32 v47, v43, s16, -v46
	v_rndne_f32_e32 v48, v46
	v_fmac_f32_e32 v47, 0x32a5705f, v43
	v_sub_f32_e32 v46, v46, v48
	v_add_f32_e32 v46, v46, v47
	v_exp_f32_e32 v46, v46
	v_cvt_i32_f32_e32 v47, v48
	v_cndmask_b32_e32 v45, 0, v45, vcc
	v_cmp_nlt_f32_e32 vcc, s28, v24
	v_cndmask_b32_e32 v24, v42, v45, vcc
	v_cvt_f16_f32_e32 v45, v24
	v_ldexp_f32 v46, v46, v47
	v_cmp_ngt_f32_e32 vcc, s17, v43
	v_cndmask_b32_e32 v46, 0, v46, vcc
	v_cmp_nlt_f32_e32 vcc, s28, v43
	v_cndmask_b32_e32 v43, v42, v46, vcc
	v_fmac_f32_e32 v24, v44, v43
	ds_write_b16 v35, v45
	v_add_co_u32_e32 v44, vcc, s36, v12
	v_mov_b32_e32 v45, s37
	v_addc_co_u32_e32 v45, vcc, v45, v13, vcc
	v_add_co_u32_e32 v44, vcc, v44, v40
	v_addc_co_u32_e32 v45, vcc, 0, v45, vcc
	v_add_co_u32_e32 v46, vcc, s36, v14
	v_mov_b32_e32 v47, s37
	v_addc_co_u32_e32 v47, vcc, v47, v15, vcc
	v_add_co_u32_e32 v48, vcc, v46, v40
	v_addc_co_u32_e32 v49, vcc, 0, v47, vcc
	;; [unrolled: 5-line block ×4, first 2 shown]
	global_load_dwordx4 v[44:47], v[44:45], off
	v_cvt_f16_f32_e32 v43, v43
	v_mul_u32_u24_e32 v43, 0x10001, v43
	s_waitcnt vmcnt(0)
	ds_write_b128 v36, v[44:47]
	global_load_dwordx4 v[44:47], v[48:49], off
	s_waitcnt vmcnt(0)
	ds_write_b128 v37, v[44:47]
	global_load_dwordx4 v[44:47], v[50:51], off
	s_waitcnt vmcnt(0)
	ds_write_b128 v38, v[44:47]
	global_load_dwordx4 v[44:47], v[52:53], off
	s_waitcnt vmcnt(0)
	ds_write_b128 v39, v[44:47]
	s_waitcnt lgkmcnt(0)
	; wave barrier
	ds_read2_b32 v[60:61], v22 offset1:32
	ds_read_b128 v[44:47], v34
	ds_read_b128 v[48:51], v34 offset:16
	ds_read_b128 v[52:55], v34 offset:32
	;; [unrolled: 1-line block ×3, first 2 shown]
	s_waitcnt lgkmcnt(3)
	v_mul_u32_u24_sdwa v62, v44, s29 dst_sel:DWORD dst_unused:UNUSED_PAD src0_sel:WORD_0 src1_sel:DWORD
	v_pk_mul_f16 v60, v60, v62
	v_pk_fma_f16 v21, v21, v43, v60
	v_mul_u32_u24_sdwa v43, v44, s29 dst_sel:DWORD dst_unused:UNUSED_PAD src0_sel:WORD_1 src1_sel:DWORD
	v_pk_fma_f16 v21, v61, v43, v21
	ds_read2_b32 v[43:44], v22 offset0:64 offset1:96
	v_mul_u32_u24_sdwa v60, v45, s29 dst_sel:DWORD dst_unused:UNUSED_PAD src0_sel:WORD_0 src1_sel:DWORD
	s_waitcnt lgkmcnt(0)
	v_pk_fma_f16 v21, v43, v60, v21
	v_mul_u32_u24_sdwa v43, v45, s29 dst_sel:DWORD dst_unused:UNUSED_PAD src0_sel:WORD_1 src1_sel:DWORD
	v_pk_fma_f16 v21, v44, v43, v21
	ds_read2_b32 v[43:44], v22 offset0:128 offset1:160
	v_mul_u32_u24_sdwa v45, v46, s29 dst_sel:DWORD dst_unused:UNUSED_PAD src0_sel:WORD_0 src1_sel:DWORD
	s_waitcnt lgkmcnt(0)
	v_pk_fma_f16 v21, v43, v45, v21
	v_mul_u32_u24_sdwa v43, v46, s29 dst_sel:DWORD dst_unused:UNUSED_PAD src0_sel:WORD_1 src1_sel:DWORD
	v_pk_fma_f16 v21, v44, v43, v21
	ds_read2_b32 v[43:44], v22 offset0:192 offset1:224
	v_mul_u32_u24_sdwa v45, v47, s29 dst_sel:DWORD dst_unused:UNUSED_PAD src0_sel:WORD_0 src1_sel:DWORD
	v_mul_u32_u24_sdwa v46, v48, s29 dst_sel:DWORD dst_unused:UNUSED_PAD src0_sel:WORD_0 src1_sel:DWORD
	s_waitcnt lgkmcnt(0)
	v_pk_fma_f16 v21, v43, v45, v21
	v_mul_u32_u24_sdwa v43, v47, s29 dst_sel:DWORD dst_unused:UNUSED_PAD src0_sel:WORD_1 src1_sel:DWORD
	v_add_u32_e32 v45, 0x400, v22
	v_pk_fma_f16 v21, v44, v43, v21
	ds_read2_b32 v[43:44], v45 offset1:32
	s_waitcnt lgkmcnt(0)
	v_pk_fma_f16 v21, v43, v46, v21
	v_mul_u32_u24_sdwa v43, v48, s29 dst_sel:DWORD dst_unused:UNUSED_PAD src0_sel:WORD_1 src1_sel:DWORD
	v_pk_fma_f16 v21, v44, v43, v21
	ds_read2_b32 v[43:44], v45 offset0:64 offset1:96
	v_mul_u32_u24_sdwa v46, v49, s29 dst_sel:DWORD dst_unused:UNUSED_PAD src0_sel:WORD_0 src1_sel:DWORD
	s_waitcnt lgkmcnt(0)
	v_pk_fma_f16 v21, v43, v46, v21
	v_mul_u32_u24_sdwa v43, v49, s29 dst_sel:DWORD dst_unused:UNUSED_PAD src0_sel:WORD_1 src1_sel:DWORD
	v_pk_fma_f16 v21, v44, v43, v21
	ds_read2_b32 v[43:44], v45 offset0:128 offset1:160
	v_mul_u32_u24_sdwa v46, v50, s29 dst_sel:DWORD dst_unused:UNUSED_PAD src0_sel:WORD_0 src1_sel:DWORD
	s_waitcnt lgkmcnt(0)
	v_pk_fma_f16 v21, v43, v46, v21
	v_mul_u32_u24_sdwa v43, v50, s29 dst_sel:DWORD dst_unused:UNUSED_PAD src0_sel:WORD_1 src1_sel:DWORD
	v_pk_fma_f16 v21, v44, v43, v21
	ds_read2_b32 v[43:44], v45 offset0:192 offset1:224
	v_mul_u32_u24_sdwa v45, v51, s29 dst_sel:DWORD dst_unused:UNUSED_PAD src0_sel:WORD_0 src1_sel:DWORD
	v_mul_u32_u24_sdwa v46, v52, s29 dst_sel:DWORD dst_unused:UNUSED_PAD src0_sel:WORD_0 src1_sel:DWORD
	s_waitcnt lgkmcnt(0)
	v_pk_fma_f16 v21, v43, v45, v21
	v_mul_u32_u24_sdwa v43, v51, s29 dst_sel:DWORD dst_unused:UNUSED_PAD src0_sel:WORD_1 src1_sel:DWORD
	v_add_u32_e32 v45, 0x800, v22
	v_pk_fma_f16 v21, v44, v43, v21
	ds_read2_b32 v[43:44], v45 offset1:32
	s_waitcnt lgkmcnt(0)
	;; [unrolled: 25-line block ×3, first 2 shown]
	v_pk_fma_f16 v21, v43, v46, v21
	v_mul_u32_u24_sdwa v43, v56, s29 dst_sel:DWORD dst_unused:UNUSED_PAD src0_sel:WORD_1 src1_sel:DWORD
	v_pk_fma_f16 v21, v44, v43, v21
	ds_read2_b32 v[43:44], v45 offset0:64 offset1:96
	v_mul_u32_u24_sdwa v46, v57, s29 dst_sel:DWORD dst_unused:UNUSED_PAD src0_sel:WORD_0 src1_sel:DWORD
	s_waitcnt lgkmcnt(0)
	v_pk_fma_f16 v21, v43, v46, v21
	v_mul_u32_u24_sdwa v43, v57, s29 dst_sel:DWORD dst_unused:UNUSED_PAD src0_sel:WORD_1 src1_sel:DWORD
	v_pk_fma_f16 v21, v44, v43, v21
	ds_read2_b32 v[43:44], v45 offset0:128 offset1:160
	v_mul_u32_u24_sdwa v46, v58, s29 dst_sel:DWORD dst_unused:UNUSED_PAD src0_sel:WORD_0 src1_sel:DWORD
	s_waitcnt lgkmcnt(0)
	v_pk_fma_f16 v21, v43, v46, v21
	v_mul_u32_u24_sdwa v43, v58, s29 dst_sel:DWORD dst_unused:UNUSED_PAD src0_sel:WORD_1 src1_sel:DWORD
	v_pk_fma_f16 v21, v44, v43, v21
	ds_read2_b32 v[43:44], v45 offset0:192 offset1:224
	s_waitcnt lgkmcnt(0)
	; wave barrier
	s_load_dword s36, s[10:11], 0x4
	v_mul_u32_u24_sdwa v45, v59, s29 dst_sel:DWORD dst_unused:UNUSED_PAD src0_sel:WORD_0 src1_sel:DWORD
	v_pk_fma_f16 v21, v43, v45, v21
	v_mul_u32_u24_sdwa v43, v59, s29 dst_sel:DWORD dst_unused:UNUSED_PAD src0_sel:WORD_1 src1_sel:DWORD
	v_pk_fma_f16 v21, v44, v43, v21
	s_waitcnt lgkmcnt(0)
	s_lshl_b32 s36, s36, 5
	s_add_i32 s22, s36, s22
	s_cmp_lt_i32 s22, s15
	s_cbranch_scc0 .LBB68_13
; %bb.11:                               ;   in Loop: Header=BB68_8 Depth=1
	v_mov_b32_e32 v43, v2
	v_mov_b32_e32 v44, v24
	s_branch .LBB68_8
.LBB68_12:
	v_mov_b32_e32 v2, 0xfeffffff
	v_mov_b32_e32 v21, 0
.LBB68_13:
	v_lshlrev_b32_e32 v4, 1, v0
	s_cmp_gt_i32 s42, s22
	s_cbranch_scc1 .LBB68_15
; %bb.14:
	v_mbcnt_hi_u32_b32 v5, -1, v27
	v_and_b32_e32 v3, 0x60, v5
	v_add_u32_e32 v6, 32, v3
	v_xor_b32_e32 v10, 16, v5
	v_xor_b32_e32 v8, 8, v5
	;; [unrolled: 1-line block ×5, first 2 shown]
	s_cbranch_execz .LBB68_16
	s_branch .LBB68_21
.LBB68_15:
                                        ; implicit-def: $vgpr5
                                        ; implicit-def: $vgpr6
                                        ; implicit-def: $vgpr10
                                        ; implicit-def: $vgpr8
                                        ; implicit-def: $vgpr9
                                        ; implicit-def: $vgpr11
                                        ; implicit-def: $vgpr12
.LBB68_16:
	v_lshl_add_u32 v7, v1, 2, v28
	v_mul_lo_u32 v12, s12, v7
	s_mul_hi_i32 s11, s22, s12
	s_mul_i32 s10, s22, s12
	s_sub_i32 s28, s42, s22
	s_lshl_b64 s[10:11], s[10:11], 2
	v_ashrrev_i32_e32 v13, 31, v12
	s_add_u32 s10, s13, s10
	v_lshlrev_b64 v[8:9], 2, v[12:13]
	s_addc_u32 s11, s14, s11
	v_and_b32_e32 v3, 28, v22
	v_mov_b32_e32 v6, s11
	v_add_co_u32_e32 v8, vcc, s10, v8
	v_lshlrev_b32_e32 v3, 2, v3
	v_addc_co_u32_e32 v6, vcc, v6, v9, vcc
	v_add_co_u32_e32 v8, vcc, v8, v3
	s_mov_b64 s[6:7], src_private_base
	v_addc_co_u32_e32 v6, vcc, 0, v6, vcc
	v_mov_b32_e32 v18, s7
	v_cmp_gt_i32_e32 vcc, s28, v7
	v_mov_b32_e32 v5, 0
	v_cndmask_b32_e32 v9, v18, v6, vcc
	v_mov_b32_e32 v6, 0
	buffer_store_dword v5, off, s[0:3], 0
	buffer_store_dword v5, off, s[0:3], 0 offset:4
	buffer_store_dword v5, off, s[0:3], 0 offset:8
	;; [unrolled: 1-line block ×3, first 2 shown]
	v_cndmask_b32_e32 v8, v6, v8, vcc
	flat_load_dwordx4 v[8:11], v[8:9]
	s_lshl_b32 s14, s12, 3
	v_add_u32_e32 v12, s14, v12
	v_ashrrev_i32_e32 v13, 31, v12
	v_lshlrev_b64 v[15:16], 2, v[12:13]
	s_movk_i32 s6, 0x90
	v_mad_u32_u24 v19, v7, s6, v3
	v_mov_b32_e32 v17, s11
	v_add_co_u32_e64 v13, s[6:7], s10, v15
	v_addc_co_u32_e64 v15, s[6:7], v17, v16, s[6:7]
	v_add_u32_e32 v14, 8, v7
	v_add_co_u32_e64 v13, s[6:7], v13, v3
	v_addc_co_u32_e64 v15, s[6:7], 0, v15, s[6:7]
	v_cmp_gt_i32_e64 s[12:13], s28, v14
	buffer_store_dword v5, off, s[0:3], 0
	buffer_store_dword v5, off, s[0:3], 0 offset:4
	buffer_store_dword v5, off, s[0:3], 0 offset:8
	;; [unrolled: 1-line block ×3, first 2 shown]
	v_cndmask_b32_e64 v16, v18, v15, s[12:13]
	v_cndmask_b32_e64 v15, v6, v13, s[12:13]
	v_add_u32_e32 v12, s14, v12
	v_ashrrev_i32_e32 v13, 31, v12
	v_mov_b32_e32 v28, s11
	s_waitcnt vmcnt(0) lgkmcnt(0)
	ds_write_b128 v19, v[8:11]
	flat_load_dwordx4 v[8:11], v[15:16]
	v_lshlrev_b64 v[16:17], 2, v[12:13]
	v_add_u32_e32 v15, 16, v7
	v_add_co_u32_e64 v13, s[6:7], s10, v16
	v_addc_co_u32_e64 v16, s[6:7], v28, v17, s[6:7]
	v_add_co_u32_e64 v13, s[6:7], v13, v3
	v_addc_co_u32_e64 v16, s[6:7], 0, v16, s[6:7]
	v_cmp_gt_i32_e64 s[6:7], s28, v15
	v_cndmask_b32_e64 v17, v18, v16, s[6:7]
	v_cndmask_b32_e64 v16, v6, v13, s[6:7]
	buffer_store_dword v5, off, s[0:3], 0
	buffer_store_dword v5, off, s[0:3], 0 offset:4
	buffer_store_dword v5, off, s[0:3], 0 offset:8
	;; [unrolled: 1-line block ×3, first 2 shown]
	v_add_u32_e32 v13, 24, v7
	s_waitcnt vmcnt(0) lgkmcnt(0)
	ds_write_b128 v19, v[8:11] offset:1152
	flat_load_dwordx4 v[8:11], v[16:17]
	v_add_u32_e32 v16, s14, v12
	v_ashrrev_i32_e32 v17, 31, v16
	v_lshlrev_b64 v[16:17], 2, v[16:17]
	buffer_store_dword v5, off, s[0:3], 0
	buffer_store_dword v5, off, s[0:3], 0 offset:4
	buffer_store_dword v5, off, s[0:3], 0 offset:8
	;; [unrolled: 1-line block ×3, first 2 shown]
	v_add_co_u32_e64 v12, s[10:11], s10, v16
	v_addc_co_u32_e64 v16, s[10:11], v28, v17, s[10:11]
	v_add_co_u32_e64 v12, s[10:11], v12, v3
	v_addc_co_u32_e64 v16, s[10:11], 0, v16, s[10:11]
	v_cmp_gt_i32_e64 s[10:11], s28, v13
	v_cndmask_b32_e64 v17, v18, v16, s[10:11]
	v_cndmask_b32_e64 v16, v6, v12, s[10:11]
	v_mul_u32_u24_e32 v6, 0x90, v0
	v_cmp_gt_i32_e64 s[14:15], s28, v0
	s_waitcnt vmcnt(0) lgkmcnt(0)
	ds_write_b128 v19, v[8:11] offset:2304
	flat_load_dwordx4 v[8:11], v[16:17]
	v_mov_b32_e32 v16, 0
	s_waitcnt vmcnt(0) lgkmcnt(0)
	ds_write_b128 v19, v[8:11] offset:3456
	s_waitcnt lgkmcnt(0)
	; wave barrier
	ds_read_b128 v[8:11], v6
	ds_read_b128 v[28:31], v26
	s_waitcnt lgkmcnt(0)
	;;#ASMSTART
	v_dot2_f32_f16 v16, v8, v28, v16
	;;#ASMEND
	;;#ASMSTART
	v_dot2_f32_f16 v16, v9, v29, v16
	;;#ASMEND
	;;#ASMSTART
	v_dot2_f32_f16 v16, v10, v30, v16
	;;#ASMEND
	;;#ASMSTART
	v_dot2_f32_f16 v16, v11, v31, v16
	;;#ASMEND
	ds_read_b128 v[8:11], v6 offset:16
	ds_read_b128 v[28:31], v26 offset:16
	s_waitcnt lgkmcnt(0)
	;;#ASMSTART
	v_dot2_f32_f16 v16, v8, v28, v16
	;;#ASMEND
	;;#ASMSTART
	v_dot2_f32_f16 v16, v9, v29, v16
	;;#ASMEND
	;;#ASMSTART
	v_dot2_f32_f16 v16, v10, v30, v16
	;;#ASMEND
	;;#ASMSTART
	v_dot2_f32_f16 v16, v11, v31, v16
	;;#ASMEND
	ds_read_b128 v[8:11], v6 offset:32
	ds_read_b128 v[28:31], v26 offset:32
	;; [unrolled: 15-line block ×7, first 2 shown]
	s_waitcnt lgkmcnt(0)
	;;#ASMSTART
	v_dot2_f32_f16 v16, v8, v28, v16
	;;#ASMEND
	;;#ASMSTART
	v_dot2_f32_f16 v16, v9, v29, v16
	;;#ASMEND
	;; [unrolled: 3-line block ×3, first 2 shown]
	v_mov_b32_e32 v9, v2
	;;#ASMSTART
	v_dot2_f32_f16 v16, v11, v31, v16
	;;#ASMEND
	s_and_saveexec_b64 s[16:17], s[14:15]
	s_cbranch_execz .LBB68_20
; %bb.17:
	s_cmp_eq_u64 s[40:41], 0
	s_cbranch_scc1 .LBB68_19
; %bb.18:
	v_mul_lo_u32 v5, v25, s23
	v_mov_b32_e32 v8, s41
	v_add3_u32 v5, v5, v0, s22
	v_ashrrev_i32_e32 v6, 31, v5
	v_lshlrev_b64 v[5:6], 1, v[5:6]
	v_add_co_u32_e64 v5, s[14:15], s40, v5
	v_addc_co_u32_e64 v6, s[14:15], v8, v6, s[14:15]
	global_load_ushort v5, v[5:6], off
	s_waitcnt vmcnt(0)
	v_cvt_f32_f16_e32 v5, v5
	v_mul_f32_e32 v5, v23, v5
.LBB68_19:
	v_add_f32_e32 v16, v16, v5
	v_add_f32_e32 v5, 0x40051340, v16
	v_max_f32_e32 v6, v2, v2
	v_max_f32_e32 v9, v6, v5
.LBB68_20:
	s_or_b64 exec, exec, s[16:17]
	v_mbcnt_hi_u32_b32 v5, -1, v27
	v_and_b32_e32 v6, 0x60, v5
	v_add_u32_e32 v6, 32, v6
	v_xor_b32_e32 v10, 16, v5
	v_cmp_lt_i32_e64 s[14:15], v10, v6
	v_cndmask_b32_e64 v8, v5, v10, s[14:15]
	v_lshlrev_b32_e32 v8, 2, v8
	ds_bpermute_b32 v11, v8, v9
	v_xor_b32_e32 v8, 8, v5
	v_cmp_lt_i32_e64 s[14:15], v8, v6
	v_cndmask_b32_e64 v12, v5, v8, s[14:15]
	v_max_f32_e32 v9, v9, v9
	s_waitcnt lgkmcnt(0)
	v_max_f32_e32 v11, v11, v11
	v_lshlrev_b32_e32 v12, 2, v12
	v_max_f32_e32 v11, v9, v11
	ds_bpermute_b32 v12, v12, v11
	v_xor_b32_e32 v9, 4, v5
	v_cmp_lt_i32_e64 s[14:15], v9, v6
	v_cndmask_b32_e64 v17, v5, v9, s[14:15]
	v_lshlrev_b32_e32 v17, 2, v17
	s_waitcnt lgkmcnt(0)
	v_max_f32_e32 v12, v12, v12
	v_max_f32_e32 v12, v11, v12
	ds_bpermute_b32 v17, v17, v12
	v_xor_b32_e32 v11, 2, v5
	v_cmp_lt_i32_e64 s[14:15], v11, v6
	v_cndmask_b32_e64 v18, v5, v11, s[14:15]
	v_lshlrev_b32_e32 v18, 2, v18
	s_waitcnt lgkmcnt(0)
	v_max_f32_e32 v17, v17, v17
	;; [unrolled: 8-line block ×3, first 2 shown]
	v_max_f32_e32 v17, v17, v18
	ds_bpermute_b32 v18, v19, v17
	s_mov_b32 s29, 0x3fb8aa3b
	s_mov_b64 s[16:17], src_private_base
	s_mov_b32 s16, 0xc2ce8ed0
	s_mov_b32 s23, 0x42b17218
	s_waitcnt lgkmcnt(0)
	v_max_f32_e32 v18, v18, v18
	v_max_f32_e32 v17, v17, v18
	v_sub_f32_e32 v16, v16, v17
	v_mul_f32_e32 v18, 0x3fb8aa3b, v16
	v_fma_f32 v19, v16, s29, -v18
	v_rndne_f32_e32 v23, v18
	v_fmac_f32_e32 v19, 0x32a5705f, v16
	v_sub_f32_e32 v18, v18, v23
	v_add_f32_e32 v18, v18, v19
	v_exp_f32_e32 v18, v18
	v_cvt_i32_f32_e32 v23, v23
	v_cmp_ngt_f32_e64 s[14:15], s16, v16
	v_mul_lo_u32 v29, s8, v7
	v_lshlrev_b32_e32 v1, 6, v1
	v_ldexp_f32 v18, v18, v23
	v_cndmask_b32_e64 v23, 0, v18, s[14:15]
	v_mov_b32_e32 v18, 0x7f800000
	v_cmp_nlt_f32_e64 s[14:15], s23, v16
	v_cndmask_b32_e64 v16, v18, v23, s[14:15]
	v_cmp_gt_u32_e64 s[14:15], s28, v0
	v_cndmask_b32_e64 v16, 0, v16, s[14:15]
	v_cvt_f16_f32_e32 v23, v16
	s_movk_i32 s14, 0x1300
	v_add3_u32 v25, v1, s14, v4
	s_mul_hi_i32 s15, s22, s8
	s_mul_i32 s14, s22, s8
	s_lshl_b64 s[14:15], s[14:15], 2
	v_ashrrev_i32_e32 v30, 31, v29
	; wave barrier
	ds_write_b16 v25, v23
	s_add_u32 s18, s18, s14
	v_lshlrev_b64 v[25:26], 2, v[29:30]
	s_addc_u32 s19, s19, s15
	v_mov_b32_e32 v23, s19
	v_add_co_u32_e64 v25, s[14:15], s18, v25
	v_addc_co_u32_e64 v23, s[14:15], v23, v26, s[14:15]
	v_add_co_u32_e64 v25, s[14:15], v25, v3
	v_addc_co_u32_e64 v23, s[14:15], 0, v23, s[14:15]
	v_mov_b32_e32 v32, s17
	v_mov_b32_e32 v19, 0
	v_cndmask_b32_e32 v26, v32, v23, vcc
	v_mov_b32_e32 v23, 0
	buffer_store_dword v19, off, s[0:3], 0
	buffer_store_dword v19, off, s[0:3], 0 offset:4
	buffer_store_dword v19, off, s[0:3], 0 offset:8
	;; [unrolled: 1-line block ×3, first 2 shown]
	v_cndmask_b32_e32 v25, v23, v25, vcc
	flat_load_dwordx4 v[25:28], v[25:26]
	s_lshl_b32 s8, s8, 3
	v_add_u32_e32 v29, s8, v29
	v_ashrrev_i32_e32 v30, 31, v29
	v_lshlrev_b64 v[30:31], 2, v[29:30]
	v_mov_b32_e32 v33, s19
	v_add_co_u32_e32 v30, vcc, s18, v30
	v_addc_co_u32_e32 v31, vcc, v33, v31, vcc
	v_add_co_u32_e32 v30, vcc, v30, v3
	v_lshl_or_b32 v7, v7, 7, v3
	v_addc_co_u32_e32 v31, vcc, 0, v31, vcc
	v_cndmask_b32_e64 v31, v32, v31, s[12:13]
	v_cndmask_b32_e64 v30, v23, v30, s[12:13]
	buffer_store_dword v19, off, s[0:3], 0
	buffer_store_dword v19, off, s[0:3], 0 offset:4
	buffer_store_dword v19, off, s[0:3], 0 offset:8
	;; [unrolled: 1-line block ×3, first 2 shown]
	v_add_u32_e32 v29, s8, v29
	v_sub_f32_e32 v2, v2, v17
	v_add_u32_e32 v41, 0x800, v22
	s_waitcnt vmcnt(0) lgkmcnt(0)
	ds_write_b128 v7, v[25:28]
	flat_load_dwordx4 v[25:28], v[30:31]
	v_ashrrev_i32_e32 v30, 31, v29
	v_lshlrev_b64 v[30:31], 2, v[29:30]
	v_lshl_or_b32 v7, v14, 7, v3
	v_mov_b32_e32 v14, s19
	v_add_co_u32_e32 v30, vcc, s18, v30
	v_addc_co_u32_e32 v14, vcc, v14, v31, vcc
	v_add_co_u32_e32 v30, vcc, v30, v3
	v_addc_co_u32_e32 v14, vcc, 0, v14, vcc
	v_cndmask_b32_e64 v31, v32, v14, s[6:7]
	v_cndmask_b32_e64 v30, v23, v30, s[6:7]
	buffer_store_dword v19, off, s[0:3], 0
	buffer_store_dword v19, off, s[0:3], 0 offset:4
	buffer_store_dword v19, off, s[0:3], 0 offset:8
	;; [unrolled: 1-line block ×3, first 2 shown]
	v_add_u32_e32 v14, s8, v29
	s_mov_b32 s6, 0x10001
	s_waitcnt vmcnt(0) lgkmcnt(0)
	ds_write_b128 v7, v[25:28]
	flat_load_dwordx4 v[25:28], v[30:31]
	v_lshl_or_b32 v7, v15, 7, v3
	v_ashrrev_i32_e32 v15, 31, v14
	v_lshlrev_b64 v[14:15], 2, v[14:15]
	v_mov_b32_e32 v30, s19
	v_add_co_u32_e32 v14, vcc, s18, v14
	v_addc_co_u32_e32 v15, vcc, v30, v15, vcc
	v_add_co_u32_e32 v14, vcc, v14, v3
	v_addc_co_u32_e32 v15, vcc, 0, v15, vcc
	v_cndmask_b32_e64 v15, v32, v15, s[10:11]
	v_cndmask_b32_e64 v14, v23, v14, s[10:11]
	buffer_store_dword v19, off, s[0:3], 0
	buffer_store_dword v19, off, s[0:3], 0 offset:4
	buffer_store_dword v19, off, s[0:3], 0 offset:8
	;; [unrolled: 1-line block ×3, first 2 shown]
	v_cmp_ngt_f32_e32 vcc, s16, v2
	v_lshl_or_b32 v3, v13, 7, v3
	v_add_u32_e32 v19, 0x400, v22
	s_waitcnt vmcnt(0) lgkmcnt(0)
	ds_write_b128 v7, v[25:28]
	flat_load_dwordx4 v[25:28], v[14:15]
	v_mul_f32_e32 v7, 0x3fb8aa3b, v2
	v_fma_f32 v14, v2, s29, -v7
	v_rndne_f32_e32 v15, v7
	v_fmac_f32_e32 v14, 0x32a5705f, v2
	v_sub_f32_e32 v7, v7, v15
	v_add_f32_e32 v7, v7, v14
	v_cvt_i32_f32_e32 v15, v15
	v_exp_f32_e32 v7, v7
	v_ldexp_f32 v7, v7, v15
	v_cndmask_b32_e32 v7, 0, v7, vcc
	v_cmp_nlt_f32_e32 vcc, s23, v2
	v_cndmask_b32_e32 v7, v18, v7, vcc
	v_cvt_f16_f32_e32 v13, v7
	v_mov_b32_e32 v2, v17
	v_fmac_f32_e32 v16, v24, v7
	v_add_u32_e32 v15, 0xc00, v22
	v_mul_u32_u24_e32 v7, 0x10001, v13
	s_waitcnt vmcnt(0) lgkmcnt(0)
	ds_write_b128 v3, v[25:28]
	s_waitcnt lgkmcnt(0)
	; wave barrier
	ds_read2_b32 v[13:14], v22 offset1:32
	ds_read_b128 v[23:26], v1 offset:4864
	ds_read_b128 v[27:30], v1 offset:4880
	;; [unrolled: 1-line block ×4, first 2 shown]
	ds_read2_b32 v[17:18], v22 offset0:64 offset1:96
	ds_read2_b32 v[39:40], v22 offset0:128 offset1:160
	s_waitcnt lgkmcnt(5)
	v_mul_u32_u24_sdwa v1, v23, s6 dst_sel:DWORD dst_unused:UNUSED_PAD src0_sel:WORD_0 src1_sel:DWORD
	v_pk_mul_f16 v1, v13, v1
	v_mul_u32_u24_sdwa v3, v23, s6 dst_sel:DWORD dst_unused:UNUSED_PAD src0_sel:WORD_1 src1_sel:DWORD
	v_pk_fma_f16 v1, v21, v7, v1
	v_mul_u32_u24_sdwa v42, v24, s6 dst_sel:DWORD dst_unused:UNUSED_PAD src0_sel:WORD_0 src1_sel:DWORD
	v_pk_fma_f16 v1, v14, v3, v1
	v_mul_u32_u24_sdwa v43, v24, s6 dst_sel:DWORD dst_unused:UNUSED_PAD src0_sel:WORD_1 src1_sel:DWORD
	v_mul_u32_u24_sdwa v44, v25, s6 dst_sel:DWORD dst_unused:UNUSED_PAD src0_sel:WORD_0 src1_sel:DWORD
	v_mul_u32_u24_sdwa v45, v25, s6 dst_sel:DWORD dst_unused:UNUSED_PAD src0_sel:WORD_1 src1_sel:DWORD
	ds_read2_b32 v[22:23], v22 offset0:192 offset1:224
	ds_read2_b32 v[24:25], v19 offset1:32
	s_waitcnt lgkmcnt(3)
	v_pk_fma_f16 v1, v17, v42, v1
	v_pk_fma_f16 v1, v18, v43, v1
	s_waitcnt lgkmcnt(2)
	v_pk_fma_f16 v1, v39, v44, v1
	v_mul_u32_u24_sdwa v46, v26, s6 dst_sel:DWORD dst_unused:UNUSED_PAD src0_sel:WORD_0 src1_sel:DWORD
	v_mul_u32_u24_sdwa v47, v26, s6 dst_sel:DWORD dst_unused:UNUSED_PAD src0_sel:WORD_1 src1_sel:DWORD
	v_mul_u32_u24_sdwa v48, v27, s6 dst_sel:DWORD dst_unused:UNUSED_PAD src0_sel:WORD_0 src1_sel:DWORD
	v_mul_u32_u24_sdwa v49, v27, s6 dst_sel:DWORD dst_unused:UNUSED_PAD src0_sel:WORD_1 src1_sel:DWORD
	ds_read2_b32 v[26:27], v19 offset0:64 offset1:96
	v_pk_fma_f16 v1, v40, v45, v1
	s_waitcnt lgkmcnt(2)
	v_pk_fma_f16 v1, v22, v46, v1
	v_pk_fma_f16 v1, v23, v47, v1
	v_mul_u32_u24_sdwa v50, v28, s6 dst_sel:DWORD dst_unused:UNUSED_PAD src0_sel:WORD_0 src1_sel:DWORD
	v_mul_u32_u24_sdwa v51, v28, s6 dst_sel:DWORD dst_unused:UNUSED_PAD src0_sel:WORD_1 src1_sel:DWORD
	v_mul_u32_u24_sdwa v52, v29, s6 dst_sel:DWORD dst_unused:UNUSED_PAD src0_sel:WORD_0 src1_sel:DWORD
	v_mul_u32_u24_sdwa v53, v29, s6 dst_sel:DWORD dst_unused:UNUSED_PAD src0_sel:WORD_1 src1_sel:DWORD
	ds_read2_b32 v[13:14], v19 offset0:128 offset1:160
	ds_read2_b32 v[28:29], v19 offset0:192 offset1:224
	s_waitcnt lgkmcnt(3)
	v_pk_fma_f16 v1, v24, v48, v1
	v_pk_fma_f16 v1, v25, v49, v1
	s_waitcnt lgkmcnt(2)
	v_pk_fma_f16 v1, v26, v50, v1
	v_pk_fma_f16 v1, v27, v51, v1
	v_mul_u32_u24_sdwa v54, v30, s6 dst_sel:DWORD dst_unused:UNUSED_PAD src0_sel:WORD_0 src1_sel:DWORD
	v_mul_u32_u24_sdwa v55, v30, s6 dst_sel:DWORD dst_unused:UNUSED_PAD src0_sel:WORD_1 src1_sel:DWORD
	v_mul_u32_u24_sdwa v56, v31, s6 dst_sel:DWORD dst_unused:UNUSED_PAD src0_sel:WORD_0 src1_sel:DWORD
	v_mul_u32_u24_sdwa v57, v31, s6 dst_sel:DWORD dst_unused:UNUSED_PAD src0_sel:WORD_1 src1_sel:DWORD
	ds_read2_b32 v[17:18], v41 offset1:32
	ds_read2_b32 v[30:31], v41 offset0:64 offset1:96
	s_waitcnt lgkmcnt(3)
	v_pk_fma_f16 v1, v13, v52, v1
	v_pk_fma_f16 v1, v14, v53, v1
	s_waitcnt lgkmcnt(2)
	v_pk_fma_f16 v1, v28, v54, v1
	v_pk_fma_f16 v1, v29, v55, v1
	v_mul_u32_u24_sdwa v58, v32, s6 dst_sel:DWORD dst_unused:UNUSED_PAD src0_sel:WORD_0 src1_sel:DWORD
	v_mul_u32_u24_sdwa v59, v32, s6 dst_sel:DWORD dst_unused:UNUSED_PAD src0_sel:WORD_1 src1_sel:DWORD
	v_mul_u32_u24_sdwa v60, v33, s6 dst_sel:DWORD dst_unused:UNUSED_PAD src0_sel:WORD_0 src1_sel:DWORD
	v_mul_u32_u24_sdwa v61, v33, s6 dst_sel:DWORD dst_unused:UNUSED_PAD src0_sel:WORD_1 src1_sel:DWORD
	v_mul_u32_u24_sdwa v62, v34, s6 dst_sel:DWORD dst_unused:UNUSED_PAD src0_sel:WORD_0 src1_sel:DWORD
	v_mul_u32_u24_sdwa v63, v34, s6 dst_sel:DWORD dst_unused:UNUSED_PAD src0_sel:WORD_1 src1_sel:DWORD
	v_mul_u32_u24_sdwa v64, v35, s6 dst_sel:DWORD dst_unused:UNUSED_PAD src0_sel:WORD_0 src1_sel:DWORD
	v_mul_u32_u24_sdwa v65, v35, s6 dst_sel:DWORD dst_unused:UNUSED_PAD src0_sel:WORD_1 src1_sel:DWORD
	ds_read2_b32 v[32:33], v41 offset0:128 offset1:160
	ds_read2_b32 v[34:35], v41 offset0:192 offset1:224
	s_waitcnt lgkmcnt(3)
	v_pk_fma_f16 v1, v17, v56, v1
	v_pk_fma_f16 v1, v18, v57, v1
	s_waitcnt lgkmcnt(2)
	v_pk_fma_f16 v1, v30, v58, v1
	ds_read2_b32 v[21:22], v15 offset1:32
	v_pk_fma_f16 v1, v31, v59, v1
	s_waitcnt lgkmcnt(2)
	v_pk_fma_f16 v1, v32, v60, v1
	v_mul_u32_u24_sdwa v66, v36, s6 dst_sel:DWORD dst_unused:UNUSED_PAD src0_sel:WORD_0 src1_sel:DWORD
	v_mul_u32_u24_sdwa v67, v36, s6 dst_sel:DWORD dst_unused:UNUSED_PAD src0_sel:WORD_1 src1_sel:DWORD
	v_mul_u32_u24_sdwa v68, v37, s6 dst_sel:DWORD dst_unused:UNUSED_PAD src0_sel:WORD_0 src1_sel:DWORD
	v_mul_u32_u24_sdwa v69, v37, s6 dst_sel:DWORD dst_unused:UNUSED_PAD src0_sel:WORD_1 src1_sel:DWORD
	ds_read2_b32 v[36:37], v15 offset0:64 offset1:96
	v_pk_fma_f16 v1, v33, v61, v1
	s_waitcnt lgkmcnt(2)
	v_pk_fma_f16 v1, v34, v62, v1
	ds_read2_b32 v[23:24], v15 offset0:128 offset1:160
	v_pk_fma_f16 v1, v35, v63, v1
	s_waitcnt lgkmcnt(2)
	v_pk_fma_f16 v1, v21, v64, v1
	v_mul_u32_u24_sdwa v70, v38, s6 dst_sel:DWORD dst_unused:UNUSED_PAD src0_sel:WORD_0 src1_sel:DWORD
	v_mul_u32_u24_sdwa v71, v38, s6 dst_sel:DWORD dst_unused:UNUSED_PAD src0_sel:WORD_1 src1_sel:DWORD
	ds_read2_b32 v[38:39], v15 offset0:192 offset1:224
	v_pk_fma_f16 v1, v22, v65, v1
	s_waitcnt lgkmcnt(2)
	v_pk_fma_f16 v1, v36, v66, v1
	v_pk_fma_f16 v1, v37, v67, v1
	s_waitcnt lgkmcnt(1)
	v_pk_fma_f16 v1, v23, v68, v1
	;; [unrolled: 3-line block ×3, first 2 shown]
	v_pk_fma_f16 v21, v39, v71, v1
	v_mov_b32_e32 v24, v16
	; wave barrier
.LBB68_21:
	v_cmp_lt_i32_e32 vcc, v10, v6
	v_cndmask_b32_e32 v1, v5, v10, vcc
	v_lshlrev_b32_e32 v1, 2, v1
	ds_bpermute_b32 v1, v1, v24
	v_cmp_lt_i32_e32 vcc, v8, v6
	v_cndmask_b32_e32 v3, v5, v8, vcc
	v_lshlrev_b32_e32 v3, 2, v3
	v_cmp_lt_i32_e32 vcc, v9, v6
	s_waitcnt lgkmcnt(0)
	v_add_f32_e32 v1, v24, v1
	ds_bpermute_b32 v3, v3, v1
	v_cndmask_b32_e32 v7, v5, v9, vcc
	v_lshlrev_b32_e32 v7, 2, v7
	v_cmp_lt_i32_e32 vcc, v11, v6
	s_cmp_eq_u64 s[20:21], 0
	s_waitcnt lgkmcnt(0)
	v_add_f32_e32 v1, v1, v3
	ds_bpermute_b32 v3, v7, v1
	v_cndmask_b32_e32 v7, v5, v11, vcc
	v_lshlrev_b32_e32 v7, 2, v7
	v_cmp_lt_i32_e32 vcc, v12, v6
	v_cndmask_b32_e32 v5, v5, v12, vcc
	s_waitcnt lgkmcnt(0)
	v_add_f32_e32 v1, v1, v3
	ds_bpermute_b32 v3, v7, v1
	v_lshlrev_b32_e32 v5, 2, v5
	s_cselect_b64 s[6:7], -1, 0
	s_cmp_lg_u32 s9, 0
	s_cselect_b64 s[10:11], -1, 0
	s_waitcnt lgkmcnt(0)
	v_add_f32_e32 v1, v1, v3
	ds_bpermute_b32 v3, v5, v1
	s_or_b64 s[6:7], s[10:11], s[6:7]
	s_and_b64 vcc, exec, s[6:7]
	s_waitcnt lgkmcnt(0)
	v_add_f32_e32 v3, v1, v3
	s_cbranch_vccnz .LBB68_23
; %bb.22:
	s_lshl_b64 s[6:7], s[34:35], 2
	s_add_u32 s6, s20, s6
	s_addc_u32 s7, s21, s7
	v_mov_b32_e32 v1, 0
	global_load_dword v1, v1, s[6:7]
	v_max_f32_e32 v5, v2, v2
	s_mov_b32 s6, 0x3fb8aa3b
	s_mov_b32 s7, 0xc2ce8ed0
	s_waitcnt vmcnt(0)
	v_max_f32_e32 v6, v1, v1
	v_max_f32_e32 v5, v5, v6
	v_sub_f32_e32 v2, v2, v5
	v_sub_f32_e32 v1, v1, v5
	v_mul_f32_e32 v6, 0x3fb8aa3b, v2
	v_mul_f32_e32 v7, 0x3fb8aa3b, v1
	v_fma_f32 v8, v2, s6, -v6
	v_rndne_f32_e32 v9, v6
	v_fma_f32 v10, v1, s6, -v7
	v_rndne_f32_e32 v11, v7
	v_fmac_f32_e32 v8, 0x32a5705f, v2
	v_sub_f32_e32 v6, v6, v9
	v_fmac_f32_e32 v10, 0x32a5705f, v1
	v_sub_f32_e32 v7, v7, v11
	v_add_f32_e32 v6, v6, v8
	v_cvt_i32_f32_e32 v9, v9
	v_add_f32_e32 v7, v7, v10
	v_exp_f32_e32 v6, v6
	v_cvt_i32_f32_e32 v11, v11
	v_exp_f32_e32 v7, v7
	v_cmp_ngt_f32_e32 vcc, s7, v2
	v_ldexp_f32 v6, v6, v9
	s_mov_b32 s6, 0x42b17218
	v_ldexp_f32 v7, v7, v11
	v_cndmask_b32_e32 v6, 0, v6, vcc
	v_cmp_ngt_f32_e32 vcc, s7, v1
	v_mov_b32_e32 v8, 0x7f800000
	v_cndmask_b32_e32 v7, 0, v7, vcc
	v_cmp_nlt_f32_e32 vcc, s6, v2
	v_cndmask_b32_e32 v2, v8, v6, vcc
	v_cvt_f16_f32_e32 v6, v2
	v_cmp_nlt_f32_e32 vcc, s6, v1
	v_cndmask_b32_e32 v1, v8, v7, vcc
	v_fmac_f32_e32 v1, v3, v2
	v_mov_b32_e32 v3, v1
	v_mul_u32_u24_e32 v1, 0x10001, v6
	v_pk_mul_f16 v21, v21, v1
	v_mov_b32_e32 v2, v5
.LBB68_23:
	v_cmp_gt_i32_e32 vcc, s30, v20
	s_and_saveexec_b64 s[6:7], vcc
	s_cbranch_execz .LBB68_26
; %bb.24:
	v_div_scale_f32 v1, s[6:7], v3, v3, 1.0
	v_div_scale_f32 v5, vcc, 1.0, v3, 1.0
	s_mul_i32 s33, s33, s30
	v_add_u32_e32 v7, s33, v20
	s_load_dword s4, s[4:5], 0xd4
	v_mul_lo_u32 v7, v7, s31
	v_add_u32_e32 v7, s34, v7
	s_waitcnt lgkmcnt(0)
	v_mul_lo_u32 v7, s4, v7
	s_cmp_lg_u32 s4, 1
	v_rcp_f32_e32 v6, v1
	v_fma_f32 v8, -v1, v6, 1.0
	v_fmac_f32_e32 v6, v8, v6
	v_mul_f32_e32 v8, v5, v6
	v_fma_f32 v9, -v1, v8, v5
	v_fmac_f32_e32 v8, v9, v6
	v_fma_f32 v1, -v1, v8, v5
	v_div_fmas_f32 v1, v1, v6, v8
	v_cmp_eq_u32_e32 vcc, 0, v0
	v_add_u32_e32 v0, s9, v7
	v_mov_b32_e32 v5, 0
	v_lshl_add_u32 v4, v0, 6, v4
	v_lshlrev_b64 v[4:5], 2, v[4:5]
	v_cvt_f32_f16_e32 v6, v21
	v_cvt_f32_f16_sdwa v8, v21 dst_sel:DWORD dst_unused:UNUSED_PAD src0_sel:WORD_1
	v_mov_b32_e32 v9, s25
	v_add_co_u32_e64 v4, s[4:5], s24, v4
	v_addc_co_u32_e64 v5, s[4:5], v9, v5, s[4:5]
	s_cselect_b64 s[4:5], -1, 0
	v_div_fixup_f32 v1, v1, v3, 1.0
	v_cndmask_b32_e64 v1, v1, 1.0, s[4:5]
	v_mul_f32_e32 v6, v1, v6
	v_mul_f32_e32 v7, v1, v8
	s_and_b64 s[4:5], vcc, s[4:5]
	global_store_dwordx2 v[4:5], v[6:7], off
	s_and_b64 exec, exec, s[4:5]
	s_cbranch_execz .LBB68_26
; %bb.25:
	v_ashrrev_i32_e32 v1, 31, v0
	v_lshlrev_b64 v[0:1], 3, v[0:1]
	v_mov_b32_e32 v4, s27
	v_add_co_u32_e32 v0, vcc, s26, v0
	v_addc_co_u32_e32 v1, vcc, v4, v1, vcc
	global_store_dwordx2 v[0:1], v[2:3], off
.LBB68_26:
	s_endpgm
	.section	.rodata,"a",@progbits
	.p2align	6, 0x0
	.amdhsa_kernel _ZL15flash_attn_tileILi64ELi64ELi2ELi1ELb0EEvPKcS1_S1_S1_S1_PKiPfP15HIP_vector_typeIfLj2EEffffjfiS5_IjLj3EEiiiiiiiiiiiliiliiiiil
		.amdhsa_group_segment_fixed_size 4992
		.amdhsa_private_segment_fixed_size 32
		.amdhsa_kernarg_size 464
		.amdhsa_user_sgpr_count 8
		.amdhsa_user_sgpr_private_segment_buffer 1
		.amdhsa_user_sgpr_dispatch_ptr 0
		.amdhsa_user_sgpr_queue_ptr 0
		.amdhsa_user_sgpr_kernarg_segment_ptr 1
		.amdhsa_user_sgpr_dispatch_id 0
		.amdhsa_user_sgpr_flat_scratch_init 1
		.amdhsa_user_sgpr_private_segment_size 0
		.amdhsa_uses_dynamic_stack 0
		.amdhsa_system_sgpr_private_segment_wavefront_offset 1
		.amdhsa_system_sgpr_workgroup_id_x 1
		.amdhsa_system_sgpr_workgroup_id_y 1
		.amdhsa_system_sgpr_workgroup_id_z 1
		.amdhsa_system_sgpr_workgroup_info 0
		.amdhsa_system_vgpr_workitem_id 1
		.amdhsa_next_free_vgpr 72
		.amdhsa_next_free_sgpr 96
		.amdhsa_reserve_vcc 1
		.amdhsa_reserve_flat_scratch 1
		.amdhsa_float_round_mode_32 0
		.amdhsa_float_round_mode_16_64 0
		.amdhsa_float_denorm_mode_32 3
		.amdhsa_float_denorm_mode_16_64 3
		.amdhsa_dx10_clamp 1
		.amdhsa_ieee_mode 1
		.amdhsa_fp16_overflow 0
		.amdhsa_exception_fp_ieee_invalid_op 0
		.amdhsa_exception_fp_denorm_src 0
		.amdhsa_exception_fp_ieee_div_zero 0
		.amdhsa_exception_fp_ieee_overflow 0
		.amdhsa_exception_fp_ieee_underflow 0
		.amdhsa_exception_fp_ieee_inexact 0
		.amdhsa_exception_int_div_zero 0
	.end_amdhsa_kernel
	.section	.text._ZL15flash_attn_tileILi64ELi64ELi2ELi1ELb0EEvPKcS1_S1_S1_S1_PKiPfP15HIP_vector_typeIfLj2EEffffjfiS5_IjLj3EEiiiiiiiiiiiliiliiiiil,"axG",@progbits,_ZL15flash_attn_tileILi64ELi64ELi2ELi1ELb0EEvPKcS1_S1_S1_S1_PKiPfP15HIP_vector_typeIfLj2EEffffjfiS5_IjLj3EEiiiiiiiiiiiliiliiiiil,comdat
.Lfunc_end68:
	.size	_ZL15flash_attn_tileILi64ELi64ELi2ELi1ELb0EEvPKcS1_S1_S1_S1_PKiPfP15HIP_vector_typeIfLj2EEffffjfiS5_IjLj3EEiiiiiiiiiiiliiliiiiil, .Lfunc_end68-_ZL15flash_attn_tileILi64ELi64ELi2ELi1ELb0EEvPKcS1_S1_S1_S1_PKiPfP15HIP_vector_typeIfLj2EEffffjfiS5_IjLj3EEiiiiiiiiiiiliiliiiiil
                                        ; -- End function
	.set _ZL15flash_attn_tileILi64ELi64ELi2ELi1ELb0EEvPKcS1_S1_S1_S1_PKiPfP15HIP_vector_typeIfLj2EEffffjfiS5_IjLj3EEiiiiiiiiiiiliiliiiiil.num_vgpr, 72
	.set _ZL15flash_attn_tileILi64ELi64ELi2ELi1ELb0EEvPKcS1_S1_S1_S1_PKiPfP15HIP_vector_typeIfLj2EEffffjfiS5_IjLj3EEiiiiiiiiiiiliiliiiiil.num_agpr, 0
	.set _ZL15flash_attn_tileILi64ELi64ELi2ELi1ELb0EEvPKcS1_S1_S1_S1_PKiPfP15HIP_vector_typeIfLj2EEffffjfiS5_IjLj3EEiiiiiiiiiiiliiliiiiil.numbered_sgpr, 52
	.set _ZL15flash_attn_tileILi64ELi64ELi2ELi1ELb0EEvPKcS1_S1_S1_S1_PKiPfP15HIP_vector_typeIfLj2EEffffjfiS5_IjLj3EEiiiiiiiiiiiliiliiiiil.num_named_barrier, 0
	.set _ZL15flash_attn_tileILi64ELi64ELi2ELi1ELb0EEvPKcS1_S1_S1_S1_PKiPfP15HIP_vector_typeIfLj2EEffffjfiS5_IjLj3EEiiiiiiiiiiiliiliiiiil.private_seg_size, 32
	.set _ZL15flash_attn_tileILi64ELi64ELi2ELi1ELb0EEvPKcS1_S1_S1_S1_PKiPfP15HIP_vector_typeIfLj2EEffffjfiS5_IjLj3EEiiiiiiiiiiiliiliiiiil.uses_vcc, 1
	.set _ZL15flash_attn_tileILi64ELi64ELi2ELi1ELb0EEvPKcS1_S1_S1_S1_PKiPfP15HIP_vector_typeIfLj2EEffffjfiS5_IjLj3EEiiiiiiiiiiiliiliiiiil.uses_flat_scratch, 1
	.set _ZL15flash_attn_tileILi64ELi64ELi2ELi1ELb0EEvPKcS1_S1_S1_S1_PKiPfP15HIP_vector_typeIfLj2EEffffjfiS5_IjLj3EEiiiiiiiiiiiliiliiiiil.has_dyn_sized_stack, 0
	.set _ZL15flash_attn_tileILi64ELi64ELi2ELi1ELb0EEvPKcS1_S1_S1_S1_PKiPfP15HIP_vector_typeIfLj2EEffffjfiS5_IjLj3EEiiiiiiiiiiiliiliiiiil.has_recursion, 0
	.set _ZL15flash_attn_tileILi64ELi64ELi2ELi1ELb0EEvPKcS1_S1_S1_S1_PKiPfP15HIP_vector_typeIfLj2EEffffjfiS5_IjLj3EEiiiiiiiiiiiliiliiiiil.has_indirect_call, 0
	.section	.AMDGPU.csdata,"",@progbits
; Kernel info:
; codeLenInByte = 8000
; TotalNumSgprs: 58
; NumVgprs: 72
; ScratchSize: 32
; MemoryBound: 0
; FloatMode: 240
; IeeeMode: 1
; LDSByteSize: 4992 bytes/workgroup (compile time only)
; SGPRBlocks: 12
; VGPRBlocks: 17
; NumSGPRsForWavesPerEU: 102
; NumVGPRsForWavesPerEU: 72
; Occupancy: 3
; WaveLimiterHint : 1
; COMPUTE_PGM_RSRC2:SCRATCH_EN: 1
; COMPUTE_PGM_RSRC2:USER_SGPR: 8
; COMPUTE_PGM_RSRC2:TRAP_HANDLER: 0
; COMPUTE_PGM_RSRC2:TGID_X_EN: 1
; COMPUTE_PGM_RSRC2:TGID_Y_EN: 1
; COMPUTE_PGM_RSRC2:TGID_Z_EN: 1
; COMPUTE_PGM_RSRC2:TIDIG_COMP_CNT: 1
	.section	.text._ZL33flash_attn_stream_k_fixup_uniformILi64ELi2ELi1EEvPfPK15HIP_vector_typeIfLj2EEiiiiiiS1_IjLj3EES5_S5_,"axG",@progbits,_ZL33flash_attn_stream_k_fixup_uniformILi64ELi2ELi1EEvPfPK15HIP_vector_typeIfLj2EEiiiiiiS1_IjLj3EES5_S5_,comdat
	.globl	_ZL33flash_attn_stream_k_fixup_uniformILi64ELi2ELi1EEvPfPK15HIP_vector_typeIfLj2EEiiiiiiS1_IjLj3EES5_S5_ ; -- Begin function _ZL33flash_attn_stream_k_fixup_uniformILi64ELi2ELi1EEvPfPK15HIP_vector_typeIfLj2EEiiiiiiS1_IjLj3EES5_S5_
	.p2align	8
	.type	_ZL33flash_attn_stream_k_fixup_uniformILi64ELi2ELi1EEvPfPK15HIP_vector_typeIfLj2EEiiiiiiS1_IjLj3EES5_S5_,@function
_ZL33flash_attn_stream_k_fixup_uniformILi64ELi2ELi1EEvPfPK15HIP_vector_typeIfLj2EEiiiiiiS1_IjLj3EES5_S5_: ; @_ZL33flash_attn_stream_k_fixup_uniformILi64ELi2ELi1EEvPfPK15HIP_vector_typeIfLj2EEiiiiiiS1_IjLj3EES5_S5_
; %bb.0:
	s_load_dwordx8 s[12:19], s[4:5], 0x1c
	s_load_dwordx2 s[10:11], s[4:5], 0x10
	s_load_dwordx4 s[0:3], s[4:5], 0x3c
	s_waitcnt lgkmcnt(0)
	s_mul_hi_u32 s9, s15, s6
	s_add_i32 s9, s6, s9
	s_lshr_b32 s9, s9, s16
	s_mul_i32 s15, s9, s17
	s_sub_i32 s15, s6, s15
	s_mul_hi_u32 s16, s15, s18
	s_add_i32 s16, s15, s16
	s_lshr_b32 s16, s16, s19
	s_mul_i32 s0, s16, s0
	s_sub_i32 s0, s15, s0
	s_mul_hi_u32 s1, s0, s1
	s_add_i32 s1, s0, s1
	s_lshr_b32 s15, s1, s2
	s_mul_i32 s1, s15, s3
	s_sub_i32 s17, s0, s1
	s_lshl_b32 s0, s17, 1
	s_add_i32 s0, s0, s7
	s_cmp_lt_i32 s0, s10
	s_cselect_b64 s[0:1], -1, 0
	s_add_i32 s2, s15, s8
	s_cmp_lt_i32 s2, s13
	s_cselect_b64 s[2:3], -1, 0
	s_and_b64 s[0:1], s[0:1], s[2:3]
	s_andn2_b64 vcc, exec, s[0:1]
	s_cbranch_vccnz .LBB69_6
; %bb.1:
	s_load_dwordx4 s[0:3], s[4:5], 0x0
	s_mul_i32 s4, s9, s10
	s_add_i32 s4, s4, s7
	s_mul_i32 s4, s4, s11
	s_mul_i32 s16, s16, s13
	s_add_i32 s4, s4, s8
	s_add_i32 s4, s4, s16
	s_mul_i32 s5, s11, s17
	s_add_i32 s4, s4, s15
	s_lshl_b32 s5, s5, 7
	s_lshl_b32 s4, s4, 6
	s_add_i32 s5, s5, s4
	v_or_b32_e32 v1, s5, v0
	v_ashrrev_i32_e32 v2, 31, v1
	v_lshlrev_b64 v[1:2], 2, v[1:2]
	s_waitcnt lgkmcnt(0)
	v_mov_b32_e32 v3, s1
	v_add_co_u32_e32 v1, vcc, s0, v1
	v_addc_co_u32_e32 v2, vcc, v3, v2, vcc
	global_load_dword v8, v[1:2], off
	s_add_i32 s4, s7, s8
	s_mul_i32 s7, s14, s6
	s_add_i32 s5, s7, s14
	s_lshl_b32 s0, s5, 1
	s_add_i32 s0, s4, s0
	s_add_i32 s0, s0, -2
	s_ashr_i32 s1, s0, 31
	s_lshl_b64 s[0:1], s[0:1], 3
	s_add_u32 s0, s2, s0
	s_addc_u32 s1, s3, s1
	s_load_dword s10, s[0:1], 0x4
	s_add_i32 s8, s5, -2
	s_cmp_lt_i32 s8, s7
	s_cbranch_scc1 .LBB69_4
; %bb.2:
	s_lshl_b32 s8, s12, 3
	s_ashr_i32 s9, s8, 31
	s_lshl_b64 s[8:9], s[8:9], 2
	s_add_u32 s8, s2, s8
	s_addc_u32 s11, s3, s9
	s_add_i32 s6, s6, 1
	s_add_i32 s9, s5, -1
	s_mul_i32 s5, s14, s6
	s_load_dword s0, s[0:1], 0x0
	s_lshl_b32 s1, s4, 6
	s_lshl_b32 s6, s5, 7
	s_add_i32 s1, s1, s6
	v_or_b32_e32 v0, s1, v0
	s_lshl_b32 s1, s5, 1
	s_add_i32 s1, s4, s1
	s_lshl_b32 s4, s12, 1
	s_add_i32 s1, s1, s4
	v_add_u32_e32 v3, 0xffffff00, v0
	s_add_i32 s4, s1, -4
	s_waitcnt lgkmcnt(0)
	v_mov_b32_e32 v7, s10
	v_mov_b32_e32 v6, s0
	;; [unrolled: 1-line block ×3, first 2 shown]
	s_mov_b32 s6, 0x3fb8aa3b
	s_mov_b32 s10, 0xc2ce8ed0
	;; [unrolled: 1-line block ×3, first 2 shown]
	v_mov_b32_e32 v5, 0x7f800000
	s_mov_b32 s12, 0xc1a00000
.LBB69_3:                               ; =>This Inner Loop Header: Depth=1
	v_ashrrev_i32_e32 v4, 31, v3
	v_lshlrev_b64 v[9:10], 2, v[3:4]
	s_ashr_i32 s5, s4, 31
	v_add_co_u32_e32 v9, vcc, s8, v9
	v_addc_co_u32_e32 v10, vcc, v0, v10, vcc
	global_load_dword v4, v[9:10], off
	s_lshl_b64 s[0:1], s[4:5], 3
	s_add_u32 s0, s2, s0
	s_addc_u32 s1, s3, s1
	s_load_dwordx2 s[14:15], s[0:1], 0x0
	s_waitcnt vmcnt(1)
	v_mov_b32_e32 v9, v8
	v_max_f32_e32 v8, v6, v6
	v_mov_b32_e32 v10, v7
	s_add_i32 s9, s9, -1
	s_waitcnt lgkmcnt(0)
	v_max_f32_e64 v7, s14, s14
	v_max_f32_e32 v7, v8, v7
	v_sub_f32_e32 v11, s14, v7
	v_sub_f32_e32 v8, v6, v7
	v_mul_f32_e32 v12, 0x3fb8aa3b, v11
	v_mov_b32_e32 v6, v7
	v_mul_f32_e32 v7, 0x3fb8aa3b, v8
	v_fma_f32 v15, v11, s6, -v12
	v_rndne_f32_e32 v16, v12
	v_fma_f32 v13, v8, s6, -v7
	v_rndne_f32_e32 v14, v7
	v_fmac_f32_e32 v15, 0x32a5705f, v11
	v_sub_f32_e32 v12, v12, v16
	v_fmac_f32_e32 v13, 0x32a5705f, v8
	v_sub_f32_e32 v7, v7, v14
	v_add_f32_e32 v12, v12, v15
	v_cvt_i32_f32_e32 v16, v16
	v_add_f32_e32 v7, v7, v13
	v_exp_f32_e32 v12, v12
	v_cvt_i32_f32_e32 v14, v14
	v_exp_f32_e32 v7, v7
	v_cmp_ngt_f32_e32 vcc, s10, v11
	v_ldexp_f32 v12, v12, v16
	v_cmp_ngt_f32_e64 s[0:1], s10, v8
	v_ldexp_f32 v7, v7, v14
	v_cndmask_b32_e32 v12, 0, v12, vcc
	v_cmp_nlt_f32_e32 vcc, s11, v11
	v_cndmask_b32_e64 v7, 0, v7, s[0:1]
	v_cmp_nlt_f32_e64 s[0:1], s11, v8
	v_cndmask_b32_e32 v12, v5, v12, vcc
	v_cmp_le_f32_e32 vcc, s12, v11
	v_cndmask_b32_e64 v7, v5, v7, s[0:1]
	v_cmp_le_f32_e64 s[0:1], s12, v8
	v_cndmask_b32_e32 v8, 0, v12, vcc
	s_add_i32 s4, s4, -2
	v_cndmask_b32_e64 v11, 0, v7, s[0:1]
	v_mul_f32_e32 v7, s15, v8
	v_add_u32_e32 v3, 0xffffff80, v3
	s_cmp_le_i32 s9, s7
	v_fmac_f32_e32 v7, v10, v11
	s_waitcnt vmcnt(0)
	v_mul_f32_e32 v8, v4, v8
	v_fmac_f32_e32 v8, v9, v11
	s_cbranch_scc0 .LBB69_3
	s_branch .LBB69_5
.LBB69_4:
	s_waitcnt lgkmcnt(0)
	v_mov_b32_e32 v7, s10
.LBB69_5:
	s_waitcnt vmcnt(0)
	v_div_scale_f32 v0, s[0:1], v7, v7, v8
	v_div_scale_f32 v3, vcc, v8, v7, v8
	v_rcp_f32_e32 v4, v0
	v_fma_f32 v5, -v0, v4, 1.0
	v_fmac_f32_e32 v4, v5, v4
	v_mul_f32_e32 v5, v3, v4
	v_fma_f32 v6, -v0, v5, v3
	v_fmac_f32_e32 v5, v6, v4
	v_fma_f32 v0, -v0, v5, v3
	v_div_fmas_f32 v0, v0, v4, v5
	v_div_fixup_f32 v0, v0, v7, v8
	global_store_dword v[1:2], v0, off
.LBB69_6:
	s_endpgm
	.section	.rodata,"a",@progbits
	.p2align	6, 0x0
	.amdhsa_kernel _ZL33flash_attn_stream_k_fixup_uniformILi64ELi2ELi1EEvPfPK15HIP_vector_typeIfLj2EEiiiiiiS1_IjLj3EES5_S5_
		.amdhsa_group_segment_fixed_size 0
		.amdhsa_private_segment_fixed_size 0
		.amdhsa_kernarg_size 76
		.amdhsa_user_sgpr_count 6
		.amdhsa_user_sgpr_private_segment_buffer 1
		.amdhsa_user_sgpr_dispatch_ptr 0
		.amdhsa_user_sgpr_queue_ptr 0
		.amdhsa_user_sgpr_kernarg_segment_ptr 1
		.amdhsa_user_sgpr_dispatch_id 0
		.amdhsa_user_sgpr_flat_scratch_init 0
		.amdhsa_user_sgpr_private_segment_size 0
		.amdhsa_uses_dynamic_stack 0
		.amdhsa_system_sgpr_private_segment_wavefront_offset 0
		.amdhsa_system_sgpr_workgroup_id_x 1
		.amdhsa_system_sgpr_workgroup_id_y 1
		.amdhsa_system_sgpr_workgroup_id_z 1
		.amdhsa_system_sgpr_workgroup_info 0
		.amdhsa_system_vgpr_workitem_id 0
		.amdhsa_next_free_vgpr 17
		.amdhsa_next_free_sgpr 20
		.amdhsa_reserve_vcc 1
		.amdhsa_reserve_flat_scratch 0
		.amdhsa_float_round_mode_32 0
		.amdhsa_float_round_mode_16_64 0
		.amdhsa_float_denorm_mode_32 3
		.amdhsa_float_denorm_mode_16_64 3
		.amdhsa_dx10_clamp 1
		.amdhsa_ieee_mode 1
		.amdhsa_fp16_overflow 0
		.amdhsa_exception_fp_ieee_invalid_op 0
		.amdhsa_exception_fp_denorm_src 0
		.amdhsa_exception_fp_ieee_div_zero 0
		.amdhsa_exception_fp_ieee_overflow 0
		.amdhsa_exception_fp_ieee_underflow 0
		.amdhsa_exception_fp_ieee_inexact 0
		.amdhsa_exception_int_div_zero 0
	.end_amdhsa_kernel
	.section	.text._ZL33flash_attn_stream_k_fixup_uniformILi64ELi2ELi1EEvPfPK15HIP_vector_typeIfLj2EEiiiiiiS1_IjLj3EES5_S5_,"axG",@progbits,_ZL33flash_attn_stream_k_fixup_uniformILi64ELi2ELi1EEvPfPK15HIP_vector_typeIfLj2EEiiiiiiS1_IjLj3EES5_S5_,comdat
.Lfunc_end69:
	.size	_ZL33flash_attn_stream_k_fixup_uniformILi64ELi2ELi1EEvPfPK15HIP_vector_typeIfLj2EEiiiiiiS1_IjLj3EES5_S5_, .Lfunc_end69-_ZL33flash_attn_stream_k_fixup_uniformILi64ELi2ELi1EEvPfPK15HIP_vector_typeIfLj2EEiiiiiiS1_IjLj3EES5_S5_
                                        ; -- End function
	.set _ZL33flash_attn_stream_k_fixup_uniformILi64ELi2ELi1EEvPfPK15HIP_vector_typeIfLj2EEiiiiiiS1_IjLj3EES5_S5_.num_vgpr, 17
	.set _ZL33flash_attn_stream_k_fixup_uniformILi64ELi2ELi1EEvPfPK15HIP_vector_typeIfLj2EEiiiiiiS1_IjLj3EES5_S5_.num_agpr, 0
	.set _ZL33flash_attn_stream_k_fixup_uniformILi64ELi2ELi1EEvPfPK15HIP_vector_typeIfLj2EEiiiiiiS1_IjLj3EES5_S5_.numbered_sgpr, 20
	.set _ZL33flash_attn_stream_k_fixup_uniformILi64ELi2ELi1EEvPfPK15HIP_vector_typeIfLj2EEiiiiiiS1_IjLj3EES5_S5_.num_named_barrier, 0
	.set _ZL33flash_attn_stream_k_fixup_uniformILi64ELi2ELi1EEvPfPK15HIP_vector_typeIfLj2EEiiiiiiS1_IjLj3EES5_S5_.private_seg_size, 0
	.set _ZL33flash_attn_stream_k_fixup_uniformILi64ELi2ELi1EEvPfPK15HIP_vector_typeIfLj2EEiiiiiiS1_IjLj3EES5_S5_.uses_vcc, 1
	.set _ZL33flash_attn_stream_k_fixup_uniformILi64ELi2ELi1EEvPfPK15HIP_vector_typeIfLj2EEiiiiiiS1_IjLj3EES5_S5_.uses_flat_scratch, 0
	.set _ZL33flash_attn_stream_k_fixup_uniformILi64ELi2ELi1EEvPfPK15HIP_vector_typeIfLj2EEiiiiiiS1_IjLj3EES5_S5_.has_dyn_sized_stack, 0
	.set _ZL33flash_attn_stream_k_fixup_uniformILi64ELi2ELi1EEvPfPK15HIP_vector_typeIfLj2EEiiiiiiS1_IjLj3EES5_S5_.has_recursion, 0
	.set _ZL33flash_attn_stream_k_fixup_uniformILi64ELi2ELi1EEvPfPK15HIP_vector_typeIfLj2EEiiiiiiS1_IjLj3EES5_S5_.has_indirect_call, 0
	.section	.AMDGPU.csdata,"",@progbits
; Kernel info:
; codeLenInByte = 836
; TotalNumSgprs: 24
; NumVgprs: 17
; ScratchSize: 0
; MemoryBound: 0
; FloatMode: 240
; IeeeMode: 1
; LDSByteSize: 0 bytes/workgroup (compile time only)
; SGPRBlocks: 2
; VGPRBlocks: 4
; NumSGPRsForWavesPerEU: 24
; NumVGPRsForWavesPerEU: 17
; Occupancy: 10
; WaveLimiterHint : 0
; COMPUTE_PGM_RSRC2:SCRATCH_EN: 0
; COMPUTE_PGM_RSRC2:USER_SGPR: 6
; COMPUTE_PGM_RSRC2:TRAP_HANDLER: 0
; COMPUTE_PGM_RSRC2:TGID_X_EN: 1
; COMPUTE_PGM_RSRC2:TGID_Y_EN: 1
; COMPUTE_PGM_RSRC2:TGID_Z_EN: 1
; COMPUTE_PGM_RSRC2:TIDIG_COMP_CNT: 0
	.section	.text._ZL33flash_attn_stream_k_fixup_generalILi64ELi2ELi1EEvPfPK15HIP_vector_typeIfLj2EEiiiiS1_IjLj3EES5_S5_S5_,"axG",@progbits,_ZL33flash_attn_stream_k_fixup_generalILi64ELi2ELi1EEvPfPK15HIP_vector_typeIfLj2EEiiiiS1_IjLj3EES5_S5_S5_,comdat
	.globl	_ZL33flash_attn_stream_k_fixup_generalILi64ELi2ELi1EEvPfPK15HIP_vector_typeIfLj2EEiiiiS1_IjLj3EES5_S5_S5_ ; -- Begin function _ZL33flash_attn_stream_k_fixup_generalILi64ELi2ELi1EEvPfPK15HIP_vector_typeIfLj2EEiiiiS1_IjLj3EES5_S5_S5_
	.p2align	8
	.type	_ZL33flash_attn_stream_k_fixup_generalILi64ELi2ELi1EEvPfPK15HIP_vector_typeIfLj2EEiiiiS1_IjLj3EES5_S5_S5_,@function
_ZL33flash_attn_stream_k_fixup_generalILi64ELi2ELi1EEvPfPK15HIP_vector_typeIfLj2EEiiiiS1_IjLj3EES5_S5_S5_: ; @_ZL33flash_attn_stream_k_fixup_generalILi64ELi2ELi1EEvPfPK15HIP_vector_typeIfLj2EEiiiiS1_IjLj3EES5_S5_S5_
; %bb.0:
	s_load_dwordx4 s[0:3], s[4:5], 0x10
	s_load_dword s22, s[4:5], 0x50
	s_mov_b32 s12, 0
	s_waitcnt lgkmcnt(0)
	s_mul_hi_i32 s13, s3, s6
	s_cmp_lg_u64 s[12:13], 0
	s_mul_i32 s9, s3, s6
	s_cbranch_scc0 .LBB70_20
; %bb.1:
	s_add_u32 s10, s22, 0
	s_addc_u32 s11, 0, 0
	s_xor_b64 s[10:11], s[10:11], 0
	v_cvt_f32_u32_e32 v1, s10
	v_cvt_f32_u32_e32 v2, s11
	s_sub_u32 s12, 0, s10
	s_subb_u32 s18, 0, s11
	v_madmk_f32 v1, v2, 0x4f800000, v1
	v_rcp_f32_e32 v1, v1
	v_mul_f32_e32 v1, 0x5f7ffffc, v1
	v_mul_f32_e32 v2, 0x2f800000, v1
	v_trunc_f32_e32 v2, v2
	v_madmk_f32 v1, v2, 0xcf800000, v1
	v_cvt_u32_f32_e32 v2, v2
	v_cvt_u32_f32_e32 v1, v1
	v_readfirstlane_b32 s19, v2
	v_readfirstlane_b32 s14, v1
	s_mul_i32 s15, s12, s19
	s_mul_hi_u32 s21, s12, s14
	s_mul_i32 s20, s18, s14
	s_add_i32 s15, s21, s15
	s_add_i32 s15, s15, s20
	s_mul_i32 s23, s12, s14
	s_mul_i32 s21, s14, s15
	s_mul_hi_u32 s24, s14, s23
	s_mul_hi_u32 s20, s14, s15
	s_add_u32 s21, s24, s21
	s_addc_u32 s20, 0, s20
	s_mul_hi_u32 s25, s19, s23
	s_mul_i32 s23, s19, s23
	s_add_u32 s21, s21, s23
	s_mul_hi_u32 s24, s19, s15
	s_addc_u32 s20, s20, s25
	s_addc_u32 s21, s24, 0
	s_mul_i32 s15, s19, s15
	s_add_u32 s15, s20, s15
	s_addc_u32 s20, 0, s21
	s_add_u32 s21, s14, s15
	s_cselect_b64 s[14:15], -1, 0
	s_cmp_lg_u64 s[14:15], 0
	s_addc_u32 s19, s19, s20
	s_mul_i32 s14, s12, s19
	s_mul_hi_u32 s15, s12, s21
	s_add_i32 s14, s15, s14
	s_mul_i32 s18, s18, s21
	s_add_i32 s14, s14, s18
	s_mul_i32 s12, s12, s21
	s_mul_hi_u32 s18, s19, s12
	s_mul_i32 s20, s19, s12
	s_mul_i32 s24, s21, s14
	s_mul_hi_u32 s12, s21, s12
	s_mul_hi_u32 s23, s21, s14
	s_add_u32 s12, s12, s24
	s_addc_u32 s23, 0, s23
	s_add_u32 s12, s12, s20
	s_mul_hi_u32 s15, s19, s14
	s_addc_u32 s12, s23, s18
	s_addc_u32 s15, s15, 0
	s_mul_i32 s14, s19, s14
	s_add_u32 s12, s12, s14
	s_addc_u32 s18, 0, s15
	s_add_u32 s20, s21, s12
	s_cselect_b64 s[14:15], -1, 0
	s_cmp_lg_u64 s[14:15], 0
	s_addc_u32 s18, s19, s18
	s_ashr_i32 s14, s13, 31
	s_add_u32 s12, s9, s14
	s_mov_b32 s15, s14
	s_addc_u32 s13, s13, s14
	s_xor_b64 s[12:13], s[12:13], s[14:15]
	s_mul_i32 s21, s12, s18
	s_mul_hi_u32 s23, s12, s20
	s_mul_hi_u32 s19, s12, s18
	s_add_u32 s21, s23, s21
	s_addc_u32 s19, 0, s19
	s_mul_hi_u32 s24, s13, s20
	s_mul_i32 s20, s13, s20
	s_add_u32 s20, s21, s20
	s_mul_hi_u32 s23, s13, s18
	s_addc_u32 s19, s19, s24
	s_addc_u32 s20, s23, 0
	s_mul_i32 s18, s13, s18
	s_add_u32 s23, s19, s18
	s_addc_u32 s24, 0, s20
	s_mul_i32 s18, s10, s24
	s_mul_hi_u32 s19, s10, s23
	s_add_i32 s18, s19, s18
	s_mul_i32 s19, s11, s23
	s_add_i32 s25, s18, s19
	s_sub_i32 s20, s13, s25
	s_mul_i32 s18, s10, s23
	s_sub_u32 s12, s12, s18
	s_cselect_b64 s[18:19], -1, 0
	s_cmp_lg_u64 s[18:19], 0
	s_subb_u32 s26, s20, s11
	s_sub_u32 s27, s12, s10
	s_cselect_b64 s[20:21], -1, 0
	s_cmp_lg_u64 s[20:21], 0
	s_subb_u32 s20, s26, 0
	s_cmp_ge_u32 s20, s11
	s_cselect_b32 s21, -1, 0
	s_cmp_ge_u32 s27, s10
	s_cselect_b32 s26, -1, 0
	s_cmp_eq_u32 s20, s11
	s_cselect_b32 s20, s26, s21
	s_add_u32 s21, s23, 1
	s_addc_u32 s26, s24, 0
	s_add_u32 s27, s23, 2
	s_addc_u32 s28, s24, 0
	s_cmp_lg_u32 s20, 0
	s_cselect_b32 s20, s27, s21
	s_cselect_b32 s21, s28, s26
	s_cmp_lg_u64 s[18:19], 0
	s_subb_u32 s13, s13, s25
	s_cmp_ge_u32 s13, s11
	s_cselect_b32 s18, -1, 0
	s_cmp_ge_u32 s12, s10
	s_cselect_b32 s10, -1, 0
	s_cmp_eq_u32 s13, s11
	s_cselect_b32 s10, s10, s18
	s_cmp_lg_u32 s10, 0
	s_cselect_b32 s11, s21, s24
	s_cselect_b32 s10, s20, s23
	s_xor_b64 s[12:13], s[14:15], 0
	s_xor_b64 s[10:11], s[10:11], s[12:13]
	s_sub_u32 s10, s10, s12
	s_load_dwordx4 s[12:15], s[4:5], 0x44
	s_cbranch_execnz .LBB70_3
.LBB70_2:
	v_cvt_f32_u32_e32 v1, s22
	s_sub_i32 s10, 0, s22
	v_rcp_iflag_f32_e32 v1, v1
	v_mul_f32_e32 v1, 0x4f7ffffe, v1
	v_cvt_u32_f32_e32 v1, v1
	v_readfirstlane_b32 s11, v1
	s_mul_i32 s10, s10, s11
	s_mul_hi_u32 s10, s11, s10
	s_add_i32 s11, s11, s10
	s_mul_hi_u32 s10, s9, s11
	s_waitcnt lgkmcnt(0)
	s_mul_i32 s15, s10, s22
	s_sub_i32 s9, s9, s15
	s_add_i32 s11, s10, 1
	s_sub_i32 s15, s9, s22
	s_cmp_ge_u32 s9, s22
	s_cselect_b32 s10, s11, s10
	s_cselect_b32 s9, s15, s9
	s_add_i32 s11, s10, 1
	s_cmp_ge_u32 s9, s22
	s_cselect_b32 s10, s11, s10
.LBB70_3:
	s_add_i32 s9, s6, 1
	s_mul_hi_i32 s21, s3, s9
	s_mov_b32 s20, 0
	s_cmp_lg_u64 s[20:21], 0
	s_mul_i32 s9, s3, s9
	s_cbranch_scc0 .LBB70_21
; %bb.4:
	s_add_u32 s16, s22, 0
	s_addc_u32 s17, 0, 0
	s_xor_b64 s[18:19], s[16:17], 0
	v_cvt_f32_u32_e32 v1, s18
	v_cvt_f32_u32_e32 v2, s19
	s_sub_u32 s11, 0, s18
	s_waitcnt lgkmcnt(0)
	s_subb_u32 s15, 0, s19
	v_madmk_f32 v1, v2, 0x4f800000, v1
	v_rcp_f32_e32 v1, v1
	v_mul_f32_e32 v1, 0x5f7ffffc, v1
	v_mul_f32_e32 v2, 0x2f800000, v1
	v_trunc_f32_e32 v2, v2
	v_madmk_f32 v1, v2, 0xcf800000, v1
	v_cvt_u32_f32_e32 v2, v2
	v_cvt_u32_f32_e32 v1, v1
	v_readfirstlane_b32 s20, v2
	v_readfirstlane_b32 s23, v1
	s_mul_i32 s24, s11, s20
	s_mul_hi_u32 s26, s11, s23
	s_mul_i32 s25, s15, s23
	s_add_i32 s24, s26, s24
	s_add_i32 s24, s24, s25
	s_mul_i32 s27, s11, s23
	s_mul_i32 s26, s23, s24
	s_mul_hi_u32 s28, s23, s27
	s_mul_hi_u32 s25, s23, s24
	s_add_u32 s26, s28, s26
	s_addc_u32 s25, 0, s25
	s_mul_hi_u32 s29, s20, s27
	s_mul_i32 s27, s20, s27
	s_add_u32 s26, s26, s27
	s_mul_hi_u32 s28, s20, s24
	s_addc_u32 s25, s25, s29
	s_addc_u32 s26, s28, 0
	s_mul_i32 s24, s20, s24
	s_add_u32 s24, s25, s24
	s_addc_u32 s26, 0, s26
	s_add_u32 s23, s23, s24
	s_cselect_b64 s[24:25], -1, 0
	s_cmp_lg_u64 s[24:25], 0
	s_addc_u32 s20, s20, s26
	s_mul_i32 s24, s11, s20
	s_mul_hi_u32 s25, s11, s23
	s_add_i32 s24, s25, s24
	s_mul_i32 s15, s15, s23
	s_add_i32 s24, s24, s15
	s_mul_i32 s11, s11, s23
	s_mul_hi_u32 s25, s20, s11
	s_mul_i32 s26, s20, s11
	s_mul_i32 s28, s23, s24
	s_mul_hi_u32 s11, s23, s11
	s_mul_hi_u32 s27, s23, s24
	s_add_u32 s11, s11, s28
	s_addc_u32 s27, 0, s27
	s_add_u32 s11, s11, s26
	s_mul_hi_u32 s15, s20, s24
	s_addc_u32 s11, s27, s25
	s_addc_u32 s15, s15, 0
	s_mul_i32 s24, s20, s24
	s_add_u32 s11, s11, s24
	s_addc_u32 s15, 0, s15
	s_add_u32 s11, s23, s11
	s_cselect_b64 s[24:25], -1, 0
	s_cmp_lg_u64 s[24:25], 0
	s_addc_u32 s15, s20, s15
	s_ashr_i32 s24, s21, 31
	s_add_u32 s20, s9, s24
	s_mov_b32 s25, s24
	s_addc_u32 s21, s21, s24
	s_xor_b64 s[20:21], s[20:21], s[24:25]
	s_mul_i32 s26, s20, s15
	s_mul_hi_u32 s27, s20, s11
	s_mul_hi_u32 s23, s20, s15
	s_add_u32 s26, s27, s26
	s_addc_u32 s23, 0, s23
	s_mul_hi_u32 s28, s21, s11
	s_mul_i32 s11, s21, s11
	s_add_u32 s11, s26, s11
	s_mul_hi_u32 s27, s21, s15
	s_addc_u32 s11, s23, s28
	s_addc_u32 s23, s27, 0
	s_mul_i32 s15, s21, s15
	s_add_u32 s11, s11, s15
	s_addc_u32 s15, 0, s23
	s_mul_i32 s23, s18, s15
	s_mul_hi_u32 s26, s18, s11
	s_add_i32 s23, s26, s23
	s_mul_i32 s26, s19, s11
	s_add_i32 s23, s23, s26
	s_sub_i32 s28, s21, s23
	s_mul_i32 s26, s18, s11
	s_sub_u32 s20, s20, s26
	s_cselect_b64 s[26:27], -1, 0
	s_cmp_lg_u64 s[26:27], 0
	s_subb_u32 s30, s28, s19
	s_sub_u32 s31, s20, s18
	s_cselect_b64 s[28:29], -1, 0
	s_cmp_lg_u64 s[28:29], 0
	s_subb_u32 s28, s30, 0
	s_cmp_ge_u32 s28, s19
	s_cselect_b32 s29, -1, 0
	s_cmp_ge_u32 s31, s18
	s_cselect_b32 s30, -1, 0
	s_cmp_eq_u32 s28, s19
	s_cselect_b32 s28, s30, s29
	s_add_u32 s29, s11, 1
	s_addc_u32 s30, s15, 0
	s_add_u32 s31, s11, 2
	s_addc_u32 s33, s15, 0
	s_cmp_lg_u32 s28, 0
	s_cselect_b32 s28, s31, s29
	s_cselect_b32 s29, s33, s30
	s_cmp_lg_u64 s[26:27], 0
	s_subb_u32 s21, s21, s23
	s_cmp_ge_u32 s21, s19
	s_cselect_b32 s23, -1, 0
	s_cmp_ge_u32 s20, s18
	s_cselect_b32 s18, -1, 0
	s_cmp_eq_u32 s21, s19
	s_cselect_b32 s18, s18, s23
	s_cmp_lg_u32 s18, 0
	s_cselect_b32 s19, s29, s15
	s_cselect_b32 s18, s28, s11
	s_xor_b64 s[20:21], s[24:25], 0
	s_xor_b64 s[18:19], s[18:19], s[20:21]
	s_sub_u32 s18, s18, s20
	s_cbranch_execnz .LBB70_6
.LBB70_5:
	v_cvt_f32_u32_e32 v1, s22
	s_sub_i32 s11, 0, s22
	v_rcp_iflag_f32_e32 v1, v1
	v_mul_f32_e32 v1, 0x4f7ffffe, v1
	v_cvt_u32_f32_e32 v1, v1
	s_waitcnt lgkmcnt(0)
	v_readfirstlane_b32 s15, v1
	s_mul_i32 s11, s11, s15
	s_mul_hi_u32 s11, s15, s11
	s_add_i32 s15, s15, s11
	s_mul_hi_u32 s11, s9, s15
	s_mul_i32 s16, s11, s22
	s_sub_i32 s9, s9, s16
	s_add_i32 s15, s11, 1
	s_sub_i32 s16, s9, s22
	s_cmp_ge_u32 s9, s22
	s_cselect_b32 s11, s15, s11
	s_cselect_b32 s9, s16, s9
	s_add_i32 s15, s11, 1
	s_cmp_ge_u32 s9, s22
	s_cselect_b32 s18, s15, s11
.LBB70_6:
	s_cmp_eq_u32 s10, s18
	s_waitcnt lgkmcnt(0)
	s_mul_hi_u32 s9, s10, s12
	s_cselect_b64 s[16:17], -1, 0
	s_add_i32 s9, s9, s10
	s_lshr_b32 s11, s9, s13
	s_mul_i32 s9, s11, s14
	s_cmp_eq_u32 s9, s10
	s_mul_hi_u32 s9, s18, s12
	s_cselect_b64 s[20:21], -1, 0
	s_add_i32 s9, s9, s18
	s_lshr_b32 s9, s9, s13
	s_cmp_eq_u32 s11, s9
	s_mul_i32 s9, s9, s14
	s_cselect_b64 s[24:25], -1, 0
	s_cmp_lg_u32 s9, s18
	s_cselect_b64 s[18:19], -1, 0
	s_and_b64 s[18:19], s[24:25], s[18:19]
	s_or_b64 s[16:17], s[16:17], s[20:21]
	s_or_b64 s[16:17], s[16:17], s[18:19]
	s_and_b64 vcc, exec, s[16:17]
	s_cbranch_vccnz .LBB70_23
; %bb.7:
	s_load_dwordx8 s[24:31], s[4:5], 0x20
	s_load_dword s15, s[4:5], 0x40
	s_waitcnt lgkmcnt(0)
	s_mul_hi_u32 s9, s10, s24
	s_add_i32 s9, s9, s10
	s_lshr_b32 s9, s9, s25
	s_mul_i32 s16, s9, s26
	s_sub_i32 s16, s10, s16
	s_mul_hi_u32 s17, s16, s27
	s_add_i32 s17, s16, s17
	s_lshr_b32 s24, s17, s28
	s_mul_i32 s17, s24, s29
	s_sub_i32 s16, s16, s17
	;; [unrolled: 5-line block ×3, first 2 shown]
	s_mul_hi_u32 s16, s15, s12
	s_add_i32 s15, s15, s16
	s_lshr_b32 s25, s15, s13
	s_lshl_b32 s15, s25, 1
	s_add_i32 s15, s15, s7
	s_cmp_lt_i32 s15, s0
	s_cselect_b64 s[16:17], -1, 0
	s_add_i32 s15, s23, s8
	s_cmp_lt_i32 s15, s2
	s_cselect_b64 s[18:19], -1, 0
	s_and_b64 s[16:17], s[16:17], s[18:19]
	s_andn2_b64 vcc, exec, s[16:17]
	s_cbranch_vccnz .LBB70_23
; %bb.8:
	s_load_dwordx4 s[16:19], s[4:5], 0x0
	s_mov_b32 s4, 0
	s_lshl_b32 s20, s22, 3
	s_mov_b32 s21, s4
	s_add_i32 s15, s7, s8
	s_lshl_b64 s[20:21], s[20:21], 2
	s_waitcnt lgkmcnt(0)
	s_add_u32 s20, s18, s20
	s_mul_i32 s0, s9, s0
	s_addc_u32 s21, s19, s21
	s_add_i32 s0, s0, s7
	s_mul_i32 s0, s0, s1
	s_mul_i32 s24, s24, s2
	s_add_i32 s0, s0, s8
	s_add_i32 s0, s0, s24
	s_mul_i32 s2, s1, s25
	s_add_i32 s0, s0, s23
	s_lshl_b32 s2, s2, 7
	s_lshl_b32 s0, s0, 6
	s_add_i32 s2, s2, s0
	v_or_b32_e32 v1, s2, v0
	v_ashrrev_i32_e32 v2, 31, v1
	v_lshlrev_b64 v[1:2], 2, v[1:2]
	v_mov_b32_e32 v3, s17
	v_add_co_u32_e32 v1, vcc, s16, v1
	v_addc_co_u32_e32 v2, vcc, v3, v2, vcc
	global_load_dword v3, v[1:2], off
	v_cvt_f32_u32_e32 v4, s22
	s_lshl_b32 s0, s6, 1
	s_add_i32 s0, s0, s15
	s_ashr_i32 s1, s0, 31
	s_lshl_b64 s[0:1], s[0:1], 3
	v_rcp_iflag_f32_e32 v4, v4
	s_add_u32 s0, s18, s0
	s_addc_u32 s1, s19, s1
	s_load_dwordx2 s[0:1], s[0:1], 0x0
	v_mul_f32_e32 v4, 0x4f7ffffe, v4
	v_cvt_u32_f32_e32 v4, v4
	s_add_i32 s24, s6, -1
	v_lshl_or_b32 v0, s15, 6, v0
	s_waitcnt lgkmcnt(0)
	v_mov_b32_e32 v6, s1
	v_mov_b32_e32 v7, s0
	s_mov_b32 s2, 0x3fb8aa3b
	s_mov_b32 s16, 0xc2ce8ed0
	;; [unrolled: 1-line block ×4, first 2 shown]
	v_mov_b32_e32 v5, 0x7f800000
	s_mul_hi_i32 s5, s24, s3
	s_cmp_lg_u64 s[4:5], 0
	s_mul_i32 s8, s24, s3
	s_cbranch_scc0 .LBB70_19
.LBB70_9:
	s_add_u32 s0, s22, 0
	s_addc_u32 s1, 0, 0
	s_xor_b64 s[0:1], s[0:1], 0
	v_cvt_f32_u32_e32 v8, s0
	v_cvt_f32_u32_e32 v9, s1
	s_sub_u32 s9, 0, s0
	s_subb_u32 s25, 0, s1
	v_mac_f32_e32 v8, 0x4f800000, v9
	v_rcp_f32_e32 v8, v8
	v_mul_f32_e32 v8, 0x5f7ffffc, v8
	v_mul_f32_e32 v9, 0x2f800000, v8
	v_trunc_f32_e32 v9, v9
	v_mac_f32_e32 v8, 0xcf800000, v9
	v_cvt_u32_f32_e32 v9, v9
	v_cvt_u32_f32_e32 v8, v8
	v_readfirstlane_b32 s26, v9
	v_readfirstlane_b32 s6, v8
	s_mul_i32 s7, s9, s26
	s_mul_hi_u32 s28, s9, s6
	s_mul_i32 s27, s25, s6
	s_add_i32 s7, s28, s7
	s_mul_i32 s29, s9, s6
	s_add_i32 s7, s7, s27
	s_mul_i32 s28, s6, s7
	s_mul_hi_u32 s30, s6, s29
	s_mul_hi_u32 s27, s6, s7
	s_add_u32 s28, s30, s28
	s_addc_u32 s27, 0, s27
	s_mul_hi_u32 s31, s26, s29
	s_mul_i32 s29, s26, s29
	s_add_u32 s28, s28, s29
	s_mul_hi_u32 s30, s26, s7
	s_addc_u32 s27, s27, s31
	s_addc_u32 s28, s30, 0
	s_mul_i32 s7, s26, s7
	s_add_u32 s7, s27, s7
	s_addc_u32 s27, 0, s28
	s_add_u32 s28, s6, s7
	s_cselect_b64 s[6:7], -1, 0
	s_cmp_lg_u64 s[6:7], 0
	s_addc_u32 s26, s26, s27
	s_mul_i32 s6, s9, s26
	s_mul_hi_u32 s7, s9, s28
	s_add_i32 s6, s7, s6
	s_mul_i32 s25, s25, s28
	s_add_i32 s6, s6, s25
	s_mul_i32 s9, s9, s28
	s_mul_hi_u32 s25, s26, s9
	s_mul_i32 s27, s26, s9
	s_mul_i32 s30, s28, s6
	s_mul_hi_u32 s9, s28, s9
	s_mul_hi_u32 s29, s28, s6
	s_add_u32 s9, s9, s30
	s_addc_u32 s29, 0, s29
	s_add_u32 s9, s9, s27
	s_mul_hi_u32 s7, s26, s6
	s_addc_u32 s9, s29, s25
	s_addc_u32 s7, s7, 0
	s_mul_i32 s6, s26, s6
	s_add_u32 s6, s9, s6
	s_addc_u32 s9, 0, s7
	s_add_u32 s25, s28, s6
	s_cselect_b64 s[6:7], -1, 0
	s_cmp_lg_u64 s[6:7], 0
	s_addc_u32 s9, s26, s9
	s_ashr_i32 s6, s5, 31
	s_add_u32 s26, s8, s6
	s_mov_b32 s7, s6
	s_addc_u32 s27, s5, s6
	s_xor_b64 s[26:27], s[26:27], s[6:7]
	s_mul_i32 s28, s26, s9
	s_mul_hi_u32 s29, s26, s25
	s_mul_hi_u32 s5, s26, s9
	s_add_u32 s28, s29, s28
	s_addc_u32 s5, 0, s5
	s_mul_hi_u32 s30, s27, s25
	s_mul_i32 s25, s27, s25
	s_add_u32 s25, s28, s25
	s_mul_hi_u32 s29, s27, s9
	s_addc_u32 s5, s5, s30
	s_addc_u32 s25, s29, 0
	s_mul_i32 s9, s27, s9
	s_add_u32 s5, s5, s9
	s_addc_u32 s9, 0, s25
	s_mul_i32 s25, s0, s9
	s_mul_hi_u32 s28, s0, s5
	s_add_i32 s25, s28, s25
	s_mul_i32 s28, s1, s5
	s_add_i32 s25, s25, s28
	s_sub_i32 s30, s27, s25
	s_mul_i32 s28, s0, s5
	s_sub_u32 s26, s26, s28
	s_cselect_b64 s[28:29], -1, 0
	s_cmp_lg_u64 s[28:29], 0
	s_subb_u32 s33, s30, s1
	s_sub_u32 s34, s26, s0
	s_cselect_b64 s[30:31], -1, 0
	s_cmp_lg_u64 s[30:31], 0
	s_subb_u32 s30, s33, 0
	s_cmp_ge_u32 s30, s1
	s_cselect_b32 s31, -1, 0
	s_cmp_ge_u32 s34, s0
	s_cselect_b32 s33, -1, 0
	s_cmp_eq_u32 s30, s1
	s_cselect_b32 s30, s33, s31
	s_add_u32 s31, s5, 1
	s_addc_u32 s33, s9, 0
	s_add_u32 s34, s5, 2
	s_addc_u32 s35, s9, 0
	s_cmp_lg_u32 s30, 0
	s_cselect_b32 s30, s34, s31
	s_cselect_b32 s31, s35, s33
	s_cmp_lg_u64 s[28:29], 0
	s_subb_u32 s25, s27, s25
	s_cmp_ge_u32 s25, s1
	s_cselect_b32 s27, -1, 0
	s_cmp_ge_u32 s26, s0
	s_cselect_b32 s0, -1, 0
	s_cmp_eq_u32 s25, s1
	s_cselect_b32 s0, s0, s27
	s_cmp_lg_u32 s0, 0
	s_cselect_b32 s1, s31, s9
	s_cselect_b32 s0, s30, s5
	s_xor_b64 s[6:7], s[6:7], 0
	s_xor_b64 s[0:1], s[0:1], s[6:7]
	s_sub_u32 s6, s0, s6
	s_cbranch_execnz .LBB70_11
.LBB70_10:
	s_sub_i32 s0, 0, s22
	v_readfirstlane_b32 s1, v4
	s_mul_i32 s0, s0, s1
	s_mul_hi_u32 s0, s1, s0
	s_add_i32 s1, s1, s0
	s_mul_hi_u32 s0, s8, s1
	s_mul_i32 s5, s0, s22
	s_sub_i32 s5, s8, s5
	s_add_i32 s1, s0, 1
	s_sub_i32 s6, s5, s22
	s_cmp_ge_u32 s5, s22
	s_cselect_b32 s0, s1, s0
	s_cselect_b32 s5, s6, s5
	s_add_i32 s1, s0, 1
	s_cmp_ge_u32 s5, s22
	s_cselect_b32 s6, s1, s0
.LBB70_11:
	s_cmp_lg_u32 s10, s6
	s_mov_b64 s[8:9], -1
                                        ; implicit-def: $sgpr0_sgpr1
                                        ; implicit-def: $vgpr10
                                        ; implicit-def: $vgpr8
                                        ; implicit-def: $vgpr9
                                        ; implicit-def: $sgpr5
                                        ; implicit-def: $sgpr7
	s_cbranch_scc1 .LBB70_14
; %bb.12:
	s_andn2_b64 vcc, exec, s[8:9]
	s_cbranch_vccz .LBB70_17
.LBB70_13:
	s_andn2_b64 vcc, exec, s[0:1]
	s_cbranch_vccnz .LBB70_18
	s_branch .LBB70_22
.LBB70_14:
	s_add_i32 s0, s24, s22
	s_lshl_b32 s0, s0, 1
	s_add_i32 s0, s0, s15
	s_mov_b32 s1, s4
	s_lshl_b64 s[0:1], s[0:1], 3
	s_add_u32 s8, s18, s0
	s_mul_hi_u32 s0, s6, s12
	s_addc_u32 s9, s19, s1
	s_add_i32 s0, s0, s6
	s_lshr_b32 s5, s0, s13
	s_mul_i32 s0, s5, s14
	s_cmp_eq_u32 s0, s6
	s_cselect_b64 s[0:1], -1, 0
	s_cmp_lt_u32 s5, s11
	s_cselect_b64 s[26:27], -1, 0
	s_or_b64 s[26:27], s[26:27], s[0:1]
	s_mov_b64 s[0:1], -1
	s_and_b64 vcc, exec, s[26:27]
	s_mov_b32 s5, s24
	s_mov_b32 s7, s10
	s_cbranch_vccnz .LBB70_16
; %bb.15:
	s_add_i32 s5, s24, -1
	s_mov_b64 s[0:1], 0
	s_mov_b32 s7, s6
.LBB70_16:
	v_lshl_add_u32 v8, s24, 7, v0
	v_ashrrev_i32_e32 v9, 31, v8
	v_lshlrev_b64 v[8:9], 2, v[8:9]
	v_mov_b32_e32 v10, s21
	v_add_co_u32_e32 v8, vcc, s20, v8
	v_addc_co_u32_e32 v9, vcc, v10, v9, vcc
	global_load_dword v10, v[8:9], off
	s_load_dwordx2 s[8:9], s[8:9], 0x0
	v_max_f32_e32 v8, v7, v7
	s_waitcnt lgkmcnt(0)
	v_max_f32_e64 v9, s8, s8
	v_max_f32_e32 v8, v8, v9
	v_sub_f32_e32 v9, v7, v8
	v_sub_f32_e32 v11, s8, v8
	v_mul_f32_e32 v12, 0x3fb8aa3b, v9
	v_mul_f32_e32 v13, 0x3fb8aa3b, v11
	v_fma_f32 v14, v9, s2, -v12
	v_rndne_f32_e32 v15, v12
	v_fma_f32 v16, v11, s2, -v13
	v_rndne_f32_e32 v17, v13
	v_fmac_f32_e32 v14, 0x32a5705f, v9
	v_sub_f32_e32 v12, v12, v15
	v_fmac_f32_e32 v16, 0x32a5705f, v11
	v_sub_f32_e32 v13, v13, v17
	v_add_f32_e32 v12, v12, v14
	v_cvt_i32_f32_e32 v15, v15
	v_add_f32_e32 v13, v13, v16
	v_exp_f32_e32 v12, v12
	v_cvt_i32_f32_e32 v17, v17
	v_exp_f32_e32 v13, v13
	v_cmp_ngt_f32_e32 vcc, s16, v9
	v_ldexp_f32 v12, v12, v15
	v_cndmask_b32_e32 v12, 0, v12, vcc
	v_ldexp_f32 v13, v13, v17
	v_cmp_ngt_f32_e32 vcc, s16, v11
	v_cndmask_b32_e32 v13, 0, v13, vcc
	v_cmp_nlt_f32_e32 vcc, s17, v9
	v_cndmask_b32_e32 v12, v5, v12, vcc
	v_cmp_nlt_f32_e32 vcc, s17, v11
	v_cndmask_b32_e32 v13, v5, v13, vcc
	v_cmp_le_f32_e32 vcc, s23, v9
	v_cndmask_b32_e32 v12, 0, v12, vcc
	v_cmp_le_f32_e32 vcc, s23, v11
	v_cndmask_b32_e32 v11, 0, v13, vcc
	v_mul_f32_e32 v9, s9, v11
	v_fmac_f32_e32 v9, v6, v12
	s_waitcnt vmcnt(0)
	v_mul_f32_e32 v10, v10, v11
	v_fmac_f32_e32 v10, v3, v12
	s_cbranch_execnz .LBB70_13
.LBB70_17:
	s_add_i32 s5, s24, -1
	s_mov_b32 s7, s10
	v_mov_b32_e32 v9, v6
	v_mov_b32_e32 v8, v7
	s_waitcnt vmcnt(0)
	v_mov_b32_e32 v10, v3
	s_cbranch_execz .LBB70_22
.LBB70_18:
	s_mov_b32 s10, s7
	s_mov_b32 s24, s5
	v_mov_b32_e32 v6, v9
	v_mov_b32_e32 v7, v8
	s_waitcnt vmcnt(0)
	v_mov_b32_e32 v3, v10
	s_mul_hi_i32 s5, s24, s3
	s_cmp_lg_u64 s[4:5], 0
	s_mul_i32 s8, s24, s3
	s_cbranch_scc1 .LBB70_9
.LBB70_19:
                                        ; implicit-def: $sgpr6_sgpr7
	s_branch .LBB70_10
.LBB70_20:
                                        ; implicit-def: $sgpr10_sgpr11
	s_load_dwordx4 s[12:15], s[4:5], 0x44
	s_branch .LBB70_2
.LBB70_21:
                                        ; implicit-def: $sgpr18_sgpr19
	s_branch .LBB70_5
.LBB70_22:
	v_div_scale_f32 v0, s[0:1], v9, v9, v10
	s_waitcnt vmcnt(0)
	v_div_scale_f32 v3, vcc, v10, v9, v10
	v_rcp_f32_e32 v4, v0
	v_fma_f32 v5, -v0, v4, 1.0
	v_fmac_f32_e32 v4, v5, v4
	v_mul_f32_e32 v5, v3, v4
	v_fma_f32 v6, -v0, v5, v3
	v_fmac_f32_e32 v5, v6, v4
	v_fma_f32 v0, -v0, v5, v3
	v_div_fmas_f32 v0, v0, v4, v5
	v_div_fixup_f32 v0, v0, v9, v10
	global_store_dword v[1:2], v0, off
.LBB70_23:
	s_endpgm
	.section	.rodata,"a",@progbits
	.p2align	6, 0x0
	.amdhsa_kernel _ZL33flash_attn_stream_k_fixup_generalILi64ELi2ELi1EEvPfPK15HIP_vector_typeIfLj2EEiiiiS1_IjLj3EES5_S5_S5_
		.amdhsa_group_segment_fixed_size 0
		.amdhsa_private_segment_fixed_size 0
		.amdhsa_kernarg_size 336
		.amdhsa_user_sgpr_count 6
		.amdhsa_user_sgpr_private_segment_buffer 1
		.amdhsa_user_sgpr_dispatch_ptr 0
		.amdhsa_user_sgpr_queue_ptr 0
		.amdhsa_user_sgpr_kernarg_segment_ptr 1
		.amdhsa_user_sgpr_dispatch_id 0
		.amdhsa_user_sgpr_flat_scratch_init 0
		.amdhsa_user_sgpr_private_segment_size 0
		.amdhsa_uses_dynamic_stack 0
		.amdhsa_system_sgpr_private_segment_wavefront_offset 0
		.amdhsa_system_sgpr_workgroup_id_x 1
		.amdhsa_system_sgpr_workgroup_id_y 1
		.amdhsa_system_sgpr_workgroup_id_z 1
		.amdhsa_system_sgpr_workgroup_info 0
		.amdhsa_system_vgpr_workitem_id 0
		.amdhsa_next_free_vgpr 18
		.amdhsa_next_free_sgpr 36
		.amdhsa_reserve_vcc 1
		.amdhsa_reserve_flat_scratch 0
		.amdhsa_float_round_mode_32 0
		.amdhsa_float_round_mode_16_64 0
		.amdhsa_float_denorm_mode_32 3
		.amdhsa_float_denorm_mode_16_64 3
		.amdhsa_dx10_clamp 1
		.amdhsa_ieee_mode 1
		.amdhsa_fp16_overflow 0
		.amdhsa_exception_fp_ieee_invalid_op 0
		.amdhsa_exception_fp_denorm_src 0
		.amdhsa_exception_fp_ieee_div_zero 0
		.amdhsa_exception_fp_ieee_overflow 0
		.amdhsa_exception_fp_ieee_underflow 0
		.amdhsa_exception_fp_ieee_inexact 0
		.amdhsa_exception_int_div_zero 0
	.end_amdhsa_kernel
	.section	.text._ZL33flash_attn_stream_k_fixup_generalILi64ELi2ELi1EEvPfPK15HIP_vector_typeIfLj2EEiiiiS1_IjLj3EES5_S5_S5_,"axG",@progbits,_ZL33flash_attn_stream_k_fixup_generalILi64ELi2ELi1EEvPfPK15HIP_vector_typeIfLj2EEiiiiS1_IjLj3EES5_S5_S5_,comdat
.Lfunc_end70:
	.size	_ZL33flash_attn_stream_k_fixup_generalILi64ELi2ELi1EEvPfPK15HIP_vector_typeIfLj2EEiiiiS1_IjLj3EES5_S5_S5_, .Lfunc_end70-_ZL33flash_attn_stream_k_fixup_generalILi64ELi2ELi1EEvPfPK15HIP_vector_typeIfLj2EEiiiiS1_IjLj3EES5_S5_S5_
                                        ; -- End function
	.set _ZL33flash_attn_stream_k_fixup_generalILi64ELi2ELi1EEvPfPK15HIP_vector_typeIfLj2EEiiiiS1_IjLj3EES5_S5_S5_.num_vgpr, 18
	.set _ZL33flash_attn_stream_k_fixup_generalILi64ELi2ELi1EEvPfPK15HIP_vector_typeIfLj2EEiiiiS1_IjLj3EES5_S5_S5_.num_agpr, 0
	.set _ZL33flash_attn_stream_k_fixup_generalILi64ELi2ELi1EEvPfPK15HIP_vector_typeIfLj2EEiiiiS1_IjLj3EES5_S5_S5_.numbered_sgpr, 36
	.set _ZL33flash_attn_stream_k_fixup_generalILi64ELi2ELi1EEvPfPK15HIP_vector_typeIfLj2EEiiiiS1_IjLj3EES5_S5_S5_.num_named_barrier, 0
	.set _ZL33flash_attn_stream_k_fixup_generalILi64ELi2ELi1EEvPfPK15HIP_vector_typeIfLj2EEiiiiS1_IjLj3EES5_S5_S5_.private_seg_size, 0
	.set _ZL33flash_attn_stream_k_fixup_generalILi64ELi2ELi1EEvPfPK15HIP_vector_typeIfLj2EEiiiiS1_IjLj3EES5_S5_S5_.uses_vcc, 1
	.set _ZL33flash_attn_stream_k_fixup_generalILi64ELi2ELi1EEvPfPK15HIP_vector_typeIfLj2EEiiiiS1_IjLj3EES5_S5_S5_.uses_flat_scratch, 0
	.set _ZL33flash_attn_stream_k_fixup_generalILi64ELi2ELi1EEvPfPK15HIP_vector_typeIfLj2EEiiiiS1_IjLj3EES5_S5_S5_.has_dyn_sized_stack, 0
	.set _ZL33flash_attn_stream_k_fixup_generalILi64ELi2ELi1EEvPfPK15HIP_vector_typeIfLj2EEiiiiS1_IjLj3EES5_S5_S5_.has_recursion, 0
	.set _ZL33flash_attn_stream_k_fixup_generalILi64ELi2ELi1EEvPfPK15HIP_vector_typeIfLj2EEiiiiS1_IjLj3EES5_S5_S5_.has_indirect_call, 0
	.section	.AMDGPU.csdata,"",@progbits
; Kernel info:
; codeLenInByte = 2932
; TotalNumSgprs: 40
; NumVgprs: 18
; ScratchSize: 0
; MemoryBound: 0
; FloatMode: 240
; IeeeMode: 1
; LDSByteSize: 0 bytes/workgroup (compile time only)
; SGPRBlocks: 4
; VGPRBlocks: 4
; NumSGPRsForWavesPerEU: 40
; NumVGPRsForWavesPerEU: 18
; Occupancy: 10
; WaveLimiterHint : 0
; COMPUTE_PGM_RSRC2:SCRATCH_EN: 0
; COMPUTE_PGM_RSRC2:USER_SGPR: 6
; COMPUTE_PGM_RSRC2:TRAP_HANDLER: 0
; COMPUTE_PGM_RSRC2:TGID_X_EN: 1
; COMPUTE_PGM_RSRC2:TGID_Y_EN: 1
; COMPUTE_PGM_RSRC2:TGID_Z_EN: 1
; COMPUTE_PGM_RSRC2:TIDIG_COMP_CNT: 0
	.text
	.p2align	2                               ; -- Begin function __ockl_printf_append_string_n
	.type	__ockl_printf_append_string_n,@function
__ockl_printf_append_string_n:          ; @__ockl_printf_append_string_n
; %bb.0:
	s_waitcnt vmcnt(0) expcnt(0) lgkmcnt(0)
	s_getpc_b64 s[4:5]
	s_add_u32 s4, s4, __FUNCTION__._ZL15flash_attn_tileILi64ELi64ELi8ELi8ELb1EEvPKcS1_S1_S1_S1_PKiPfP15HIP_vector_typeIfLj2EEffffjfiS5_IjLj3EEiiiiiiiiiiiliiliiiiil@rel32@lo+4
	s_addc_u32 s5, s5, __FUNCTION__._ZL15flash_attn_tileILi64ELi64ELi8ELi8ELb1EEvPKcS1_S1_S1_S1_PKiPfP15HIP_vector_typeIfLj2EEffffjfiS5_IjLj3EEiiiiiiiiiiiliiliiiiil@rel32@hi+12
	v_mov_b32_e32 v3, v0
	s_mov_b64 s[6:7], 0
	s_cmp_lg_u64 s[4:5], 0
	v_mbcnt_lo_u32_b32 v2, -1, 0
	s_cbranch_scc0 .LBB71_87
; %bb.1:
	s_load_dwordx2 s[10:11], s[8:9], 0x50
	s_getpc_b64 s[4:5]
	s_add_u32 s4, s4, __FUNCTION__._ZL15flash_attn_tileILi64ELi64ELi8ELi8ELb1EEvPKcS1_S1_S1_S1_PKiPfP15HIP_vector_typeIfLj2EEffffjfiS5_IjLj3EEiiiiiiiiiiiliiliiiiil@rel32@lo+4
	s_addc_u32 s5, s5, __FUNCTION__._ZL15flash_attn_tileILi64ELi64ELi8ELi8ELb1EEvPKcS1_S1_S1_S1_PKiPfP15HIP_vector_typeIfLj2EEffffjfiS5_IjLj3EEiiiiiiiiiiiliiliiiiil@rel32@hi+12
	v_and_b32_e32 v0, -3, v3
	v_mov_b32_e32 v32, s5
	v_mov_b32_e32 v7, v1
	v_and_b32_e32 v37, 2, v3
	s_mov_b32 s20, 0
	v_mov_b32_e32 v30, 0
	v_mbcnt_hi_u32_b32 v38, -1, v2
	v_mov_b32_e32 v31, s4
	s_movk_i32 s21, 0x1e0
	v_mov_b32_e32 v12, 2
	v_mov_b32_e32 v13, 1
	;; [unrolled: 1-line block ×3, first 2 shown]
	s_branch .LBB71_3
.LBB71_2:                               ;   in Loop: Header=BB71_3 Depth=1
	s_or_b64 exec, exec, s[14:15]
	v_sub_co_u32_e32 v4, vcc, v4, v33
	v_subb_co_u32_e32 v5, vcc, v5, v34, vcc
	v_cmp_eq_u64_e32 vcc, 0, v[4:5]
	s_or_b64 s[6:7], vcc, s[6:7]
	v_add_co_u32_e32 v31, vcc, v31, v33
	v_addc_co_u32_e32 v32, vcc, v32, v34, vcc
	s_andn2_b64 exec, exec, s[6:7]
	s_cbranch_execz .LBB71_85
.LBB71_3:                               ; =>This Loop Header: Depth=1
                                        ;     Child Loop BB71_6 Depth 2
                                        ;     Child Loop BB71_14 Depth 2
	;; [unrolled: 1-line block ×11, first 2 shown]
	v_cmp_gt_u64_e32 vcc, 56, v[4:5]
	v_add_co_u32_e64 v16, s[4:5], 8, v31
	v_cndmask_b32_e32 v34, 0, v5, vcc
	v_cndmask_b32_e32 v33, 56, v4, vcc
	v_cmp_gt_u64_e32 vcc, 8, v[4:5]
	v_addc_co_u32_e64 v17, s[4:5], 0, v32, s[4:5]
	s_and_saveexec_b64 s[4:5], vcc
	s_xor_b64 s[4:5], exec, s[4:5]
	s_cbranch_execz .LBB71_9
; %bb.4:                                ;   in Loop: Header=BB71_3 Depth=1
	v_mov_b32_e32 v8, 0
	v_cmp_ne_u64_e32 vcc, 0, v[4:5]
	v_mov_b32_e32 v9, 0
	s_and_saveexec_b64 s[12:13], vcc
	s_cbranch_execz .LBB71_8
; %bb.5:                                ;   in Loop: Header=BB71_3 Depth=1
	v_lshlrev_b64 v[10:11], 3, v[33:34]
	v_mov_b32_e32 v8, 0
	v_mov_b32_e32 v14, v31
	s_mov_b64 s[14:15], 0
	v_mov_b32_e32 v9, 0
	v_mov_b32_e32 v15, v32
	s_mov_b64 s[16:17], 0
.LBB71_6:                               ;   Parent Loop BB71_3 Depth=1
                                        ; =>  This Inner Loop Header: Depth=2
	global_load_ubyte v0, v[14:15], off
	v_mov_b32_e32 v17, s20
	v_add_co_u32_e32 v14, vcc, 1, v14
	v_addc_co_u32_e32 v15, vcc, 0, v15, vcc
	s_waitcnt vmcnt(0)
	v_and_b32_e32 v16, 0xffff, v0
	v_lshlrev_b64 v[16:17], s16, v[16:17]
	s_add_u32 s16, s16, 8
	s_addc_u32 s17, s17, 0
	v_cmp_eq_u32_e32 vcc, s16, v10
	v_or_b32_e32 v9, v17, v9
	s_or_b64 s[14:15], vcc, s[14:15]
	v_or_b32_e32 v8, v16, v8
	s_andn2_b64 exec, exec, s[14:15]
	s_cbranch_execnz .LBB71_6
; %bb.7:                                ;   in Loop: Header=BB71_3 Depth=1
	s_or_b64 exec, exec, s[14:15]
.LBB71_8:                               ;   in Loop: Header=BB71_3 Depth=1
	s_or_b64 exec, exec, s[12:13]
	v_mov_b32_e32 v16, v31
	v_mov_b32_e32 v17, v32
.LBB71_9:                               ;   in Loop: Header=BB71_3 Depth=1
	s_or_saveexec_b64 s[4:5], s[4:5]
	v_mov_b32_e32 v0, 0
	s_xor_b64 exec, exec, s[4:5]
	s_cbranch_execz .LBB71_11
; %bb.10:                               ;   in Loop: Header=BB71_3 Depth=1
	global_load_dwordx2 v[8:9], v[31:32], off
	v_add_u32_e32 v0, -8, v33
.LBB71_11:                              ;   in Loop: Header=BB71_3 Depth=1
	s_or_b64 exec, exec, s[4:5]
	v_add_co_u32_e64 v10, s[4:5], 8, v16
	v_cmp_gt_u32_e32 vcc, 8, v0
	v_addc_co_u32_e64 v11, s[4:5], 0, v17, s[4:5]
                                        ; implicit-def: $vgpr14_vgpr15
	s_and_saveexec_b64 s[4:5], vcc
	s_xor_b64 s[4:5], exec, s[4:5]
	s_cbranch_execz .LBB71_17
; %bb.12:                               ;   in Loop: Header=BB71_3 Depth=1
	v_mov_b32_e32 v14, 0
	v_mov_b32_e32 v15, 0
	v_cmp_ne_u32_e32 vcc, 0, v0
	s_and_saveexec_b64 s[12:13], vcc
	s_cbranch_execz .LBB71_16
; %bb.13:                               ;   in Loop: Header=BB71_3 Depth=1
	v_mov_b32_e32 v14, 0
	s_mov_b64 s[14:15], 0
	v_mov_b32_e32 v15, 0
	s_mov_b64 s[16:17], 0
	s_mov_b64 s[18:19], 0
.LBB71_14:                              ;   Parent Loop BB71_3 Depth=1
                                        ; =>  This Inner Loop Header: Depth=2
	v_mov_b32_e32 v11, s19
	v_add_co_u32_e32 v10, vcc, s18, v16
	v_addc_co_u32_e32 v11, vcc, v17, v11, vcc
	global_load_ubyte v10, v[10:11], off
	s_add_u32 s18, s18, 1
	v_mov_b32_e32 v11, s20
	s_addc_u32 s19, s19, 0
	v_cmp_eq_u32_e32 vcc, s18, v0
	s_waitcnt vmcnt(0)
	v_and_b32_e32 v10, 0xffff, v10
	v_lshlrev_b64 v[10:11], s16, v[10:11]
	s_add_u32 s16, s16, 8
	s_addc_u32 s17, s17, 0
	v_or_b32_e32 v15, v11, v15
	s_or_b64 s[14:15], vcc, s[14:15]
	v_or_b32_e32 v14, v10, v14
	s_andn2_b64 exec, exec, s[14:15]
	s_cbranch_execnz .LBB71_14
; %bb.15:                               ;   in Loop: Header=BB71_3 Depth=1
	s_or_b64 exec, exec, s[14:15]
.LBB71_16:                              ;   in Loop: Header=BB71_3 Depth=1
	s_or_b64 exec, exec, s[12:13]
	v_mov_b32_e32 v10, v16
	v_mov_b32_e32 v11, v17
                                        ; implicit-def: $vgpr0
.LBB71_17:                              ;   in Loop: Header=BB71_3 Depth=1
	s_or_saveexec_b64 s[4:5], s[4:5]
	v_mov_b32_e32 v18, 0
	s_xor_b64 exec, exec, s[4:5]
	s_cbranch_execz .LBB71_19
; %bb.18:                               ;   in Loop: Header=BB71_3 Depth=1
	global_load_dwordx2 v[14:15], v[16:17], off
	v_add_u32_e32 v18, -8, v0
.LBB71_19:                              ;   in Loop: Header=BB71_3 Depth=1
	s_or_b64 exec, exec, s[4:5]
	v_add_co_u32_e64 v20, s[4:5], 8, v10
	v_cmp_gt_u32_e32 vcc, 8, v18
	v_addc_co_u32_e64 v21, s[4:5], 0, v11, s[4:5]
	s_and_saveexec_b64 s[4:5], vcc
	s_xor_b64 s[4:5], exec, s[4:5]
	s_cbranch_execz .LBB71_25
; %bb.20:                               ;   in Loop: Header=BB71_3 Depth=1
	v_mov_b32_e32 v16, 0
	v_mov_b32_e32 v17, 0
	v_cmp_ne_u32_e32 vcc, 0, v18
	s_and_saveexec_b64 s[12:13], vcc
	s_cbranch_execz .LBB71_24
; %bb.21:                               ;   in Loop: Header=BB71_3 Depth=1
	v_mov_b32_e32 v16, 0
	s_mov_b64 s[14:15], 0
	v_mov_b32_e32 v17, 0
	s_mov_b64 s[16:17], 0
	s_mov_b64 s[18:19], 0
.LBB71_22:                              ;   Parent Loop BB71_3 Depth=1
                                        ; =>  This Inner Loop Header: Depth=2
	v_mov_b32_e32 v0, s19
	v_add_co_u32_e32 v19, vcc, s18, v10
	v_addc_co_u32_e32 v20, vcc, v11, v0, vcc
	global_load_ubyte v0, v[19:20], off
	s_add_u32 s18, s18, 1
	v_mov_b32_e32 v20, s20
	s_addc_u32 s19, s19, 0
	v_cmp_eq_u32_e32 vcc, s18, v18
	s_waitcnt vmcnt(0)
	v_and_b32_e32 v19, 0xffff, v0
	v_lshlrev_b64 v[19:20], s16, v[19:20]
	s_add_u32 s16, s16, 8
	s_addc_u32 s17, s17, 0
	v_or_b32_e32 v17, v20, v17
	s_or_b64 s[14:15], vcc, s[14:15]
	v_or_b32_e32 v16, v19, v16
	s_andn2_b64 exec, exec, s[14:15]
	s_cbranch_execnz .LBB71_22
; %bb.23:                               ;   in Loop: Header=BB71_3 Depth=1
	s_or_b64 exec, exec, s[14:15]
.LBB71_24:                              ;   in Loop: Header=BB71_3 Depth=1
	s_or_b64 exec, exec, s[12:13]
	v_mov_b32_e32 v21, v11
	v_mov_b32_e32 v20, v10
                                        ; implicit-def: $vgpr18
.LBB71_25:                              ;   in Loop: Header=BB71_3 Depth=1
	s_or_saveexec_b64 s[4:5], s[4:5]
	v_mov_b32_e32 v0, 0
	s_xor_b64 exec, exec, s[4:5]
	s_cbranch_execz .LBB71_27
; %bb.26:                               ;   in Loop: Header=BB71_3 Depth=1
	global_load_dwordx2 v[16:17], v[10:11], off
	v_add_u32_e32 v0, -8, v18
.LBB71_27:                              ;   in Loop: Header=BB71_3 Depth=1
	s_or_b64 exec, exec, s[4:5]
	v_add_co_u32_e64 v10, s[4:5], 8, v20
	v_cmp_gt_u32_e32 vcc, 8, v0
	v_addc_co_u32_e64 v11, s[4:5], 0, v21, s[4:5]
                                        ; implicit-def: $vgpr18_vgpr19
	s_and_saveexec_b64 s[4:5], vcc
	s_xor_b64 s[4:5], exec, s[4:5]
	s_cbranch_execz .LBB71_33
; %bb.28:                               ;   in Loop: Header=BB71_3 Depth=1
	v_mov_b32_e32 v18, 0
	v_mov_b32_e32 v19, 0
	v_cmp_ne_u32_e32 vcc, 0, v0
	s_and_saveexec_b64 s[12:13], vcc
	s_cbranch_execz .LBB71_32
; %bb.29:                               ;   in Loop: Header=BB71_3 Depth=1
	v_mov_b32_e32 v18, 0
	s_mov_b64 s[14:15], 0
	v_mov_b32_e32 v19, 0
	s_mov_b64 s[16:17], 0
	s_mov_b64 s[18:19], 0
.LBB71_30:                              ;   Parent Loop BB71_3 Depth=1
                                        ; =>  This Inner Loop Header: Depth=2
	v_mov_b32_e32 v11, s19
	v_add_co_u32_e32 v10, vcc, s18, v20
	v_addc_co_u32_e32 v11, vcc, v21, v11, vcc
	global_load_ubyte v10, v[10:11], off
	s_add_u32 s18, s18, 1
	v_mov_b32_e32 v11, s20
	s_addc_u32 s19, s19, 0
	v_cmp_eq_u32_e32 vcc, s18, v0
	s_waitcnt vmcnt(0)
	v_and_b32_e32 v10, 0xffff, v10
	v_lshlrev_b64 v[10:11], s16, v[10:11]
	s_add_u32 s16, s16, 8
	s_addc_u32 s17, s17, 0
	v_or_b32_e32 v19, v11, v19
	s_or_b64 s[14:15], vcc, s[14:15]
	v_or_b32_e32 v18, v10, v18
	s_andn2_b64 exec, exec, s[14:15]
	s_cbranch_execnz .LBB71_30
; %bb.31:                               ;   in Loop: Header=BB71_3 Depth=1
	s_or_b64 exec, exec, s[14:15]
.LBB71_32:                              ;   in Loop: Header=BB71_3 Depth=1
	s_or_b64 exec, exec, s[12:13]
	v_mov_b32_e32 v10, v20
	v_mov_b32_e32 v11, v21
                                        ; implicit-def: $vgpr0
.LBB71_33:                              ;   in Loop: Header=BB71_3 Depth=1
	s_or_saveexec_b64 s[4:5], s[4:5]
	v_mov_b32_e32 v22, 0
	s_xor_b64 exec, exec, s[4:5]
	s_cbranch_execz .LBB71_35
; %bb.34:                               ;   in Loop: Header=BB71_3 Depth=1
	global_load_dwordx2 v[18:19], v[20:21], off
	v_add_u32_e32 v22, -8, v0
.LBB71_35:                              ;   in Loop: Header=BB71_3 Depth=1
	s_or_b64 exec, exec, s[4:5]
	v_add_co_u32_e64 v24, s[4:5], 8, v10
	v_cmp_gt_u32_e32 vcc, 8, v22
	v_addc_co_u32_e64 v25, s[4:5], 0, v11, s[4:5]
	s_and_saveexec_b64 s[4:5], vcc
	s_xor_b64 s[4:5], exec, s[4:5]
	s_cbranch_execz .LBB71_41
; %bb.36:                               ;   in Loop: Header=BB71_3 Depth=1
	v_mov_b32_e32 v20, 0
	v_mov_b32_e32 v21, 0
	v_cmp_ne_u32_e32 vcc, 0, v22
	s_and_saveexec_b64 s[12:13], vcc
	s_cbranch_execz .LBB71_40
; %bb.37:                               ;   in Loop: Header=BB71_3 Depth=1
	v_mov_b32_e32 v20, 0
	s_mov_b64 s[14:15], 0
	v_mov_b32_e32 v21, 0
	s_mov_b64 s[16:17], 0
	s_mov_b64 s[18:19], 0
.LBB71_38:                              ;   Parent Loop BB71_3 Depth=1
                                        ; =>  This Inner Loop Header: Depth=2
	v_mov_b32_e32 v0, s19
	v_add_co_u32_e32 v23, vcc, s18, v10
	v_addc_co_u32_e32 v24, vcc, v11, v0, vcc
	global_load_ubyte v0, v[23:24], off
	s_add_u32 s18, s18, 1
	v_mov_b32_e32 v24, s20
	s_addc_u32 s19, s19, 0
	v_cmp_eq_u32_e32 vcc, s18, v22
	s_waitcnt vmcnt(0)
	v_and_b32_e32 v23, 0xffff, v0
	v_lshlrev_b64 v[23:24], s16, v[23:24]
	s_add_u32 s16, s16, 8
	s_addc_u32 s17, s17, 0
	v_or_b32_e32 v21, v24, v21
	s_or_b64 s[14:15], vcc, s[14:15]
	v_or_b32_e32 v20, v23, v20
	s_andn2_b64 exec, exec, s[14:15]
	s_cbranch_execnz .LBB71_38
; %bb.39:                               ;   in Loop: Header=BB71_3 Depth=1
	s_or_b64 exec, exec, s[14:15]
.LBB71_40:                              ;   in Loop: Header=BB71_3 Depth=1
	s_or_b64 exec, exec, s[12:13]
	v_mov_b32_e32 v25, v11
	v_mov_b32_e32 v24, v10
                                        ; implicit-def: $vgpr22
.LBB71_41:                              ;   in Loop: Header=BB71_3 Depth=1
	s_or_saveexec_b64 s[4:5], s[4:5]
	v_mov_b32_e32 v0, 0
	s_xor_b64 exec, exec, s[4:5]
	s_cbranch_execz .LBB71_43
; %bb.42:                               ;   in Loop: Header=BB71_3 Depth=1
	global_load_dwordx2 v[20:21], v[10:11], off
	v_add_u32_e32 v0, -8, v22
.LBB71_43:                              ;   in Loop: Header=BB71_3 Depth=1
	s_or_b64 exec, exec, s[4:5]
	v_add_co_u32_e64 v10, s[4:5], 8, v24
	v_cmp_gt_u32_e32 vcc, 8, v0
	v_addc_co_u32_e64 v11, s[4:5], 0, v25, s[4:5]
                                        ; implicit-def: $vgpr22_vgpr23
	s_and_saveexec_b64 s[4:5], vcc
	s_xor_b64 s[4:5], exec, s[4:5]
	s_cbranch_execz .LBB71_49
; %bb.44:                               ;   in Loop: Header=BB71_3 Depth=1
	v_mov_b32_e32 v22, 0
	v_mov_b32_e32 v23, 0
	v_cmp_ne_u32_e32 vcc, 0, v0
	s_and_saveexec_b64 s[12:13], vcc
	s_cbranch_execz .LBB71_48
; %bb.45:                               ;   in Loop: Header=BB71_3 Depth=1
	v_mov_b32_e32 v22, 0
	s_mov_b64 s[14:15], 0
	v_mov_b32_e32 v23, 0
	s_mov_b64 s[16:17], 0
	s_mov_b64 s[18:19], 0
.LBB71_46:                              ;   Parent Loop BB71_3 Depth=1
                                        ; =>  This Inner Loop Header: Depth=2
	v_mov_b32_e32 v11, s19
	v_add_co_u32_e32 v10, vcc, s18, v24
	v_addc_co_u32_e32 v11, vcc, v25, v11, vcc
	global_load_ubyte v10, v[10:11], off
	s_add_u32 s18, s18, 1
	v_mov_b32_e32 v11, s20
	s_addc_u32 s19, s19, 0
	v_cmp_eq_u32_e32 vcc, s18, v0
	s_waitcnt vmcnt(0)
	v_and_b32_e32 v10, 0xffff, v10
	v_lshlrev_b64 v[10:11], s16, v[10:11]
	s_add_u32 s16, s16, 8
	s_addc_u32 s17, s17, 0
	v_or_b32_e32 v23, v11, v23
	s_or_b64 s[14:15], vcc, s[14:15]
	v_or_b32_e32 v22, v10, v22
	s_andn2_b64 exec, exec, s[14:15]
	s_cbranch_execnz .LBB71_46
; %bb.47:                               ;   in Loop: Header=BB71_3 Depth=1
	s_or_b64 exec, exec, s[14:15]
.LBB71_48:                              ;   in Loop: Header=BB71_3 Depth=1
	s_or_b64 exec, exec, s[12:13]
	v_mov_b32_e32 v10, v24
	v_mov_b32_e32 v11, v25
                                        ; implicit-def: $vgpr0
.LBB71_49:                              ;   in Loop: Header=BB71_3 Depth=1
	s_or_saveexec_b64 s[4:5], s[4:5]
	v_mov_b32_e32 v26, 0
	s_xor_b64 exec, exec, s[4:5]
	s_cbranch_execz .LBB71_51
; %bb.50:                               ;   in Loop: Header=BB71_3 Depth=1
	global_load_dwordx2 v[22:23], v[24:25], off
	v_add_u32_e32 v26, -8, v0
.LBB71_51:                              ;   in Loop: Header=BB71_3 Depth=1
	s_or_b64 exec, exec, s[4:5]
	v_cmp_gt_u32_e32 vcc, 8, v26
	s_and_saveexec_b64 s[4:5], vcc
	s_xor_b64 s[4:5], exec, s[4:5]
	s_cbranch_execz .LBB71_57
; %bb.52:                               ;   in Loop: Header=BB71_3 Depth=1
	v_mov_b32_e32 v24, 0
	v_mov_b32_e32 v25, 0
	v_cmp_ne_u32_e32 vcc, 0, v26
	s_and_saveexec_b64 s[12:13], vcc
	s_cbranch_execz .LBB71_56
; %bb.53:                               ;   in Loop: Header=BB71_3 Depth=1
	v_mov_b32_e32 v24, 0
	s_mov_b64 s[14:15], 0
	v_mov_b32_e32 v25, 0
	s_mov_b64 s[16:17], 0
.LBB71_54:                              ;   Parent Loop BB71_3 Depth=1
                                        ; =>  This Inner Loop Header: Depth=2
	global_load_ubyte v0, v[10:11], off
	v_mov_b32_e32 v28, s20
	v_add_co_u32_e32 v10, vcc, 1, v10
	v_add_u32_e32 v26, -1, v26
	v_addc_co_u32_e32 v11, vcc, 0, v11, vcc
	v_cmp_eq_u32_e32 vcc, 0, v26
	s_waitcnt vmcnt(0)
	v_and_b32_e32 v27, 0xffff, v0
	v_lshlrev_b64 v[27:28], s16, v[27:28]
	s_add_u32 s16, s16, 8
	s_addc_u32 s17, s17, 0
	v_or_b32_e32 v25, v28, v25
	s_or_b64 s[14:15], vcc, s[14:15]
	v_or_b32_e32 v24, v27, v24
	s_andn2_b64 exec, exec, s[14:15]
	s_cbranch_execnz .LBB71_54
; %bb.55:                               ;   in Loop: Header=BB71_3 Depth=1
	s_or_b64 exec, exec, s[14:15]
.LBB71_56:                              ;   in Loop: Header=BB71_3 Depth=1
	s_or_b64 exec, exec, s[12:13]
                                        ; implicit-def: $vgpr10_vgpr11
.LBB71_57:                              ;   in Loop: Header=BB71_3 Depth=1
	s_andn2_saveexec_b64 s[4:5], s[4:5]
	s_cbranch_execz .LBB71_59
; %bb.58:                               ;   in Loop: Header=BB71_3 Depth=1
	global_load_dwordx2 v[24:25], v[10:11], off
.LBB71_59:                              ;   in Loop: Header=BB71_3 Depth=1
	s_or_b64 exec, exec, s[4:5]
	v_readfirstlane_b32 s4, v38
	v_mov_b32_e32 v10, 0
	v_mov_b32_e32 v11, 0
	v_cmp_eq_u32_e64 s[4:5], s4, v38
	s_and_saveexec_b64 s[12:13], s[4:5]
	s_cbranch_execz .LBB71_65
; %bb.60:                               ;   in Loop: Header=BB71_3 Depth=1
	s_waitcnt lgkmcnt(0)
	global_load_dwordx2 v[28:29], v30, s[10:11] offset:24 glc
	s_waitcnt vmcnt(0)
	buffer_wbinvl1_vol
	global_load_dwordx2 v[10:11], v30, s[10:11] offset:40
	global_load_dwordx2 v[26:27], v30, s[10:11]
	s_waitcnt vmcnt(1)
	v_and_b32_e32 v0, v10, v28
	v_and_b32_e32 v10, v11, v29
	v_mul_lo_u32 v10, v10, 24
	v_mul_hi_u32 v11, v0, 24
	v_mul_lo_u32 v0, v0, 24
	v_add_u32_e32 v11, v11, v10
	s_waitcnt vmcnt(0)
	v_add_co_u32_e32 v10, vcc, v26, v0
	v_addc_co_u32_e32 v11, vcc, v27, v11, vcc
	global_load_dwordx2 v[26:27], v[10:11], off glc
	s_waitcnt vmcnt(0)
	global_atomic_cmpswap_x2 v[10:11], v30, v[26:29], s[10:11] offset:24 glc
	s_waitcnt vmcnt(0)
	buffer_wbinvl1_vol
	v_cmp_ne_u64_e32 vcc, v[10:11], v[28:29]
	s_and_saveexec_b64 s[14:15], vcc
	s_cbranch_execz .LBB71_64
; %bb.61:                               ;   in Loop: Header=BB71_3 Depth=1
	s_mov_b64 s[16:17], 0
.LBB71_62:                              ;   Parent Loop BB71_3 Depth=1
                                        ; =>  This Inner Loop Header: Depth=2
	s_sleep 1
	global_load_dwordx2 v[26:27], v30, s[10:11] offset:40
	global_load_dwordx2 v[35:36], v30, s[10:11]
	v_mov_b32_e32 v29, v11
	v_mov_b32_e32 v28, v10
	s_waitcnt vmcnt(1)
	v_and_b32_e32 v0, v26, v28
	s_waitcnt vmcnt(0)
	v_mad_u64_u32 v[10:11], s[18:19], v0, 24, v[35:36]
	v_and_b32_e32 v26, v27, v29
	v_mov_b32_e32 v0, v11
	v_mad_u64_u32 v[26:27], s[18:19], v26, 24, v[0:1]
	v_mov_b32_e32 v11, v26
	global_load_dwordx2 v[26:27], v[10:11], off glc
	s_waitcnt vmcnt(0)
	global_atomic_cmpswap_x2 v[10:11], v30, v[26:29], s[10:11] offset:24 glc
	s_waitcnt vmcnt(0)
	buffer_wbinvl1_vol
	v_cmp_eq_u64_e32 vcc, v[10:11], v[28:29]
	s_or_b64 s[16:17], vcc, s[16:17]
	s_andn2_b64 exec, exec, s[16:17]
	s_cbranch_execnz .LBB71_62
; %bb.63:                               ;   in Loop: Header=BB71_3 Depth=1
	s_or_b64 exec, exec, s[16:17]
.LBB71_64:                              ;   in Loop: Header=BB71_3 Depth=1
	s_or_b64 exec, exec, s[14:15]
.LBB71_65:                              ;   in Loop: Header=BB71_3 Depth=1
	s_or_b64 exec, exec, s[12:13]
	s_waitcnt lgkmcnt(0)
	global_load_dwordx2 v[35:36], v30, s[10:11] offset:40
	global_load_dwordx4 v[26:29], v30, s[10:11]
	v_readfirstlane_b32 s13, v11
	v_readfirstlane_b32 s12, v10
	s_mov_b64 s[14:15], exec
	s_waitcnt vmcnt(1)
	v_readfirstlane_b32 s16, v35
	v_readfirstlane_b32 s17, v36
	s_and_b64 s[16:17], s[16:17], s[12:13]
	s_mul_i32 s18, s17, 24
	s_mul_hi_u32 s19, s16, 24
	s_mul_i32 s22, s16, 24
	s_add_i32 s18, s19, s18
	v_mov_b32_e32 v0, s18
	s_waitcnt vmcnt(0)
	v_add_co_u32_e32 v35, vcc, s22, v26
	v_addc_co_u32_e32 v36, vcc, v27, v0, vcc
	s_and_saveexec_b64 s[18:19], s[4:5]
	s_cbranch_execz .LBB71_67
; %bb.66:                               ;   in Loop: Header=BB71_3 Depth=1
	v_mov_b32_e32 v10, s14
	v_mov_b32_e32 v11, s15
	global_store_dwordx4 v[35:36], v[10:13], off offset:8
.LBB71_67:                              ;   in Loop: Header=BB71_3 Depth=1
	s_or_b64 exec, exec, s[18:19]
	s_lshl_b64 s[14:15], s[16:17], 12
	v_mov_b32_e32 v10, s15
	v_add_co_u32_e32 v0, vcc, s14, v28
	v_addc_co_u32_e32 v28, vcc, v29, v10, vcc
	v_cmp_gt_u64_e32 vcc, 57, v[4:5]
	v_and_b32_e32 v6, 0xffffff1f, v6
	v_cndmask_b32_e32 v10, 0, v37, vcc
	v_lshl_add_u32 v11, v33, 2, 28
	v_or_b32_e32 v6, v6, v10
	v_and_or_b32 v6, v11, s21, v6
	v_lshlrev_b32_e32 v39, 6, v38
	v_readfirstlane_b32 s14, v0
	v_readfirstlane_b32 s15, v28
	s_nop 4
	global_store_dwordx4 v39, v[6:9], s[14:15]
	global_store_dwordx4 v39, v[14:17], s[14:15] offset:16
	global_store_dwordx4 v39, v[18:21], s[14:15] offset:32
	global_store_dwordx4 v39, v[22:25], s[14:15] offset:48
	s_and_saveexec_b64 s[14:15], s[4:5]
	s_cbranch_execz .LBB71_75
; %bb.68:                               ;   in Loop: Header=BB71_3 Depth=1
	global_load_dwordx2 v[16:17], v30, s[10:11] offset:32 glc
	global_load_dwordx2 v[6:7], v30, s[10:11] offset:40
	v_mov_b32_e32 v14, s12
	v_mov_b32_e32 v15, s13
	s_waitcnt vmcnt(0)
	v_readfirstlane_b32 s16, v6
	v_readfirstlane_b32 s17, v7
	s_and_b64 s[16:17], s[16:17], s[12:13]
	s_mul_i32 s17, s17, 24
	s_mul_hi_u32 s18, s16, 24
	s_mul_i32 s16, s16, 24
	s_add_i32 s17, s18, s17
	v_mov_b32_e32 v6, s17
	v_add_co_u32_e32 v10, vcc, s16, v26
	v_addc_co_u32_e32 v11, vcc, v27, v6, vcc
	global_store_dwordx2 v[10:11], v[16:17], off
	s_waitcnt vmcnt(0)
	global_atomic_cmpswap_x2 v[8:9], v30, v[14:17], s[10:11] offset:32 glc
	s_waitcnt vmcnt(0)
	v_cmp_ne_u64_e32 vcc, v[8:9], v[16:17]
	s_and_saveexec_b64 s[16:17], vcc
	s_cbranch_execz .LBB71_71
; %bb.69:                               ;   in Loop: Header=BB71_3 Depth=1
	s_mov_b64 s[18:19], 0
.LBB71_70:                              ;   Parent Loop BB71_3 Depth=1
                                        ; =>  This Inner Loop Header: Depth=2
	s_sleep 1
	global_store_dwordx2 v[10:11], v[8:9], off
	v_mov_b32_e32 v6, s12
	v_mov_b32_e32 v7, s13
	s_waitcnt vmcnt(0)
	global_atomic_cmpswap_x2 v[6:7], v30, v[6:9], s[10:11] offset:32 glc
	s_waitcnt vmcnt(0)
	v_cmp_eq_u64_e32 vcc, v[6:7], v[8:9]
	v_mov_b32_e32 v9, v7
	s_or_b64 s[18:19], vcc, s[18:19]
	v_mov_b32_e32 v8, v6
	s_andn2_b64 exec, exec, s[18:19]
	s_cbranch_execnz .LBB71_70
.LBB71_71:                              ;   in Loop: Header=BB71_3 Depth=1
	s_or_b64 exec, exec, s[16:17]
	global_load_dwordx2 v[6:7], v30, s[10:11] offset:16
	s_mov_b64 s[18:19], exec
	v_mbcnt_lo_u32_b32 v8, s18, 0
	v_mbcnt_hi_u32_b32 v8, s19, v8
	v_cmp_eq_u32_e32 vcc, 0, v8
	s_and_saveexec_b64 s[16:17], vcc
	s_cbranch_execz .LBB71_73
; %bb.72:                               ;   in Loop: Header=BB71_3 Depth=1
	s_bcnt1_i32_b64 s18, s[18:19]
	v_mov_b32_e32 v29, s18
	s_waitcnt vmcnt(0)
	global_atomic_add_x2 v[6:7], v[29:30], off offset:8
.LBB71_73:                              ;   in Loop: Header=BB71_3 Depth=1
	s_or_b64 exec, exec, s[16:17]
	s_waitcnt vmcnt(0)
	global_load_dwordx2 v[8:9], v[6:7], off offset:16
	s_waitcnt vmcnt(0)
	v_cmp_eq_u64_e32 vcc, 0, v[8:9]
	s_cbranch_vccnz .LBB71_75
; %bb.74:                               ;   in Loop: Header=BB71_3 Depth=1
	global_load_dword v29, v[6:7], off offset:24
	s_waitcnt vmcnt(0)
	v_readfirstlane_b32 s16, v29
	s_and_b32 m0, s16, 0xffffff
	global_store_dwordx2 v[8:9], v[29:30], off
	s_sendmsg sendmsg(MSG_INTERRUPT)
.LBB71_75:                              ;   in Loop: Header=BB71_3 Depth=1
	s_or_b64 exec, exec, s[14:15]
	v_add_co_u32_e32 v6, vcc, v0, v39
	v_addc_co_u32_e32 v7, vcc, 0, v28, vcc
	s_branch .LBB71_79
.LBB71_76:                              ;   in Loop: Header=BB71_79 Depth=2
	s_or_b64 exec, exec, s[14:15]
	v_readfirstlane_b32 s14, v0
	s_cmp_eq_u32 s14, 0
	s_cbranch_scc1 .LBB71_78
; %bb.77:                               ;   in Loop: Header=BB71_79 Depth=2
	s_sleep 1
	s_cbranch_execnz .LBB71_79
	s_branch .LBB71_81
.LBB71_78:                              ;   in Loop: Header=BB71_3 Depth=1
	s_branch .LBB71_81
.LBB71_79:                              ;   Parent Loop BB71_3 Depth=1
                                        ; =>  This Inner Loop Header: Depth=2
	v_mov_b32_e32 v0, 1
	s_and_saveexec_b64 s[14:15], s[4:5]
	s_cbranch_execz .LBB71_76
; %bb.80:                               ;   in Loop: Header=BB71_79 Depth=2
	global_load_dword v0, v[35:36], off offset:20 glc
	s_waitcnt vmcnt(0)
	buffer_wbinvl1_vol
	v_and_b32_e32 v0, 1, v0
	s_branch .LBB71_76
.LBB71_81:                              ;   in Loop: Header=BB71_3 Depth=1
	global_load_dwordx2 v[6:7], v[6:7], off
	s_and_saveexec_b64 s[14:15], s[4:5]
	s_cbranch_execz .LBB71_2
; %bb.82:                               ;   in Loop: Header=BB71_3 Depth=1
	global_load_dwordx2 v[8:9], v30, s[10:11] offset:40
	global_load_dwordx2 v[18:19], v30, s[10:11] offset:24 glc
	global_load_dwordx2 v[10:11], v30, s[10:11]
	s_waitcnt vmcnt(2)
	v_readfirstlane_b32 s16, v8
	v_readfirstlane_b32 s17, v9
	s_add_u32 s18, s16, 1
	s_addc_u32 s19, s17, 0
	s_add_u32 s4, s18, s12
	s_addc_u32 s5, s19, s13
	s_cmp_eq_u64 s[4:5], 0
	s_cselect_b32 s5, s19, s5
	s_cselect_b32 s4, s18, s4
	s_and_b64 s[12:13], s[4:5], s[16:17]
	s_mul_i32 s13, s13, 24
	s_mul_hi_u32 s16, s12, 24
	s_mul_i32 s12, s12, 24
	s_add_i32 s13, s16, s13
	v_mov_b32_e32 v0, s13
	s_waitcnt vmcnt(0)
	v_add_co_u32_e32 v14, vcc, s12, v10
	v_addc_co_u32_e32 v15, vcc, v11, v0, vcc
	v_mov_b32_e32 v16, s4
	global_store_dwordx2 v[14:15], v[18:19], off
	v_mov_b32_e32 v17, s5
	s_waitcnt vmcnt(0)
	global_atomic_cmpswap_x2 v[10:11], v30, v[16:19], s[10:11] offset:24 glc
	s_waitcnt vmcnt(0)
	v_cmp_ne_u64_e32 vcc, v[10:11], v[18:19]
	s_and_b64 exec, exec, vcc
	s_cbranch_execz .LBB71_2
; %bb.83:                               ;   in Loop: Header=BB71_3 Depth=1
	s_mov_b64 s[12:13], 0
.LBB71_84:                              ;   Parent Loop BB71_3 Depth=1
                                        ; =>  This Inner Loop Header: Depth=2
	s_sleep 1
	global_store_dwordx2 v[14:15], v[10:11], off
	v_mov_b32_e32 v8, s4
	v_mov_b32_e32 v9, s5
	s_waitcnt vmcnt(0)
	global_atomic_cmpswap_x2 v[8:9], v30, v[8:11], s[10:11] offset:24 glc
	s_waitcnt vmcnt(0)
	v_cmp_eq_u64_e32 vcc, v[8:9], v[10:11]
	v_mov_b32_e32 v11, v9
	s_or_b64 s[12:13], vcc, s[12:13]
	v_mov_b32_e32 v10, v8
	s_andn2_b64 exec, exec, s[12:13]
	s_cbranch_execnz .LBB71_84
	s_branch .LBB71_2
.LBB71_85:
	s_or_b64 exec, exec, s[6:7]
.LBB71_86:
	s_waitcnt vmcnt(0)
	v_mov_b32_e32 v0, v6
	v_mov_b32_e32 v1, v7
	s_waitcnt lgkmcnt(0)
	s_setpc_b64 s[30:31]
.LBB71_87:
                                        ; implicit-def: $vgpr6_vgpr7
	s_cbranch_execz .LBB71_86
; %bb.88:
	s_load_dwordx2 s[6:7], s[8:9], 0x50
	v_mbcnt_hi_u32_b32 v10, -1, v2
	v_readfirstlane_b32 s4, v10
	v_mov_b32_e32 v8, 0
	v_mov_b32_e32 v9, 0
	v_cmp_eq_u32_e64 s[4:5], s4, v10
	s_and_saveexec_b64 s[8:9], s[4:5]
	s_cbranch_execz .LBB71_94
; %bb.89:
	v_mov_b32_e32 v0, 0
	s_waitcnt lgkmcnt(0)
	global_load_dwordx2 v[6:7], v0, s[6:7] offset:24 glc
	s_waitcnt vmcnt(0)
	buffer_wbinvl1_vol
	global_load_dwordx2 v[4:5], v0, s[6:7] offset:40
	global_load_dwordx2 v[8:9], v0, s[6:7]
	s_waitcnt vmcnt(1)
	v_and_b32_e32 v2, v4, v6
	v_and_b32_e32 v4, v5, v7
	v_mul_lo_u32 v4, v4, 24
	v_mul_hi_u32 v5, v2, 24
	v_mul_lo_u32 v2, v2, 24
	v_add_u32_e32 v5, v5, v4
	s_waitcnt vmcnt(0)
	v_add_co_u32_e32 v4, vcc, v8, v2
	v_addc_co_u32_e32 v5, vcc, v9, v5, vcc
	global_load_dwordx2 v[4:5], v[4:5], off glc
	s_waitcnt vmcnt(0)
	global_atomic_cmpswap_x2 v[8:9], v0, v[4:7], s[6:7] offset:24 glc
	s_waitcnt vmcnt(0)
	buffer_wbinvl1_vol
	v_cmp_ne_u64_e32 vcc, v[8:9], v[6:7]
	s_and_saveexec_b64 s[10:11], vcc
	s_cbranch_execz .LBB71_93
; %bb.90:
	s_mov_b64 s[12:13], 0
.LBB71_91:                              ; =>This Inner Loop Header: Depth=1
	s_sleep 1
	global_load_dwordx2 v[4:5], v0, s[6:7] offset:40
	global_load_dwordx2 v[11:12], v0, s[6:7]
	v_mov_b32_e32 v6, v8
	v_mov_b32_e32 v7, v9
	s_waitcnt vmcnt(1)
	v_and_b32_e32 v2, v4, v6
	s_waitcnt vmcnt(0)
	v_mad_u64_u32 v[8:9], s[14:15], v2, 24, v[11:12]
	v_and_b32_e32 v4, v5, v7
	v_mov_b32_e32 v2, v9
	v_mad_u64_u32 v[4:5], s[14:15], v4, 24, v[2:3]
	v_mov_b32_e32 v9, v4
	global_load_dwordx2 v[4:5], v[8:9], off glc
	s_waitcnt vmcnt(0)
	global_atomic_cmpswap_x2 v[8:9], v0, v[4:7], s[6:7] offset:24 glc
	s_waitcnt vmcnt(0)
	buffer_wbinvl1_vol
	v_cmp_eq_u64_e32 vcc, v[8:9], v[6:7]
	s_or_b64 s[12:13], vcc, s[12:13]
	s_andn2_b64 exec, exec, s[12:13]
	s_cbranch_execnz .LBB71_91
; %bb.92:
	s_or_b64 exec, exec, s[12:13]
.LBB71_93:
	s_or_b64 exec, exec, s[10:11]
.LBB71_94:
	s_or_b64 exec, exec, s[8:9]
	v_mov_b32_e32 v2, 0
	s_waitcnt lgkmcnt(0)
	global_load_dwordx2 v[11:12], v2, s[6:7] offset:40
	global_load_dwordx4 v[4:7], v2, s[6:7]
	v_readfirstlane_b32 s9, v9
	v_readfirstlane_b32 s8, v8
	s_mov_b64 s[10:11], exec
	s_waitcnt vmcnt(1)
	v_readfirstlane_b32 s12, v11
	v_readfirstlane_b32 s13, v12
	s_and_b64 s[12:13], s[12:13], s[8:9]
	s_mul_i32 s14, s13, 24
	s_mul_hi_u32 s15, s12, 24
	s_mul_i32 s16, s12, 24
	s_add_i32 s14, s15, s14
	v_mov_b32_e32 v0, s14
	s_waitcnt vmcnt(0)
	v_add_co_u32_e32 v8, vcc, s16, v4
	v_addc_co_u32_e32 v9, vcc, v5, v0, vcc
	s_and_saveexec_b64 s[14:15], s[4:5]
	s_cbranch_execz .LBB71_96
; %bb.95:
	v_mov_b32_e32 v12, s11
	v_mov_b32_e32 v11, s10
	;; [unrolled: 1-line block ×4, first 2 shown]
	global_store_dwordx4 v[8:9], v[11:14], off offset:8
.LBB71_96:
	s_or_b64 exec, exec, s[14:15]
	s_lshl_b64 s[10:11], s[12:13], 12
	v_mov_b32_e32 v0, s11
	v_add_co_u32_e32 v11, vcc, s10, v6
	v_addc_co_u32_e32 v12, vcc, v7, v0, vcc
	s_movk_i32 s10, 0xff1f
	v_and_or_b32 v0, v3, s10, 32
	v_lshlrev_b32_e32 v10, 6, v10
	s_mov_b32 s12, 0
	v_mov_b32_e32 v3, v2
	v_readfirstlane_b32 s10, v11
	v_readfirstlane_b32 s11, v12
	v_add_co_u32_e32 v6, vcc, v11, v10
	s_mov_b32 s13, s12
	s_mov_b32 s14, s12
	;; [unrolled: 1-line block ×3, first 2 shown]
	s_nop 0
	global_store_dwordx4 v10, v[0:3], s[10:11]
	v_addc_co_u32_e32 v7, vcc, 0, v12, vcc
	v_mov_b32_e32 v0, s12
	v_mov_b32_e32 v1, s13
	v_mov_b32_e32 v2, s14
	v_mov_b32_e32 v3, s15
	global_store_dwordx4 v10, v[0:3], s[10:11] offset:16
	global_store_dwordx4 v10, v[0:3], s[10:11] offset:32
	;; [unrolled: 1-line block ×3, first 2 shown]
	s_and_saveexec_b64 s[10:11], s[4:5]
	s_cbranch_execz .LBB71_104
; %bb.97:
	v_mov_b32_e32 v10, 0
	global_load_dwordx2 v[13:14], v10, s[6:7] offset:32 glc
	global_load_dwordx2 v[0:1], v10, s[6:7] offset:40
	v_mov_b32_e32 v11, s8
	v_mov_b32_e32 v12, s9
	s_waitcnt vmcnt(0)
	v_and_b32_e32 v0, s8, v0
	v_and_b32_e32 v1, s9, v1
	v_mul_lo_u32 v1, v1, 24
	v_mul_hi_u32 v2, v0, 24
	v_mul_lo_u32 v0, v0, 24
	v_add_u32_e32 v1, v2, v1
	v_add_co_u32_e32 v4, vcc, v4, v0
	v_addc_co_u32_e32 v5, vcc, v5, v1, vcc
	global_store_dwordx2 v[4:5], v[13:14], off
	s_waitcnt vmcnt(0)
	global_atomic_cmpswap_x2 v[2:3], v10, v[11:14], s[6:7] offset:32 glc
	s_waitcnt vmcnt(0)
	v_cmp_ne_u64_e32 vcc, v[2:3], v[13:14]
	s_and_saveexec_b64 s[12:13], vcc
	s_cbranch_execz .LBB71_100
; %bb.98:
	s_mov_b64 s[14:15], 0
.LBB71_99:                              ; =>This Inner Loop Header: Depth=1
	s_sleep 1
	global_store_dwordx2 v[4:5], v[2:3], off
	v_mov_b32_e32 v0, s8
	v_mov_b32_e32 v1, s9
	s_waitcnt vmcnt(0)
	global_atomic_cmpswap_x2 v[0:1], v10, v[0:3], s[6:7] offset:32 glc
	s_waitcnt vmcnt(0)
	v_cmp_eq_u64_e32 vcc, v[0:1], v[2:3]
	v_mov_b32_e32 v3, v1
	s_or_b64 s[14:15], vcc, s[14:15]
	v_mov_b32_e32 v2, v0
	s_andn2_b64 exec, exec, s[14:15]
	s_cbranch_execnz .LBB71_99
.LBB71_100:
	s_or_b64 exec, exec, s[12:13]
	v_mov_b32_e32 v3, 0
	global_load_dwordx2 v[0:1], v3, s[6:7] offset:16
	s_mov_b64 s[12:13], exec
	v_mbcnt_lo_u32_b32 v2, s12, 0
	v_mbcnt_hi_u32_b32 v2, s13, v2
	v_cmp_eq_u32_e32 vcc, 0, v2
	s_and_saveexec_b64 s[14:15], vcc
	s_cbranch_execz .LBB71_102
; %bb.101:
	s_bcnt1_i32_b64 s12, s[12:13]
	v_mov_b32_e32 v2, s12
	s_waitcnt vmcnt(0)
	global_atomic_add_x2 v[0:1], v[2:3], off offset:8
.LBB71_102:
	s_or_b64 exec, exec, s[14:15]
	s_waitcnt vmcnt(0)
	global_load_dwordx2 v[2:3], v[0:1], off offset:16
	s_waitcnt vmcnt(0)
	v_cmp_eq_u64_e32 vcc, 0, v[2:3]
	s_cbranch_vccnz .LBB71_104
; %bb.103:
	global_load_dword v0, v[0:1], off offset:24
	v_mov_b32_e32 v1, 0
	s_waitcnt vmcnt(0)
	v_readfirstlane_b32 s12, v0
	s_and_b32 m0, s12, 0xffffff
	global_store_dwordx2 v[2:3], v[0:1], off
	s_sendmsg sendmsg(MSG_INTERRUPT)
.LBB71_104:
	s_or_b64 exec, exec, s[10:11]
	s_branch .LBB71_108
.LBB71_105:                             ;   in Loop: Header=BB71_108 Depth=1
	s_or_b64 exec, exec, s[10:11]
	v_readfirstlane_b32 s10, v0
	s_cmp_eq_u32 s10, 0
	s_cbranch_scc1 .LBB71_107
; %bb.106:                              ;   in Loop: Header=BB71_108 Depth=1
	s_sleep 1
	s_cbranch_execnz .LBB71_108
	s_branch .LBB71_110
.LBB71_107:
	s_branch .LBB71_110
.LBB71_108:                             ; =>This Inner Loop Header: Depth=1
	v_mov_b32_e32 v0, 1
	s_and_saveexec_b64 s[10:11], s[4:5]
	s_cbranch_execz .LBB71_105
; %bb.109:                              ;   in Loop: Header=BB71_108 Depth=1
	global_load_dword v0, v[8:9], off offset:20 glc
	s_waitcnt vmcnt(0)
	buffer_wbinvl1_vol
	v_and_b32_e32 v0, 1, v0
	s_branch .LBB71_105
.LBB71_110:
	global_load_dwordx2 v[6:7], v[6:7], off
	s_and_saveexec_b64 s[10:11], s[4:5]
	s_cbranch_execz .LBB71_113
; %bb.111:
	v_mov_b32_e32 v8, 0
	global_load_dwordx2 v[0:1], v8, s[6:7] offset:40
	global_load_dwordx2 v[11:12], v8, s[6:7] offset:24 glc
	global_load_dwordx2 v[2:3], v8, s[6:7]
	s_waitcnt vmcnt(2)
	v_readfirstlane_b32 s12, v0
	v_readfirstlane_b32 s13, v1
	s_add_u32 s14, s12, 1
	s_addc_u32 s15, s13, 0
	s_add_u32 s4, s14, s8
	s_addc_u32 s5, s15, s9
	s_cmp_eq_u64 s[4:5], 0
	s_cselect_b32 s5, s15, s5
	s_cselect_b32 s4, s14, s4
	s_and_b64 s[8:9], s[4:5], s[12:13]
	s_mul_i32 s9, s9, 24
	s_mul_hi_u32 s12, s8, 24
	s_mul_i32 s8, s8, 24
	s_add_i32 s9, s12, s9
	v_mov_b32_e32 v0, s9
	s_waitcnt vmcnt(0)
	v_add_co_u32_e32 v4, vcc, s8, v2
	v_addc_co_u32_e32 v5, vcc, v3, v0, vcc
	v_mov_b32_e32 v9, s4
	global_store_dwordx2 v[4:5], v[11:12], off
	v_mov_b32_e32 v10, s5
	s_waitcnt vmcnt(0)
	global_atomic_cmpswap_x2 v[2:3], v8, v[9:12], s[6:7] offset:24 glc
	s_mov_b64 s[8:9], 0
	s_waitcnt vmcnt(0)
	v_cmp_ne_u64_e32 vcc, v[2:3], v[11:12]
	s_and_b64 exec, exec, vcc
	s_cbranch_execz .LBB71_113
.LBB71_112:                             ; =>This Inner Loop Header: Depth=1
	s_sleep 1
	global_store_dwordx2 v[4:5], v[2:3], off
	v_mov_b32_e32 v0, s4
	v_mov_b32_e32 v1, s5
	s_waitcnt vmcnt(0)
	global_atomic_cmpswap_x2 v[0:1], v8, v[0:3], s[6:7] offset:24 glc
	s_waitcnt vmcnt(0)
	v_cmp_eq_u64_e32 vcc, v[0:1], v[2:3]
	v_mov_b32_e32 v3, v1
	s_or_b64 s[8:9], vcc, s[8:9]
	v_mov_b32_e32 v2, v0
	s_andn2_b64 exec, exec, s[8:9]
	s_cbranch_execnz .LBB71_112
.LBB71_113:
	s_or_b64 exec, exec, s[10:11]
	s_waitcnt vmcnt(0)
	v_mov_b32_e32 v0, v6
	v_mov_b32_e32 v1, v7
	s_waitcnt lgkmcnt(0)
	s_setpc_b64 s[30:31]
.Lfunc_end71:
	.size	__ockl_printf_append_string_n, .Lfunc_end71-__ockl_printf_append_string_n
                                        ; -- End function
	.set .L__ockl_printf_append_string_n.num_vgpr, 40
	.set .L__ockl_printf_append_string_n.num_agpr, 0
	.set .L__ockl_printf_append_string_n.numbered_sgpr, 32
	.set .L__ockl_printf_append_string_n.num_named_barrier, 0
	.set .L__ockl_printf_append_string_n.private_seg_size, 0
	.set .L__ockl_printf_append_string_n.uses_vcc, 1
	.set .L__ockl_printf_append_string_n.uses_flat_scratch, 0
	.set .L__ockl_printf_append_string_n.has_dyn_sized_stack, 0
	.set .L__ockl_printf_append_string_n.has_recursion, 0
	.set .L__ockl_printf_append_string_n.has_indirect_call, 0
	.section	.AMDGPU.csdata,"",@progbits
; Function info:
; codeLenInByte = 3920
; TotalNumSgprs: 36
; NumVgprs: 40
; ScratchSize: 0
; MemoryBound: 0
	.text
	.p2align	2                               ; -- Begin function __ockl_printf_append_args
	.type	__ockl_printf_append_args,@function
__ockl_printf_append_args:              ; @__ockl_printf_append_args
; %bb.0:
	s_waitcnt vmcnt(0) expcnt(0) lgkmcnt(0)
	s_load_dwordx2 s[6:7], s[8:9], 0x50
	v_mbcnt_lo_u32_b32 v5, -1, 0
	v_mbcnt_hi_u32_b32 v11, -1, v5
	v_readfirstlane_b32 s4, v11
	v_mov_b32_e32 v9, 0
	v_mov_b32_e32 v10, 0
	v_cmp_eq_u32_e64 s[4:5], s4, v11
	s_and_saveexec_b64 s[8:9], s[4:5]
	s_cbranch_execz .LBB72_6
; %bb.1:
	v_mov_b32_e32 v5, 0
	s_waitcnt lgkmcnt(0)
	global_load_dwordx2 v[14:15], v5, s[6:7] offset:24 glc
	s_waitcnt vmcnt(0)
	buffer_wbinvl1_vol
	global_load_dwordx2 v[6:7], v5, s[6:7] offset:40
	global_load_dwordx2 v[8:9], v5, s[6:7]
	s_waitcnt vmcnt(1)
	v_and_b32_e32 v6, v6, v14
	v_and_b32_e32 v7, v7, v15
	v_mul_lo_u32 v7, v7, 24
	v_mul_hi_u32 v10, v6, 24
	v_mul_lo_u32 v6, v6, 24
	v_add_u32_e32 v7, v10, v7
	s_waitcnt vmcnt(0)
	v_add_co_u32_e32 v6, vcc, v8, v6
	v_addc_co_u32_e32 v7, vcc, v9, v7, vcc
	global_load_dwordx2 v[12:13], v[6:7], off glc
	s_waitcnt vmcnt(0)
	global_atomic_cmpswap_x2 v[9:10], v5, v[12:15], s[6:7] offset:24 glc
	s_waitcnt vmcnt(0)
	buffer_wbinvl1_vol
	v_cmp_ne_u64_e32 vcc, v[9:10], v[14:15]
	s_and_saveexec_b64 s[10:11], vcc
	s_cbranch_execz .LBB72_5
; %bb.2:
	s_mov_b64 s[12:13], 0
.LBB72_3:                               ; =>This Inner Loop Header: Depth=1
	s_sleep 1
	global_load_dwordx2 v[6:7], v5, s[6:7] offset:40
	global_load_dwordx2 v[12:13], v5, s[6:7]
	v_mov_b32_e32 v15, v10
	v_mov_b32_e32 v14, v9
	s_waitcnt vmcnt(1)
	v_and_b32_e32 v6, v6, v14
	s_waitcnt vmcnt(0)
	v_mad_u64_u32 v[8:9], s[14:15], v6, 24, v[12:13]
	v_and_b32_e32 v7, v7, v15
	v_mov_b32_e32 v6, v9
	v_mad_u64_u32 v[6:7], s[14:15], v7, 24, v[6:7]
	v_mov_b32_e32 v9, v6
	global_load_dwordx2 v[12:13], v[8:9], off glc
	s_waitcnt vmcnt(0)
	global_atomic_cmpswap_x2 v[9:10], v5, v[12:15], s[6:7] offset:24 glc
	s_waitcnt vmcnt(0)
	buffer_wbinvl1_vol
	v_cmp_eq_u64_e32 vcc, v[9:10], v[14:15]
	s_or_b64 s[12:13], vcc, s[12:13]
	s_andn2_b64 exec, exec, s[12:13]
	s_cbranch_execnz .LBB72_3
; %bb.4:
	s_or_b64 exec, exec, s[12:13]
.LBB72_5:
	s_or_b64 exec, exec, s[10:11]
.LBB72_6:
	s_or_b64 exec, exec, s[8:9]
	v_mov_b32_e32 v14, 0
	s_waitcnt lgkmcnt(0)
	global_load_dwordx2 v[12:13], v14, s[6:7] offset:40
	global_load_dwordx4 v[5:8], v14, s[6:7]
	v_readfirstlane_b32 s9, v10
	v_readfirstlane_b32 s8, v9
	s_mov_b64 s[10:11], exec
	s_waitcnt vmcnt(1)
	v_readfirstlane_b32 s12, v12
	v_readfirstlane_b32 s13, v13
	s_and_b64 s[12:13], s[12:13], s[8:9]
	s_mul_i32 s14, s13, 24
	s_mul_hi_u32 s15, s12, 24
	s_mul_i32 s16, s12, 24
	s_add_i32 s14, s15, s14
	v_mov_b32_e32 v10, s14
	s_waitcnt vmcnt(0)
	v_add_co_u32_e32 v9, vcc, s16, v5
	v_addc_co_u32_e32 v10, vcc, v6, v10, vcc
	s_and_saveexec_b64 s[14:15], s[4:5]
	s_cbranch_execz .LBB72_8
; %bb.7:
	v_mov_b32_e32 v13, s11
	v_mov_b32_e32 v12, s10
	;; [unrolled: 1-line block ×4, first 2 shown]
	global_store_dwordx4 v[9:10], v[12:15], off offset:8
.LBB72_8:
	s_or_b64 exec, exec, s[14:15]
	s_lshl_b64 s[10:11], s[12:13], 12
	v_mov_b32_e32 v12, s11
	v_add_co_u32_e32 v7, vcc, s10, v7
	v_addc_co_u32_e32 v8, vcc, v8, v12, vcc
	v_or_b32_e32 v12, 2, v0
	v_cmp_eq_u32_e32 vcc, 0, v4
	v_cndmask_b32_e32 v0, v12, v0, vcc
	s_movk_i32 s10, 0xff1f
	s_mov_b32 s12, 0
	v_and_or_b32 v0, v0, s10, 32
	v_lshlrev_b32_e32 v4, 6, v11
	v_readfirstlane_b32 s10, v7
	v_readfirstlane_b32 s11, v8
	s_mov_b32 s13, s12
	s_mov_b32 s14, s12
	;; [unrolled: 1-line block ×3, first 2 shown]
	s_nop 1
	global_store_dwordx4 v4, v[0:3], s[10:11]
	s_nop 0
	v_mov_b32_e32 v0, s12
	v_mov_b32_e32 v1, s13
	;; [unrolled: 1-line block ×4, first 2 shown]
	global_store_dwordx4 v4, v[0:3], s[10:11] offset:16
	global_store_dwordx4 v4, v[0:3], s[10:11] offset:32
	global_store_dwordx4 v4, v[0:3], s[10:11] offset:48
	s_and_saveexec_b64 s[10:11], s[4:5]
	s_cbranch_execz .LBB72_16
; %bb.9:
	v_mov_b32_e32 v7, 0
	global_load_dwordx2 v[13:14], v7, s[6:7] offset:32 glc
	global_load_dwordx2 v[0:1], v7, s[6:7] offset:40
	v_mov_b32_e32 v11, s8
	v_mov_b32_e32 v12, s9
	s_waitcnt vmcnt(0)
	v_and_b32_e32 v0, s8, v0
	v_and_b32_e32 v1, s9, v1
	v_mul_lo_u32 v1, v1, 24
	v_mul_hi_u32 v2, v0, 24
	v_mul_lo_u32 v0, v0, 24
	v_add_u32_e32 v1, v2, v1
	v_add_co_u32_e32 v4, vcc, v5, v0
	v_addc_co_u32_e32 v5, vcc, v6, v1, vcc
	global_store_dwordx2 v[4:5], v[13:14], off
	s_waitcnt vmcnt(0)
	global_atomic_cmpswap_x2 v[2:3], v7, v[11:14], s[6:7] offset:32 glc
	s_waitcnt vmcnt(0)
	v_cmp_ne_u64_e32 vcc, v[2:3], v[13:14]
	s_and_saveexec_b64 s[12:13], vcc
	s_cbranch_execz .LBB72_12
; %bb.10:
	s_mov_b64 s[14:15], 0
.LBB72_11:                              ; =>This Inner Loop Header: Depth=1
	s_sleep 1
	global_store_dwordx2 v[4:5], v[2:3], off
	v_mov_b32_e32 v0, s8
	v_mov_b32_e32 v1, s9
	s_waitcnt vmcnt(0)
	global_atomic_cmpswap_x2 v[0:1], v7, v[0:3], s[6:7] offset:32 glc
	s_waitcnt vmcnt(0)
	v_cmp_eq_u64_e32 vcc, v[0:1], v[2:3]
	v_mov_b32_e32 v3, v1
	s_or_b64 s[14:15], vcc, s[14:15]
	v_mov_b32_e32 v2, v0
	s_andn2_b64 exec, exec, s[14:15]
	s_cbranch_execnz .LBB72_11
.LBB72_12:
	s_or_b64 exec, exec, s[12:13]
	v_mov_b32_e32 v3, 0
	global_load_dwordx2 v[0:1], v3, s[6:7] offset:16
	s_mov_b64 s[12:13], exec
	v_mbcnt_lo_u32_b32 v2, s12, 0
	v_mbcnt_hi_u32_b32 v2, s13, v2
	v_cmp_eq_u32_e32 vcc, 0, v2
	s_and_saveexec_b64 s[14:15], vcc
	s_cbranch_execz .LBB72_14
; %bb.13:
	s_bcnt1_i32_b64 s12, s[12:13]
	v_mov_b32_e32 v2, s12
	s_waitcnt vmcnt(0)
	global_atomic_add_x2 v[0:1], v[2:3], off offset:8
.LBB72_14:
	s_or_b64 exec, exec, s[14:15]
	s_waitcnt vmcnt(0)
	global_load_dwordx2 v[2:3], v[0:1], off offset:16
	s_waitcnt vmcnt(0)
	v_cmp_eq_u64_e32 vcc, 0, v[2:3]
	s_cbranch_vccnz .LBB72_16
; %bb.15:
	global_load_dword v0, v[0:1], off offset:24
	v_mov_b32_e32 v1, 0
	s_waitcnt vmcnt(0)
	v_readfirstlane_b32 s12, v0
	s_and_b32 m0, s12, 0xffffff
	global_store_dwordx2 v[2:3], v[0:1], off
	s_sendmsg sendmsg(MSG_INTERRUPT)
.LBB72_16:
	s_or_b64 exec, exec, s[10:11]
	s_branch .LBB72_20
.LBB72_17:                              ;   in Loop: Header=BB72_20 Depth=1
	s_or_b64 exec, exec, s[10:11]
	v_readfirstlane_b32 s10, v0
	s_cmp_eq_u32 s10, 0
	s_cbranch_scc1 .LBB72_19
; %bb.18:                               ;   in Loop: Header=BB72_20 Depth=1
	s_sleep 1
	s_cbranch_execnz .LBB72_20
	s_branch .LBB72_22
.LBB72_19:
	s_branch .LBB72_22
.LBB72_20:                              ; =>This Inner Loop Header: Depth=1
	v_mov_b32_e32 v0, 1
	s_and_saveexec_b64 s[10:11], s[4:5]
	s_cbranch_execz .LBB72_17
; %bb.21:                               ;   in Loop: Header=BB72_20 Depth=1
	global_load_dword v0, v[9:10], off offset:20 glc
	s_waitcnt vmcnt(0)
	buffer_wbinvl1_vol
	v_and_b32_e32 v0, 1, v0
	s_branch .LBB72_17
.LBB72_22:
	s_and_saveexec_b64 s[10:11], s[4:5]
	s_cbranch_execz .LBB72_25
; %bb.23:
	v_mov_b32_e32 v6, 0
	global_load_dwordx2 v[0:1], v6, s[6:7] offset:40
	global_load_dwordx2 v[9:10], v6, s[6:7] offset:24 glc
	global_load_dwordx2 v[2:3], v6, s[6:7]
	s_waitcnt vmcnt(2)
	v_readfirstlane_b32 s12, v0
	v_readfirstlane_b32 s13, v1
	s_add_u32 s14, s12, 1
	s_addc_u32 s15, s13, 0
	s_add_u32 s4, s14, s8
	s_addc_u32 s5, s15, s9
	s_cmp_eq_u64 s[4:5], 0
	s_cselect_b32 s5, s15, s5
	s_cselect_b32 s4, s14, s4
	s_and_b64 s[8:9], s[4:5], s[12:13]
	s_mul_i32 s9, s9, 24
	s_mul_hi_u32 s12, s8, 24
	s_mul_i32 s8, s8, 24
	s_add_i32 s9, s12, s9
	v_mov_b32_e32 v0, s9
	s_waitcnt vmcnt(0)
	v_add_co_u32_e32 v4, vcc, s8, v2
	v_addc_co_u32_e32 v5, vcc, v3, v0, vcc
	v_mov_b32_e32 v7, s4
	global_store_dwordx2 v[4:5], v[9:10], off
	v_mov_b32_e32 v8, s5
	s_waitcnt vmcnt(0)
	global_atomic_cmpswap_x2 v[2:3], v6, v[7:10], s[6:7] offset:24 glc
	s_mov_b64 s[8:9], 0
	s_waitcnt vmcnt(0)
	v_cmp_ne_u64_e32 vcc, v[2:3], v[9:10]
	s_and_b64 exec, exec, vcc
	s_cbranch_execz .LBB72_25
.LBB72_24:                              ; =>This Inner Loop Header: Depth=1
	s_sleep 1
	global_store_dwordx2 v[4:5], v[2:3], off
	v_mov_b32_e32 v0, s4
	v_mov_b32_e32 v1, s5
	s_waitcnt vmcnt(0)
	global_atomic_cmpswap_x2 v[0:1], v6, v[0:3], s[6:7] offset:24 glc
	s_waitcnt vmcnt(0)
	v_cmp_eq_u64_e32 vcc, v[0:1], v[2:3]
	v_mov_b32_e32 v3, v1
	s_or_b64 s[8:9], vcc, s[8:9]
	v_mov_b32_e32 v2, v0
	s_andn2_b64 exec, exec, s[8:9]
	s_cbranch_execnz .LBB72_24
.LBB72_25:
	s_or_b64 exec, exec, s[10:11]
	s_waitcnt vmcnt(0) lgkmcnt(0)
	s_setpc_b64 s[30:31]
.Lfunc_end72:
	.size	__ockl_printf_append_args, .Lfunc_end72-__ockl_printf_append_args
                                        ; -- End function
	.set .L__ockl_printf_append_args.num_vgpr, 16
	.set .L__ockl_printf_append_args.num_agpr, 0
	.set .L__ockl_printf_append_args.numbered_sgpr, 32
	.set .L__ockl_printf_append_args.num_named_barrier, 0
	.set .L__ockl_printf_append_args.private_seg_size, 0
	.set .L__ockl_printf_append_args.uses_vcc, 1
	.set .L__ockl_printf_append_args.uses_flat_scratch, 0
	.set .L__ockl_printf_append_args.has_dyn_sized_stack, 0
	.set .L__ockl_printf_append_args.has_recursion, 0
	.set .L__ockl_printf_append_args.has_indirect_call, 0
	.section	.AMDGPU.csdata,"",@progbits
; Function info:
; codeLenInByte = 1204
; TotalNumSgprs: 36
; NumVgprs: 16
; ScratchSize: 0
; MemoryBound: 0
	.text
	.p2align	2                               ; -- Begin function _ZL14no_device_codePKciS0_iS0_
	.type	_ZL14no_device_codePKciS0_iS0_,@function
_ZL14no_device_codePKciS0_iS0_:         ; @_ZL14no_device_codePKciS0_iS0_
; %bb.0:
	s_waitcnt vmcnt(0) expcnt(0) lgkmcnt(0)
	s_mov_b32 s26, s33
	s_mov_b32 s33, s32
	s_or_saveexec_b64 s[4:5], -1
	buffer_store_dword v40, off, s[0:3], s33 ; 4-byte Folded Spill
	s_mov_b64 exec, s[4:5]
	v_writelane_b32 v40, s30, 0
	s_addk_i32 s32, 0x400
	v_writelane_b32 v40, s31, 1
	s_load_dwordx2 s[6:7], s[8:9], 0x50
	v_mbcnt_lo_u32_b32 v0, -1, 0
	v_mbcnt_hi_u32_b32 v30, -1, v0
	v_readfirstlane_b32 s4, v30
	v_mov_b32_e32 v5, 0
	v_mov_b32_e32 v6, 0
	v_cmp_eq_u32_e64 s[4:5], s4, v30
	s_and_saveexec_b64 s[10:11], s[4:5]
	s_cbranch_execz .LBB73_6
; %bb.1:
	v_mov_b32_e32 v0, 0
	s_waitcnt lgkmcnt(0)
	global_load_dwordx2 v[3:4], v0, s[6:7] offset:24 glc
	s_waitcnt vmcnt(0)
	buffer_wbinvl1_vol
	global_load_dwordx2 v[1:2], v0, s[6:7] offset:40
	global_load_dwordx2 v[5:6], v0, s[6:7]
	s_waitcnt vmcnt(1)
	v_and_b32_e32 v1, v1, v3
	v_and_b32_e32 v2, v2, v4
	v_mul_lo_u32 v2, v2, 24
	v_mul_hi_u32 v7, v1, 24
	v_mul_lo_u32 v1, v1, 24
	v_add_u32_e32 v2, v7, v2
	s_waitcnt vmcnt(0)
	v_add_co_u32_e32 v1, vcc, v5, v1
	v_addc_co_u32_e32 v2, vcc, v6, v2, vcc
	global_load_dwordx2 v[1:2], v[1:2], off glc
	s_waitcnt vmcnt(0)
	global_atomic_cmpswap_x2 v[5:6], v0, v[1:4], s[6:7] offset:24 glc
	s_waitcnt vmcnt(0)
	buffer_wbinvl1_vol
	v_cmp_ne_u64_e32 vcc, v[5:6], v[3:4]
	s_and_saveexec_b64 s[12:13], vcc
	s_cbranch_execz .LBB73_5
; %bb.2:
	s_mov_b64 s[14:15], 0
.LBB73_3:                               ; =>This Inner Loop Header: Depth=1
	s_sleep 1
	global_load_dwordx2 v[1:2], v0, s[6:7] offset:40
	global_load_dwordx2 v[7:8], v0, s[6:7]
	v_mov_b32_e32 v3, v5
	v_mov_b32_e32 v4, v6
	s_waitcnt vmcnt(1)
	v_and_b32_e32 v1, v1, v3
	s_waitcnt vmcnt(0)
	v_mad_u64_u32 v[5:6], s[16:17], v1, 24, v[7:8]
	v_and_b32_e32 v2, v2, v4
	v_mov_b32_e32 v1, v6
	v_mad_u64_u32 v[1:2], s[16:17], v2, 24, v[1:2]
	v_mov_b32_e32 v6, v1
	global_load_dwordx2 v[1:2], v[5:6], off glc
	s_waitcnt vmcnt(0)
	global_atomic_cmpswap_x2 v[5:6], v0, v[1:4], s[6:7] offset:24 glc
	s_waitcnt vmcnt(0)
	buffer_wbinvl1_vol
	v_cmp_eq_u64_e32 vcc, v[5:6], v[3:4]
	s_or_b64 s[14:15], vcc, s[14:15]
	s_andn2_b64 exec, exec, s[14:15]
	s_cbranch_execnz .LBB73_3
; %bb.4:
	s_or_b64 exec, exec, s[14:15]
.LBB73_5:
	s_or_b64 exec, exec, s[12:13]
.LBB73_6:
	s_or_b64 exec, exec, s[10:11]
	v_mov_b32_e32 v4, 0
	s_waitcnt lgkmcnt(0)
	global_load_dwordx2 v[7:8], v4, s[6:7] offset:40
	global_load_dwordx4 v[0:3], v4, s[6:7]
	v_readfirstlane_b32 s11, v6
	v_readfirstlane_b32 s10, v5
	s_mov_b64 s[12:13], exec
	s_waitcnt vmcnt(1)
	v_readfirstlane_b32 s14, v7
	v_readfirstlane_b32 s15, v8
	s_and_b64 s[14:15], s[14:15], s[10:11]
	s_mul_i32 s16, s15, 24
	s_mul_hi_u32 s17, s14, 24
	s_mul_i32 s18, s14, 24
	s_add_i32 s16, s17, s16
	v_mov_b32_e32 v5, s16
	s_waitcnt vmcnt(0)
	v_add_co_u32_e32 v7, vcc, s18, v0
	v_addc_co_u32_e32 v8, vcc, v1, v5, vcc
	s_and_saveexec_b64 s[16:17], s[4:5]
	s_cbranch_execz .LBB73_8
; %bb.7:
	v_mov_b32_e32 v9, s12
	v_mov_b32_e32 v10, s13
	;; [unrolled: 1-line block ×4, first 2 shown]
	global_store_dwordx4 v[7:8], v[9:12], off offset:8
.LBB73_8:
	s_or_b64 exec, exec, s[16:17]
	s_lshl_b64 s[12:13], s[14:15], 12
	v_mov_b32_e32 v5, s13
	v_add_co_u32_e32 v2, vcc, s12, v2
	v_addc_co_u32_e32 v11, vcc, v3, v5, vcc
	v_lshlrev_b32_e32 v29, 6, v30
	s_mov_b32 s12, 0
	v_mov_b32_e32 v3, 33
	v_mov_b32_e32 v5, v4
	;; [unrolled: 1-line block ×3, first 2 shown]
	v_readfirstlane_b32 s16, v2
	v_readfirstlane_b32 s17, v11
	v_add_co_u32_e32 v9, vcc, v2, v29
	s_mov_b32 s13, s12
	s_mov_b32 s14, s12
	;; [unrolled: 1-line block ×3, first 2 shown]
	s_nop 0
	global_store_dwordx4 v29, v[3:6], s[16:17]
	v_mov_b32_e32 v2, s12
	v_addc_co_u32_e32 v10, vcc, 0, v11, vcc
	v_mov_b32_e32 v3, s13
	v_mov_b32_e32 v4, s14
	;; [unrolled: 1-line block ×3, first 2 shown]
	global_store_dwordx4 v29, v[2:5], s[16:17] offset:16
	global_store_dwordx4 v29, v[2:5], s[16:17] offset:32
	global_store_dwordx4 v29, v[2:5], s[16:17] offset:48
	s_and_saveexec_b64 s[12:13], s[4:5]
	s_cbranch_execz .LBB73_16
; %bb.9:
	v_mov_b32_e32 v6, 0
	global_load_dwordx2 v[13:14], v6, s[6:7] offset:32 glc
	global_load_dwordx2 v[2:3], v6, s[6:7] offset:40
	v_mov_b32_e32 v11, s10
	v_mov_b32_e32 v12, s11
	s_waitcnt vmcnt(0)
	v_and_b32_e32 v2, s10, v2
	v_and_b32_e32 v3, s11, v3
	v_mul_lo_u32 v3, v3, 24
	v_mul_hi_u32 v4, v2, 24
	v_mul_lo_u32 v2, v2, 24
	v_add_u32_e32 v3, v4, v3
	v_add_co_u32_e32 v4, vcc, v0, v2
	v_addc_co_u32_e32 v5, vcc, v1, v3, vcc
	global_store_dwordx2 v[4:5], v[13:14], off
	s_waitcnt vmcnt(0)
	global_atomic_cmpswap_x2 v[2:3], v6, v[11:14], s[6:7] offset:32 glc
	s_waitcnt vmcnt(0)
	v_cmp_ne_u64_e32 vcc, v[2:3], v[13:14]
	s_and_saveexec_b64 s[14:15], vcc
	s_cbranch_execz .LBB73_12
; %bb.10:
	s_mov_b64 s[16:17], 0
.LBB73_11:                              ; =>This Inner Loop Header: Depth=1
	s_sleep 1
	global_store_dwordx2 v[4:5], v[2:3], off
	v_mov_b32_e32 v0, s10
	v_mov_b32_e32 v1, s11
	s_waitcnt vmcnt(0)
	global_atomic_cmpswap_x2 v[0:1], v6, v[0:3], s[6:7] offset:32 glc
	s_waitcnt vmcnt(0)
	v_cmp_eq_u64_e32 vcc, v[0:1], v[2:3]
	v_mov_b32_e32 v3, v1
	s_or_b64 s[16:17], vcc, s[16:17]
	v_mov_b32_e32 v2, v0
	s_andn2_b64 exec, exec, s[16:17]
	s_cbranch_execnz .LBB73_11
.LBB73_12:
	s_or_b64 exec, exec, s[14:15]
	v_mov_b32_e32 v3, 0
	global_load_dwordx2 v[0:1], v3, s[6:7] offset:16
	s_mov_b64 s[14:15], exec
	v_mbcnt_lo_u32_b32 v2, s14, 0
	v_mbcnt_hi_u32_b32 v2, s15, v2
	v_cmp_eq_u32_e32 vcc, 0, v2
	s_and_saveexec_b64 s[16:17], vcc
	s_cbranch_execz .LBB73_14
; %bb.13:
	s_bcnt1_i32_b64 s14, s[14:15]
	v_mov_b32_e32 v2, s14
	s_waitcnt vmcnt(0)
	global_atomic_add_x2 v[0:1], v[2:3], off offset:8
.LBB73_14:
	s_or_b64 exec, exec, s[16:17]
	s_waitcnt vmcnt(0)
	global_load_dwordx2 v[2:3], v[0:1], off offset:16
	s_waitcnt vmcnt(0)
	v_cmp_eq_u64_e32 vcc, 0, v[2:3]
	s_cbranch_vccnz .LBB73_16
; %bb.15:
	global_load_dword v0, v[0:1], off offset:24
	v_mov_b32_e32 v1, 0
	s_waitcnt vmcnt(0)
	v_readfirstlane_b32 s14, v0
	s_and_b32 m0, s14, 0xffffff
	global_store_dwordx2 v[2:3], v[0:1], off
	s_sendmsg sendmsg(MSG_INTERRUPT)
.LBB73_16:
	s_or_b64 exec, exec, s[12:13]
	s_branch .LBB73_20
.LBB73_17:                              ;   in Loop: Header=BB73_20 Depth=1
	s_or_b64 exec, exec, s[12:13]
	v_readfirstlane_b32 s12, v0
	s_cmp_eq_u32 s12, 0
	s_cbranch_scc1 .LBB73_19
; %bb.18:                               ;   in Loop: Header=BB73_20 Depth=1
	s_sleep 1
	s_cbranch_execnz .LBB73_20
	s_branch .LBB73_22
.LBB73_19:
	s_branch .LBB73_22
.LBB73_20:                              ; =>This Inner Loop Header: Depth=1
	v_mov_b32_e32 v0, 1
	s_and_saveexec_b64 s[12:13], s[4:5]
	s_cbranch_execz .LBB73_17
; %bb.21:                               ;   in Loop: Header=BB73_20 Depth=1
	global_load_dword v0, v[7:8], off offset:20 glc
	s_waitcnt vmcnt(0)
	buffer_wbinvl1_vol
	v_and_b32_e32 v0, 1, v0
	s_branch .LBB73_17
.LBB73_22:
	global_load_dwordx2 v[4:5], v[9:10], off
	s_and_saveexec_b64 s[12:13], s[4:5]
	s_cbranch_execz .LBB73_25
; %bb.23:
	v_mov_b32_e32 v8, 0
	global_load_dwordx2 v[0:1], v8, s[6:7] offset:40
	global_load_dwordx2 v[11:12], v8, s[6:7] offset:24 glc
	global_load_dwordx2 v[2:3], v8, s[6:7]
	s_waitcnt vmcnt(2)
	v_readfirstlane_b32 s14, v0
	v_readfirstlane_b32 s15, v1
	s_add_u32 s16, s14, 1
	s_addc_u32 s17, s15, 0
	s_add_u32 s4, s16, s10
	s_addc_u32 s5, s17, s11
	s_cmp_eq_u64 s[4:5], 0
	s_cselect_b32 s5, s17, s5
	s_cselect_b32 s4, s16, s4
	s_and_b64 s[10:11], s[4:5], s[14:15]
	s_mul_i32 s11, s11, 24
	s_mul_hi_u32 s14, s10, 24
	s_mul_i32 s10, s10, 24
	s_add_i32 s11, s14, s11
	v_mov_b32_e32 v0, s11
	s_waitcnt vmcnt(0)
	v_add_co_u32_e32 v6, vcc, s10, v2
	v_addc_co_u32_e32 v7, vcc, v3, v0, vcc
	v_mov_b32_e32 v9, s4
	global_store_dwordx2 v[6:7], v[11:12], off
	v_mov_b32_e32 v10, s5
	s_waitcnt vmcnt(0)
	global_atomic_cmpswap_x2 v[2:3], v8, v[9:12], s[6:7] offset:24 glc
	s_mov_b64 s[10:11], 0
	s_waitcnt vmcnt(0)
	v_cmp_ne_u64_e32 vcc, v[2:3], v[11:12]
	s_and_b64 exec, exec, vcc
	s_cbranch_execz .LBB73_25
.LBB73_24:                              ; =>This Inner Loop Header: Depth=1
	s_sleep 1
	global_store_dwordx2 v[6:7], v[2:3], off
	v_mov_b32_e32 v0, s4
	v_mov_b32_e32 v1, s5
	s_waitcnt vmcnt(0)
	global_atomic_cmpswap_x2 v[0:1], v8, v[0:3], s[6:7] offset:24 glc
	s_waitcnt vmcnt(0)
	v_cmp_eq_u64_e32 vcc, v[0:1], v[2:3]
	v_mov_b32_e32 v3, v1
	s_or_b64 s[10:11], vcc, s[10:11]
	v_mov_b32_e32 v2, v0
	s_andn2_b64 exec, exec, s[10:11]
	s_cbranch_execnz .LBB73_24
.LBB73_25:
	s_or_b64 exec, exec, s[12:13]
	s_getpc_b64 s[10:11]
	s_add_u32 s10, s10, .str.5@rel32@lo+4
	s_addc_u32 s11, s11, .str.5@rel32@hi+12
	s_cmp_lg_u64 s[10:11], 0
	s_cbranch_scc0 .LBB73_110
; %bb.26:
	s_waitcnt vmcnt(0)
	v_and_b32_e32 v31, 2, v4
	v_mov_b32_e32 v26, 0
	v_and_b32_e32 v0, -3, v4
	v_mov_b32_e32 v1, v5
	s_mov_b64 s[12:13], 0x4d
	v_mov_b32_e32 v8, 2
	v_mov_b32_e32 v9, 1
	s_branch .LBB73_28
.LBB73_27:                              ;   in Loop: Header=BB73_28 Depth=1
	s_or_b64 exec, exec, s[18:19]
	s_sub_u32 s12, s12, s14
	s_subb_u32 s13, s13, s15
	s_add_u32 s10, s10, s14
	s_addc_u32 s11, s11, s15
	s_cmp_lg_u64 s[12:13], 0
	s_cbranch_scc0 .LBB73_111
.LBB73_28:                              ; =>This Loop Header: Depth=1
                                        ;     Child Loop BB73_31 Depth 2
                                        ;     Child Loop BB73_39 Depth 2
	;; [unrolled: 1-line block ×11, first 2 shown]
	v_cmp_lt_u64_e64 s[4:5], s[12:13], 56
	v_cmp_gt_u64_e64 s[16:17], s[12:13], 7
	s_and_b64 s[4:5], s[4:5], exec
	s_cselect_b32 s15, s13, 0
	s_cselect_b32 s14, s12, 56
	s_add_u32 s4, s10, 8
	s_addc_u32 s5, s11, 0
	s_and_b64 vcc, exec, s[16:17]
	s_cbranch_vccnz .LBB73_32
; %bb.29:                               ;   in Loop: Header=BB73_28 Depth=1
	s_cmp_eq_u64 s[12:13], 0
	s_cbranch_scc1 .LBB73_33
; %bb.30:                               ;   in Loop: Header=BB73_28 Depth=1
	v_mov_b32_e32 v2, 0
	s_lshl_b64 s[4:5], s[14:15], 3
	s_mov_b64 s[16:17], 0
	v_mov_b32_e32 v3, 0
	s_mov_b64 s[18:19], s[10:11]
.LBB73_31:                              ;   Parent Loop BB73_28 Depth=1
                                        ; =>  This Inner Loop Header: Depth=2
	global_load_ubyte v6, v26, s[18:19]
	s_waitcnt vmcnt(0)
	v_and_b32_e32 v25, 0xffff, v6
	v_lshlrev_b64 v[6:7], s16, v[25:26]
	s_add_u32 s16, s16, 8
	s_addc_u32 s17, s17, 0
	s_add_u32 s18, s18, 1
	s_addc_u32 s19, s19, 0
	v_or_b32_e32 v2, v6, v2
	s_cmp_lg_u32 s4, s16
	v_or_b32_e32 v3, v7, v3
	s_cbranch_scc1 .LBB73_31
	s_branch .LBB73_34
.LBB73_32:                              ;   in Loop: Header=BB73_28 Depth=1
	s_mov_b32 s20, 0
	s_branch .LBB73_35
.LBB73_33:                              ;   in Loop: Header=BB73_28 Depth=1
	v_mov_b32_e32 v2, 0
	v_mov_b32_e32 v3, 0
.LBB73_34:                              ;   in Loop: Header=BB73_28 Depth=1
	s_mov_b64 s[4:5], s[10:11]
	s_mov_b32 s20, 0
	s_cbranch_execnz .LBB73_36
.LBB73_35:                              ;   in Loop: Header=BB73_28 Depth=1
	global_load_dwordx2 v[2:3], v26, s[10:11]
	s_add_i32 s20, s14, -8
.LBB73_36:                              ;   in Loop: Header=BB73_28 Depth=1
	s_add_u32 s16, s4, 8
	s_addc_u32 s17, s5, 0
	s_cmp_gt_u32 s20, 7
	s_cbranch_scc1 .LBB73_40
; %bb.37:                               ;   in Loop: Header=BB73_28 Depth=1
	s_cmp_eq_u32 s20, 0
	s_cbranch_scc1 .LBB73_41
; %bb.38:                               ;   in Loop: Header=BB73_28 Depth=1
	v_mov_b32_e32 v10, 0
	s_mov_b64 s[16:17], 0
	v_mov_b32_e32 v11, 0
	s_mov_b64 s[18:19], 0
.LBB73_39:                              ;   Parent Loop BB73_28 Depth=1
                                        ; =>  This Inner Loop Header: Depth=2
	s_add_u32 s22, s4, s18
	s_addc_u32 s23, s5, s19
	global_load_ubyte v6, v26, s[22:23]
	s_add_u32 s18, s18, 1
	s_addc_u32 s19, s19, 0
	s_waitcnt vmcnt(0)
	v_and_b32_e32 v25, 0xffff, v6
	v_lshlrev_b64 v[6:7], s16, v[25:26]
	s_add_u32 s16, s16, 8
	s_addc_u32 s17, s17, 0
	v_or_b32_e32 v10, v6, v10
	s_cmp_lg_u32 s20, s18
	v_or_b32_e32 v11, v7, v11
	s_cbranch_scc1 .LBB73_39
	s_branch .LBB73_42
.LBB73_40:                              ;   in Loop: Header=BB73_28 Depth=1
                                        ; implicit-def: $vgpr10_vgpr11
	s_mov_b32 s21, 0
	s_branch .LBB73_43
.LBB73_41:                              ;   in Loop: Header=BB73_28 Depth=1
	v_mov_b32_e32 v10, 0
	v_mov_b32_e32 v11, 0
.LBB73_42:                              ;   in Loop: Header=BB73_28 Depth=1
	s_mov_b64 s[16:17], s[4:5]
	s_mov_b32 s21, 0
	s_cbranch_execnz .LBB73_44
.LBB73_43:                              ;   in Loop: Header=BB73_28 Depth=1
	global_load_dwordx2 v[10:11], v26, s[4:5]
	s_add_i32 s21, s20, -8
.LBB73_44:                              ;   in Loop: Header=BB73_28 Depth=1
	s_add_u32 s4, s16, 8
	s_addc_u32 s5, s17, 0
	s_cmp_gt_u32 s21, 7
	s_cbranch_scc1 .LBB73_48
; %bb.45:                               ;   in Loop: Header=BB73_28 Depth=1
	s_cmp_eq_u32 s21, 0
	s_cbranch_scc1 .LBB73_49
; %bb.46:                               ;   in Loop: Header=BB73_28 Depth=1
	v_mov_b32_e32 v12, 0
	s_mov_b64 s[4:5], 0
	v_mov_b32_e32 v13, 0
	s_mov_b64 s[18:19], 0
.LBB73_47:                              ;   Parent Loop BB73_28 Depth=1
                                        ; =>  This Inner Loop Header: Depth=2
	s_add_u32 s22, s16, s18
	s_addc_u32 s23, s17, s19
	global_load_ubyte v6, v26, s[22:23]
	s_add_u32 s18, s18, 1
	s_addc_u32 s19, s19, 0
	s_waitcnt vmcnt(0)
	v_and_b32_e32 v25, 0xffff, v6
	v_lshlrev_b64 v[6:7], s4, v[25:26]
	s_add_u32 s4, s4, 8
	s_addc_u32 s5, s5, 0
	v_or_b32_e32 v12, v6, v12
	s_cmp_lg_u32 s21, s18
	v_or_b32_e32 v13, v7, v13
	s_cbranch_scc1 .LBB73_47
	s_branch .LBB73_50
.LBB73_48:                              ;   in Loop: Header=BB73_28 Depth=1
	s_mov_b32 s20, 0
	s_branch .LBB73_51
.LBB73_49:                              ;   in Loop: Header=BB73_28 Depth=1
	v_mov_b32_e32 v12, 0
	v_mov_b32_e32 v13, 0
.LBB73_50:                              ;   in Loop: Header=BB73_28 Depth=1
	s_mov_b64 s[4:5], s[16:17]
	s_mov_b32 s20, 0
	s_cbranch_execnz .LBB73_52
.LBB73_51:                              ;   in Loop: Header=BB73_28 Depth=1
	global_load_dwordx2 v[12:13], v26, s[16:17]
	s_add_i32 s20, s21, -8
.LBB73_52:                              ;   in Loop: Header=BB73_28 Depth=1
	s_add_u32 s16, s4, 8
	s_addc_u32 s17, s5, 0
	s_cmp_gt_u32 s20, 7
	s_cbranch_scc1 .LBB73_56
; %bb.53:                               ;   in Loop: Header=BB73_28 Depth=1
	s_cmp_eq_u32 s20, 0
	s_cbranch_scc1 .LBB73_57
; %bb.54:                               ;   in Loop: Header=BB73_28 Depth=1
	v_mov_b32_e32 v14, 0
	s_mov_b64 s[16:17], 0
	v_mov_b32_e32 v15, 0
	s_mov_b64 s[18:19], 0
.LBB73_55:                              ;   Parent Loop BB73_28 Depth=1
                                        ; =>  This Inner Loop Header: Depth=2
	s_add_u32 s22, s4, s18
	s_addc_u32 s23, s5, s19
	global_load_ubyte v6, v26, s[22:23]
	s_add_u32 s18, s18, 1
	s_addc_u32 s19, s19, 0
	s_waitcnt vmcnt(0)
	v_and_b32_e32 v25, 0xffff, v6
	v_lshlrev_b64 v[6:7], s16, v[25:26]
	s_add_u32 s16, s16, 8
	s_addc_u32 s17, s17, 0
	v_or_b32_e32 v14, v6, v14
	s_cmp_lg_u32 s20, s18
	v_or_b32_e32 v15, v7, v15
	s_cbranch_scc1 .LBB73_55
	s_branch .LBB73_58
.LBB73_56:                              ;   in Loop: Header=BB73_28 Depth=1
                                        ; implicit-def: $vgpr14_vgpr15
	s_mov_b32 s21, 0
	s_branch .LBB73_59
.LBB73_57:                              ;   in Loop: Header=BB73_28 Depth=1
	v_mov_b32_e32 v14, 0
	v_mov_b32_e32 v15, 0
.LBB73_58:                              ;   in Loop: Header=BB73_28 Depth=1
	s_mov_b64 s[16:17], s[4:5]
	s_mov_b32 s21, 0
	s_cbranch_execnz .LBB73_60
.LBB73_59:                              ;   in Loop: Header=BB73_28 Depth=1
	global_load_dwordx2 v[14:15], v26, s[4:5]
	s_add_i32 s21, s20, -8
.LBB73_60:                              ;   in Loop: Header=BB73_28 Depth=1
	s_add_u32 s4, s16, 8
	s_addc_u32 s5, s17, 0
	s_cmp_gt_u32 s21, 7
	s_cbranch_scc1 .LBB73_64
; %bb.61:                               ;   in Loop: Header=BB73_28 Depth=1
	s_cmp_eq_u32 s21, 0
	s_cbranch_scc1 .LBB73_65
; %bb.62:                               ;   in Loop: Header=BB73_28 Depth=1
	v_mov_b32_e32 v16, 0
	s_mov_b64 s[4:5], 0
	v_mov_b32_e32 v17, 0
	s_mov_b64 s[18:19], 0
.LBB73_63:                              ;   Parent Loop BB73_28 Depth=1
                                        ; =>  This Inner Loop Header: Depth=2
	s_add_u32 s22, s16, s18
	s_addc_u32 s23, s17, s19
	global_load_ubyte v6, v26, s[22:23]
	s_add_u32 s18, s18, 1
	s_addc_u32 s19, s19, 0
	s_waitcnt vmcnt(0)
	v_and_b32_e32 v25, 0xffff, v6
	v_lshlrev_b64 v[6:7], s4, v[25:26]
	s_add_u32 s4, s4, 8
	s_addc_u32 s5, s5, 0
	v_or_b32_e32 v16, v6, v16
	s_cmp_lg_u32 s21, s18
	v_or_b32_e32 v17, v7, v17
	s_cbranch_scc1 .LBB73_63
	s_branch .LBB73_66
.LBB73_64:                              ;   in Loop: Header=BB73_28 Depth=1
	s_mov_b32 s20, 0
	s_branch .LBB73_67
.LBB73_65:                              ;   in Loop: Header=BB73_28 Depth=1
	v_mov_b32_e32 v16, 0
	v_mov_b32_e32 v17, 0
.LBB73_66:                              ;   in Loop: Header=BB73_28 Depth=1
	s_mov_b64 s[4:5], s[16:17]
	s_mov_b32 s20, 0
	s_cbranch_execnz .LBB73_68
.LBB73_67:                              ;   in Loop: Header=BB73_28 Depth=1
	global_load_dwordx2 v[16:17], v26, s[16:17]
	s_add_i32 s20, s21, -8
.LBB73_68:                              ;   in Loop: Header=BB73_28 Depth=1
	s_add_u32 s16, s4, 8
	s_addc_u32 s17, s5, 0
	s_cmp_gt_u32 s20, 7
	s_cbranch_scc1 .LBB73_72
; %bb.69:                               ;   in Loop: Header=BB73_28 Depth=1
	s_cmp_eq_u32 s20, 0
	s_cbranch_scc1 .LBB73_73
; %bb.70:                               ;   in Loop: Header=BB73_28 Depth=1
	v_mov_b32_e32 v18, 0
	s_mov_b64 s[16:17], 0
	v_mov_b32_e32 v19, 0
	s_mov_b64 s[18:19], 0
.LBB73_71:                              ;   Parent Loop BB73_28 Depth=1
                                        ; =>  This Inner Loop Header: Depth=2
	s_add_u32 s22, s4, s18
	s_addc_u32 s23, s5, s19
	global_load_ubyte v6, v26, s[22:23]
	s_add_u32 s18, s18, 1
	s_addc_u32 s19, s19, 0
	s_waitcnt vmcnt(0)
	v_and_b32_e32 v25, 0xffff, v6
	v_lshlrev_b64 v[6:7], s16, v[25:26]
	s_add_u32 s16, s16, 8
	s_addc_u32 s17, s17, 0
	v_or_b32_e32 v18, v6, v18
	s_cmp_lg_u32 s20, s18
	v_or_b32_e32 v19, v7, v19
	s_cbranch_scc1 .LBB73_71
	s_branch .LBB73_74
.LBB73_72:                              ;   in Loop: Header=BB73_28 Depth=1
                                        ; implicit-def: $vgpr18_vgpr19
	s_mov_b32 s21, 0
	s_branch .LBB73_75
.LBB73_73:                              ;   in Loop: Header=BB73_28 Depth=1
	v_mov_b32_e32 v18, 0
	v_mov_b32_e32 v19, 0
.LBB73_74:                              ;   in Loop: Header=BB73_28 Depth=1
	s_mov_b64 s[16:17], s[4:5]
	s_mov_b32 s21, 0
	s_cbranch_execnz .LBB73_76
.LBB73_75:                              ;   in Loop: Header=BB73_28 Depth=1
	global_load_dwordx2 v[18:19], v26, s[4:5]
	s_add_i32 s21, s20, -8
.LBB73_76:                              ;   in Loop: Header=BB73_28 Depth=1
	s_cmp_gt_u32 s21, 7
	s_cbranch_scc1 .LBB73_80
; %bb.77:                               ;   in Loop: Header=BB73_28 Depth=1
	s_cmp_eq_u32 s21, 0
	s_cbranch_scc1 .LBB73_81
; %bb.78:                               ;   in Loop: Header=BB73_28 Depth=1
	v_mov_b32_e32 v20, 0
	s_mov_b64 s[4:5], 0
	v_mov_b32_e32 v21, 0
	s_mov_b64 s[18:19], s[16:17]
.LBB73_79:                              ;   Parent Loop BB73_28 Depth=1
                                        ; =>  This Inner Loop Header: Depth=2
	global_load_ubyte v6, v26, s[18:19]
	s_add_i32 s21, s21, -1
	s_waitcnt vmcnt(0)
	v_and_b32_e32 v25, 0xffff, v6
	v_lshlrev_b64 v[6:7], s4, v[25:26]
	s_add_u32 s4, s4, 8
	s_addc_u32 s5, s5, 0
	s_add_u32 s18, s18, 1
	s_addc_u32 s19, s19, 0
	v_or_b32_e32 v20, v6, v20
	s_cmp_lg_u32 s21, 0
	v_or_b32_e32 v21, v7, v21
	s_cbranch_scc1 .LBB73_79
	s_branch .LBB73_82
.LBB73_80:                              ;   in Loop: Header=BB73_28 Depth=1
	s_branch .LBB73_83
.LBB73_81:                              ;   in Loop: Header=BB73_28 Depth=1
	v_mov_b32_e32 v20, 0
	v_mov_b32_e32 v21, 0
.LBB73_82:                              ;   in Loop: Header=BB73_28 Depth=1
	s_cbranch_execnz .LBB73_84
.LBB73_83:                              ;   in Loop: Header=BB73_28 Depth=1
	global_load_dwordx2 v[20:21], v26, s[16:17]
.LBB73_84:                              ;   in Loop: Header=BB73_28 Depth=1
	v_readfirstlane_b32 s4, v30
	v_mov_b32_e32 v6, 0
	v_mov_b32_e32 v7, 0
	v_cmp_eq_u32_e64 s[4:5], s4, v30
	s_and_saveexec_b64 s[16:17], s[4:5]
	s_cbranch_execz .LBB73_90
; %bb.85:                               ;   in Loop: Header=BB73_28 Depth=1
	global_load_dwordx2 v[24:25], v26, s[6:7] offset:24 glc
	s_waitcnt vmcnt(0)
	buffer_wbinvl1_vol
	global_load_dwordx2 v[6:7], v26, s[6:7] offset:40
	global_load_dwordx2 v[22:23], v26, s[6:7]
	s_waitcnt vmcnt(1)
	v_and_b32_e32 v6, v6, v24
	v_and_b32_e32 v7, v7, v25
	v_mul_lo_u32 v7, v7, 24
	v_mul_hi_u32 v27, v6, 24
	v_mul_lo_u32 v6, v6, 24
	v_add_u32_e32 v7, v27, v7
	s_waitcnt vmcnt(0)
	v_add_co_u32_e32 v6, vcc, v22, v6
	v_addc_co_u32_e32 v7, vcc, v23, v7, vcc
	global_load_dwordx2 v[22:23], v[6:7], off glc
	s_waitcnt vmcnt(0)
	global_atomic_cmpswap_x2 v[6:7], v26, v[22:25], s[6:7] offset:24 glc
	s_waitcnt vmcnt(0)
	buffer_wbinvl1_vol
	v_cmp_ne_u64_e32 vcc, v[6:7], v[24:25]
	s_and_saveexec_b64 s[18:19], vcc
	s_cbranch_execz .LBB73_89
; %bb.86:                               ;   in Loop: Header=BB73_28 Depth=1
	s_mov_b64 s[20:21], 0
.LBB73_87:                              ;   Parent Loop BB73_28 Depth=1
                                        ; =>  This Inner Loop Header: Depth=2
	s_sleep 1
	global_load_dwordx2 v[22:23], v26, s[6:7] offset:40
	global_load_dwordx2 v[27:28], v26, s[6:7]
	v_mov_b32_e32 v25, v7
	v_mov_b32_e32 v24, v6
	s_waitcnt vmcnt(1)
	v_and_b32_e32 v6, v22, v24
	s_waitcnt vmcnt(0)
	v_mad_u64_u32 v[6:7], s[22:23], v6, 24, v[27:28]
	v_and_b32_e32 v22, v23, v25
	v_mad_u64_u32 v[22:23], s[22:23], v22, 24, v[7:8]
	v_mov_b32_e32 v7, v22
	global_load_dwordx2 v[22:23], v[6:7], off glc
	s_waitcnt vmcnt(0)
	global_atomic_cmpswap_x2 v[6:7], v26, v[22:25], s[6:7] offset:24 glc
	s_waitcnt vmcnt(0)
	buffer_wbinvl1_vol
	v_cmp_eq_u64_e32 vcc, v[6:7], v[24:25]
	s_or_b64 s[20:21], vcc, s[20:21]
	s_andn2_b64 exec, exec, s[20:21]
	s_cbranch_execnz .LBB73_87
; %bb.88:                               ;   in Loop: Header=BB73_28 Depth=1
	s_or_b64 exec, exec, s[20:21]
.LBB73_89:                              ;   in Loop: Header=BB73_28 Depth=1
	s_or_b64 exec, exec, s[18:19]
.LBB73_90:                              ;   in Loop: Header=BB73_28 Depth=1
	s_or_b64 exec, exec, s[16:17]
	global_load_dwordx2 v[27:28], v26, s[6:7] offset:40
	global_load_dwordx4 v[22:25], v26, s[6:7]
	v_readfirstlane_b32 s17, v7
	v_readfirstlane_b32 s16, v6
	s_mov_b64 s[18:19], exec
	s_waitcnt vmcnt(1)
	v_readfirstlane_b32 s20, v27
	v_readfirstlane_b32 s21, v28
	s_and_b64 s[20:21], s[20:21], s[16:17]
	s_mul_i32 s22, s21, 24
	s_mul_hi_u32 s23, s20, 24
	s_mul_i32 s24, s20, 24
	s_add_i32 s22, s23, s22
	v_mov_b32_e32 v6, s22
	s_waitcnt vmcnt(0)
	v_add_co_u32_e32 v27, vcc, s24, v22
	v_addc_co_u32_e32 v28, vcc, v23, v6, vcc
	s_and_saveexec_b64 s[22:23], s[4:5]
	s_cbranch_execz .LBB73_92
; %bb.91:                               ;   in Loop: Header=BB73_28 Depth=1
	v_mov_b32_e32 v6, s18
	v_mov_b32_e32 v7, s19
	global_store_dwordx4 v[27:28], v[6:9], off offset:8
.LBB73_92:                              ;   in Loop: Header=BB73_28 Depth=1
	s_or_b64 exec, exec, s[22:23]
	s_lshl_b64 s[18:19], s[20:21], 12
	v_mov_b32_e32 v6, s19
	v_add_co_u32_e32 v24, vcc, s18, v24
	v_addc_co_u32_e32 v32, vcc, v25, v6, vcc
	v_cmp_lt_u64_e64 vcc, s[12:13], 57
	s_lshl_b32 s18, s14, 2
	v_cndmask_b32_e32 v6, 0, v31, vcc
	s_add_i32 s18, s18, 28
	v_and_b32_e32 v0, 0xffffff1f, v0
	s_and_b32 s18, s18, 0x1e0
	v_or_b32_e32 v0, v0, v6
	v_or_b32_e32 v0, s18, v0
	v_readfirstlane_b32 s18, v24
	v_readfirstlane_b32 s19, v32
	s_nop 4
	global_store_dwordx4 v29, v[0:3], s[18:19]
	global_store_dwordx4 v29, v[10:13], s[18:19] offset:16
	global_store_dwordx4 v29, v[14:17], s[18:19] offset:32
	;; [unrolled: 1-line block ×3, first 2 shown]
	s_and_saveexec_b64 s[18:19], s[4:5]
	s_cbranch_execz .LBB73_100
; %bb.93:                               ;   in Loop: Header=BB73_28 Depth=1
	global_load_dwordx2 v[12:13], v26, s[6:7] offset:32 glc
	global_load_dwordx2 v[0:1], v26, s[6:7] offset:40
	v_mov_b32_e32 v10, s16
	v_mov_b32_e32 v11, s17
	s_waitcnt vmcnt(0)
	v_readfirstlane_b32 s20, v0
	v_readfirstlane_b32 s21, v1
	s_and_b64 s[20:21], s[20:21], s[16:17]
	s_mul_i32 s21, s21, 24
	s_mul_hi_u32 s22, s20, 24
	s_mul_i32 s20, s20, 24
	s_add_i32 s21, s22, s21
	v_mov_b32_e32 v0, s21
	v_add_co_u32_e32 v6, vcc, s20, v22
	v_addc_co_u32_e32 v7, vcc, v23, v0, vcc
	global_store_dwordx2 v[6:7], v[12:13], off
	s_waitcnt vmcnt(0)
	global_atomic_cmpswap_x2 v[2:3], v26, v[10:13], s[6:7] offset:32 glc
	s_waitcnt vmcnt(0)
	v_cmp_ne_u64_e32 vcc, v[2:3], v[12:13]
	s_and_saveexec_b64 s[20:21], vcc
	s_cbranch_execz .LBB73_96
; %bb.94:                               ;   in Loop: Header=BB73_28 Depth=1
	s_mov_b64 s[22:23], 0
.LBB73_95:                              ;   Parent Loop BB73_28 Depth=1
                                        ; =>  This Inner Loop Header: Depth=2
	s_sleep 1
	global_store_dwordx2 v[6:7], v[2:3], off
	v_mov_b32_e32 v0, s16
	v_mov_b32_e32 v1, s17
	s_waitcnt vmcnt(0)
	global_atomic_cmpswap_x2 v[0:1], v26, v[0:3], s[6:7] offset:32 glc
	s_waitcnt vmcnt(0)
	v_cmp_eq_u64_e32 vcc, v[0:1], v[2:3]
	v_mov_b32_e32 v3, v1
	s_or_b64 s[22:23], vcc, s[22:23]
	v_mov_b32_e32 v2, v0
	s_andn2_b64 exec, exec, s[22:23]
	s_cbranch_execnz .LBB73_95
.LBB73_96:                              ;   in Loop: Header=BB73_28 Depth=1
	s_or_b64 exec, exec, s[20:21]
	global_load_dwordx2 v[0:1], v26, s[6:7] offset:16
	s_mov_b64 s[22:23], exec
	v_mbcnt_lo_u32_b32 v2, s22, 0
	v_mbcnt_hi_u32_b32 v2, s23, v2
	v_cmp_eq_u32_e32 vcc, 0, v2
	s_and_saveexec_b64 s[20:21], vcc
	s_cbranch_execz .LBB73_98
; %bb.97:                               ;   in Loop: Header=BB73_28 Depth=1
	s_bcnt1_i32_b64 s22, s[22:23]
	v_mov_b32_e32 v25, s22
	s_waitcnt vmcnt(0)
	global_atomic_add_x2 v[0:1], v[25:26], off offset:8
.LBB73_98:                              ;   in Loop: Header=BB73_28 Depth=1
	s_or_b64 exec, exec, s[20:21]
	s_waitcnt vmcnt(0)
	global_load_dwordx2 v[2:3], v[0:1], off offset:16
	s_waitcnt vmcnt(0)
	v_cmp_eq_u64_e32 vcc, 0, v[2:3]
	s_cbranch_vccnz .LBB73_100
; %bb.99:                               ;   in Loop: Header=BB73_28 Depth=1
	global_load_dword v25, v[0:1], off offset:24
	s_waitcnt vmcnt(0)
	v_readfirstlane_b32 s20, v25
	s_and_b32 m0, s20, 0xffffff
	global_store_dwordx2 v[2:3], v[25:26], off
	s_sendmsg sendmsg(MSG_INTERRUPT)
.LBB73_100:                             ;   in Loop: Header=BB73_28 Depth=1
	s_or_b64 exec, exec, s[18:19]
	v_add_co_u32_e32 v0, vcc, v24, v29
	v_addc_co_u32_e32 v1, vcc, 0, v32, vcc
	s_branch .LBB73_104
.LBB73_101:                             ;   in Loop: Header=BB73_104 Depth=2
	s_or_b64 exec, exec, s[18:19]
	v_readfirstlane_b32 s18, v2
	s_cmp_eq_u32 s18, 0
	s_cbranch_scc1 .LBB73_103
; %bb.102:                              ;   in Loop: Header=BB73_104 Depth=2
	s_sleep 1
	s_cbranch_execnz .LBB73_104
	s_branch .LBB73_106
.LBB73_103:                             ;   in Loop: Header=BB73_28 Depth=1
	s_branch .LBB73_106
.LBB73_104:                             ;   Parent Loop BB73_28 Depth=1
                                        ; =>  This Inner Loop Header: Depth=2
	v_mov_b32_e32 v2, 1
	s_and_saveexec_b64 s[18:19], s[4:5]
	s_cbranch_execz .LBB73_101
; %bb.105:                              ;   in Loop: Header=BB73_104 Depth=2
	global_load_dword v2, v[27:28], off offset:20 glc
	s_waitcnt vmcnt(0)
	buffer_wbinvl1_vol
	v_and_b32_e32 v2, 1, v2
	s_branch .LBB73_101
.LBB73_106:                             ;   in Loop: Header=BB73_28 Depth=1
	global_load_dwordx2 v[0:1], v[0:1], off
	s_and_saveexec_b64 s[18:19], s[4:5]
	s_cbranch_execz .LBB73_27
; %bb.107:                              ;   in Loop: Header=BB73_28 Depth=1
	global_load_dwordx2 v[2:3], v26, s[6:7] offset:40
	global_load_dwordx2 v[14:15], v26, s[6:7] offset:24 glc
	global_load_dwordx2 v[6:7], v26, s[6:7]
	s_waitcnt vmcnt(2)
	v_readfirstlane_b32 s20, v2
	v_readfirstlane_b32 s21, v3
	s_add_u32 s22, s20, 1
	s_addc_u32 s23, s21, 0
	s_add_u32 s4, s22, s16
	s_addc_u32 s5, s23, s17
	s_cmp_eq_u64 s[4:5], 0
	s_cselect_b32 s5, s23, s5
	s_cselect_b32 s4, s22, s4
	s_and_b64 s[16:17], s[4:5], s[20:21]
	s_mul_i32 s17, s17, 24
	s_mul_hi_u32 s20, s16, 24
	s_mul_i32 s16, s16, 24
	s_add_i32 s17, s20, s17
	v_mov_b32_e32 v3, s17
	s_waitcnt vmcnt(0)
	v_add_co_u32_e32 v2, vcc, s16, v6
	v_addc_co_u32_e32 v3, vcc, v7, v3, vcc
	v_mov_b32_e32 v12, s4
	global_store_dwordx2 v[2:3], v[14:15], off
	v_mov_b32_e32 v13, s5
	s_waitcnt vmcnt(0)
	global_atomic_cmpswap_x2 v[12:13], v26, v[12:15], s[6:7] offset:24 glc
	s_waitcnt vmcnt(0)
	v_cmp_ne_u64_e32 vcc, v[12:13], v[14:15]
	s_and_b64 exec, exec, vcc
	s_cbranch_execz .LBB73_27
; %bb.108:                              ;   in Loop: Header=BB73_28 Depth=1
	s_mov_b64 s[16:17], 0
.LBB73_109:                             ;   Parent Loop BB73_28 Depth=1
                                        ; =>  This Inner Loop Header: Depth=2
	s_sleep 1
	global_store_dwordx2 v[2:3], v[12:13], off
	v_mov_b32_e32 v10, s4
	v_mov_b32_e32 v11, s5
	s_waitcnt vmcnt(0)
	global_atomic_cmpswap_x2 v[6:7], v26, v[10:13], s[6:7] offset:24 glc
	s_waitcnt vmcnt(0)
	v_cmp_eq_u64_e32 vcc, v[6:7], v[12:13]
	v_mov_b32_e32 v13, v7
	s_or_b64 s[16:17], vcc, s[16:17]
	v_mov_b32_e32 v12, v6
	s_andn2_b64 exec, exec, s[16:17]
	s_cbranch_execnz .LBB73_109
	s_branch .LBB73_27
.LBB73_110:
                                        ; implicit-def: $vgpr0_vgpr1
	s_cbranch_execnz .LBB73_112
	s_branch .LBB73_138
.LBB73_111:
	s_branch .LBB73_138
.LBB73_112:
	v_readfirstlane_b32 s4, v30
	v_mov_b32_e32 v7, 0
	v_mov_b32_e32 v8, 0
	v_cmp_eq_u32_e64 s[4:5], s4, v30
	s_and_saveexec_b64 s[10:11], s[4:5]
	s_cbranch_execz .LBB73_118
; %bb.113:
	s_waitcnt vmcnt(0)
	v_mov_b32_e32 v0, 0
	global_load_dwordx2 v[9:10], v0, s[6:7] offset:24 glc
	s_waitcnt vmcnt(0)
	buffer_wbinvl1_vol
	global_load_dwordx2 v[1:2], v0, s[6:7] offset:40
	global_load_dwordx2 v[6:7], v0, s[6:7]
	s_waitcnt vmcnt(1)
	v_and_b32_e32 v1, v1, v9
	v_and_b32_e32 v2, v2, v10
	v_mul_lo_u32 v2, v2, 24
	v_mul_hi_u32 v3, v1, 24
	v_mul_lo_u32 v1, v1, 24
	v_add_u32_e32 v2, v3, v2
	s_waitcnt vmcnt(0)
	v_add_co_u32_e32 v1, vcc, v6, v1
	v_addc_co_u32_e32 v2, vcc, v7, v2, vcc
	global_load_dwordx2 v[7:8], v[1:2], off glc
	s_waitcnt vmcnt(0)
	global_atomic_cmpswap_x2 v[7:8], v0, v[7:10], s[6:7] offset:24 glc
	s_waitcnt vmcnt(0)
	buffer_wbinvl1_vol
	v_cmp_ne_u64_e32 vcc, v[7:8], v[9:10]
	s_and_saveexec_b64 s[12:13], vcc
	s_cbranch_execz .LBB73_117
; %bb.114:
	s_mov_b64 s[14:15], 0
.LBB73_115:                             ; =>This Inner Loop Header: Depth=1
	s_sleep 1
	global_load_dwordx2 v[1:2], v0, s[6:7] offset:40
	global_load_dwordx2 v[11:12], v0, s[6:7]
	v_mov_b32_e32 v10, v8
	v_mov_b32_e32 v9, v7
	s_waitcnt vmcnt(1)
	v_and_b32_e32 v1, v1, v9
	s_waitcnt vmcnt(0)
	v_mad_u64_u32 v[6:7], s[16:17], v1, 24, v[11:12]
	v_and_b32_e32 v2, v2, v10
	v_mov_b32_e32 v1, v7
	v_mad_u64_u32 v[1:2], s[16:17], v2, 24, v[1:2]
	v_mov_b32_e32 v7, v1
	global_load_dwordx2 v[7:8], v[6:7], off glc
	s_waitcnt vmcnt(0)
	global_atomic_cmpswap_x2 v[7:8], v0, v[7:10], s[6:7] offset:24 glc
	s_waitcnt vmcnt(0)
	buffer_wbinvl1_vol
	v_cmp_eq_u64_e32 vcc, v[7:8], v[9:10]
	s_or_b64 s[14:15], vcc, s[14:15]
	s_andn2_b64 exec, exec, s[14:15]
	s_cbranch_execnz .LBB73_115
; %bb.116:
	s_or_b64 exec, exec, s[14:15]
.LBB73_117:
	s_or_b64 exec, exec, s[12:13]
.LBB73_118:
	s_or_b64 exec, exec, s[10:11]
	v_mov_b32_e32 v6, 0
	global_load_dwordx2 v[9:10], v6, s[6:7] offset:40
	global_load_dwordx4 v[0:3], v6, s[6:7]
	v_readfirstlane_b32 s11, v8
	v_readfirstlane_b32 s10, v7
	s_mov_b64 s[12:13], exec
	s_waitcnt vmcnt(1)
	v_readfirstlane_b32 s14, v9
	v_readfirstlane_b32 s15, v10
	s_and_b64 s[14:15], s[14:15], s[10:11]
	s_mul_i32 s16, s15, 24
	s_mul_hi_u32 s17, s14, 24
	s_mul_i32 s18, s14, 24
	s_add_i32 s16, s17, s16
	v_mov_b32_e32 v7, s16
	s_waitcnt vmcnt(0)
	v_add_co_u32_e32 v8, vcc, s18, v0
	v_addc_co_u32_e32 v9, vcc, v1, v7, vcc
	s_and_saveexec_b64 s[16:17], s[4:5]
	s_cbranch_execz .LBB73_120
; %bb.119:
	v_mov_b32_e32 v10, s12
	v_mov_b32_e32 v11, s13
	;; [unrolled: 1-line block ×4, first 2 shown]
	global_store_dwordx4 v[8:9], v[10:13], off offset:8
.LBB73_120:
	s_or_b64 exec, exec, s[16:17]
	s_lshl_b64 s[12:13], s[14:15], 12
	v_mov_b32_e32 v7, s13
	v_add_co_u32_e32 v2, vcc, s12, v2
	v_addc_co_u32_e32 v3, vcc, v3, v7, vcc
	s_movk_i32 s12, 0xff1f
	v_and_or_b32 v4, v4, s12, 32
	v_add_co_u32_e32 v10, vcc, v2, v29
	s_mov_b32 s12, 0
	v_mov_b32_e32 v7, v6
	v_readfirstlane_b32 s16, v2
	v_readfirstlane_b32 s17, v3
	v_addc_co_u32_e32 v11, vcc, 0, v3, vcc
	s_mov_b32 s13, s12
	s_mov_b32 s14, s12
	;; [unrolled: 1-line block ×3, first 2 shown]
	s_nop 0
	global_store_dwordx4 v29, v[4:7], s[16:17]
	v_mov_b32_e32 v2, s12
	v_mov_b32_e32 v3, s13
	;; [unrolled: 1-line block ×4, first 2 shown]
	global_store_dwordx4 v29, v[2:5], s[16:17] offset:16
	global_store_dwordx4 v29, v[2:5], s[16:17] offset:32
	;; [unrolled: 1-line block ×3, first 2 shown]
	s_and_saveexec_b64 s[12:13], s[4:5]
	s_cbranch_execz .LBB73_128
; %bb.121:
	v_mov_b32_e32 v6, 0
	global_load_dwordx2 v[14:15], v6, s[6:7] offset:32 glc
	global_load_dwordx2 v[2:3], v6, s[6:7] offset:40
	v_mov_b32_e32 v12, s10
	v_mov_b32_e32 v13, s11
	s_waitcnt vmcnt(0)
	v_readfirstlane_b32 s14, v2
	v_readfirstlane_b32 s15, v3
	s_and_b64 s[14:15], s[14:15], s[10:11]
	s_mul_i32 s15, s15, 24
	s_mul_hi_u32 s16, s14, 24
	s_mul_i32 s14, s14, 24
	s_add_i32 s15, s16, s15
	v_mov_b32_e32 v2, s15
	v_add_co_u32_e32 v4, vcc, s14, v0
	v_addc_co_u32_e32 v5, vcc, v1, v2, vcc
	global_store_dwordx2 v[4:5], v[14:15], off
	s_waitcnt vmcnt(0)
	global_atomic_cmpswap_x2 v[2:3], v6, v[12:15], s[6:7] offset:32 glc
	s_waitcnt vmcnt(0)
	v_cmp_ne_u64_e32 vcc, v[2:3], v[14:15]
	s_and_saveexec_b64 s[14:15], vcc
	s_cbranch_execz .LBB73_124
; %bb.122:
	s_mov_b64 s[16:17], 0
.LBB73_123:                             ; =>This Inner Loop Header: Depth=1
	s_sleep 1
	global_store_dwordx2 v[4:5], v[2:3], off
	v_mov_b32_e32 v0, s10
	v_mov_b32_e32 v1, s11
	s_waitcnt vmcnt(0)
	global_atomic_cmpswap_x2 v[0:1], v6, v[0:3], s[6:7] offset:32 glc
	s_waitcnt vmcnt(0)
	v_cmp_eq_u64_e32 vcc, v[0:1], v[2:3]
	v_mov_b32_e32 v3, v1
	s_or_b64 s[16:17], vcc, s[16:17]
	v_mov_b32_e32 v2, v0
	s_andn2_b64 exec, exec, s[16:17]
	s_cbranch_execnz .LBB73_123
.LBB73_124:
	s_or_b64 exec, exec, s[14:15]
	v_mov_b32_e32 v3, 0
	global_load_dwordx2 v[0:1], v3, s[6:7] offset:16
	s_mov_b64 s[14:15], exec
	v_mbcnt_lo_u32_b32 v2, s14, 0
	v_mbcnt_hi_u32_b32 v2, s15, v2
	v_cmp_eq_u32_e32 vcc, 0, v2
	s_and_saveexec_b64 s[16:17], vcc
	s_cbranch_execz .LBB73_126
; %bb.125:
	s_bcnt1_i32_b64 s14, s[14:15]
	v_mov_b32_e32 v2, s14
	s_waitcnt vmcnt(0)
	global_atomic_add_x2 v[0:1], v[2:3], off offset:8
.LBB73_126:
	s_or_b64 exec, exec, s[16:17]
	s_waitcnt vmcnt(0)
	global_load_dwordx2 v[2:3], v[0:1], off offset:16
	s_waitcnt vmcnt(0)
	v_cmp_eq_u64_e32 vcc, 0, v[2:3]
	s_cbranch_vccnz .LBB73_128
; %bb.127:
	global_load_dword v0, v[0:1], off offset:24
	v_mov_b32_e32 v1, 0
	s_waitcnt vmcnt(0)
	v_readfirstlane_b32 s14, v0
	s_and_b32 m0, s14, 0xffffff
	global_store_dwordx2 v[2:3], v[0:1], off
	s_sendmsg sendmsg(MSG_INTERRUPT)
.LBB73_128:
	s_or_b64 exec, exec, s[12:13]
	s_branch .LBB73_132
.LBB73_129:                             ;   in Loop: Header=BB73_132 Depth=1
	s_or_b64 exec, exec, s[12:13]
	v_readfirstlane_b32 s12, v0
	s_cmp_eq_u32 s12, 0
	s_cbranch_scc1 .LBB73_131
; %bb.130:                              ;   in Loop: Header=BB73_132 Depth=1
	s_sleep 1
	s_cbranch_execnz .LBB73_132
	s_branch .LBB73_134
.LBB73_131:
	s_branch .LBB73_134
.LBB73_132:                             ; =>This Inner Loop Header: Depth=1
	v_mov_b32_e32 v0, 1
	s_and_saveexec_b64 s[12:13], s[4:5]
	s_cbranch_execz .LBB73_129
; %bb.133:                              ;   in Loop: Header=BB73_132 Depth=1
	global_load_dword v0, v[8:9], off offset:20 glc
	s_waitcnt vmcnt(0)
	buffer_wbinvl1_vol
	v_and_b32_e32 v0, 1, v0
	s_branch .LBB73_129
.LBB73_134:
	global_load_dwordx2 v[0:1], v[10:11], off
	s_and_saveexec_b64 s[12:13], s[4:5]
	s_cbranch_execz .LBB73_137
; %bb.135:
	v_mov_b32_e32 v8, 0
	global_load_dwordx2 v[2:3], v8, s[6:7] offset:40
	global_load_dwordx2 v[11:12], v8, s[6:7] offset:24 glc
	global_load_dwordx2 v[4:5], v8, s[6:7]
	s_waitcnt vmcnt(2)
	v_readfirstlane_b32 s14, v2
	v_readfirstlane_b32 s15, v3
	s_add_u32 s16, s14, 1
	s_addc_u32 s17, s15, 0
	s_add_u32 s4, s16, s10
	s_addc_u32 s5, s17, s11
	s_cmp_eq_u64 s[4:5], 0
	s_cselect_b32 s5, s17, s5
	s_cselect_b32 s4, s16, s4
	s_and_b64 s[10:11], s[4:5], s[14:15]
	s_mul_i32 s11, s11, 24
	s_mul_hi_u32 s14, s10, 24
	s_mul_i32 s10, s10, 24
	s_add_i32 s11, s14, s11
	v_mov_b32_e32 v2, s11
	s_waitcnt vmcnt(0)
	v_add_co_u32_e32 v6, vcc, s10, v4
	v_addc_co_u32_e32 v7, vcc, v5, v2, vcc
	v_mov_b32_e32 v9, s4
	global_store_dwordx2 v[6:7], v[11:12], off
	v_mov_b32_e32 v10, s5
	s_waitcnt vmcnt(0)
	global_atomic_cmpswap_x2 v[4:5], v8, v[9:12], s[6:7] offset:24 glc
	s_mov_b64 s[10:11], 0
	s_waitcnt vmcnt(0)
	v_cmp_ne_u64_e32 vcc, v[4:5], v[11:12]
	s_and_b64 exec, exec, vcc
	s_cbranch_execz .LBB73_137
.LBB73_136:                             ; =>This Inner Loop Header: Depth=1
	s_sleep 1
	global_store_dwordx2 v[6:7], v[4:5], off
	v_mov_b32_e32 v2, s4
	v_mov_b32_e32 v3, s5
	s_waitcnt vmcnt(0)
	global_atomic_cmpswap_x2 v[2:3], v8, v[2:5], s[6:7] offset:24 glc
	s_waitcnt vmcnt(0)
	v_cmp_eq_u64_e32 vcc, v[2:3], v[4:5]
	v_mov_b32_e32 v5, v3
	s_or_b64 s[10:11], vcc, s[10:11]
	v_mov_b32_e32 v4, v2
	s_andn2_b64 exec, exec, s[10:11]
	s_cbranch_execnz .LBB73_136
.LBB73_137:
	s_or_b64 exec, exec, s[12:13]
.LBB73_138:
	s_getpc_b64 s[10:11]
	s_add_u32 s10, s10, .str.3@rel32@lo+4
	s_addc_u32 s11, s11, .str.3@rel32@hi+12
	s_cmp_lg_u64 s[10:11], 0
	s_cselect_b64 s[4:5], -1, 0
	s_cmp_eq_u64 s[10:11], 0
	s_mov_b64 s[10:11], 0
	s_cbranch_scc1 .LBB73_142
; %bb.139:
	v_mov_b32_e32 v2, 0
	s_getpc_b64 s[10:11]
	s_add_u32 s10, s10, .str.3@rel32@lo+3
	s_addc_u32 s11, s11, .str.3@rel32@hi+11
.LBB73_140:                             ; =>This Inner Loop Header: Depth=1
	global_load_ubyte v3, v2, s[10:11] offset:1
	s_add_u32 s12, s10, 1
	s_addc_u32 s13, s11, 0
	s_mov_b64 s[10:11], s[12:13]
	s_waitcnt vmcnt(0)
	v_cmp_ne_u32_e32 vcc, 0, v3
	s_cbranch_vccnz .LBB73_140
; %bb.141:
	s_getpc_b64 s[10:11]
	s_add_u32 s10, s10, .str.3@rel32@lo+4
	s_addc_u32 s11, s11, .str.3@rel32@hi+12
	s_sub_u32 s10, s12, s10
	s_subb_u32 s11, s13, s11
	s_add_u32 s10, s10, 1
	s_addc_u32 s11, s11, 0
.LBB73_142:
	s_and_b64 vcc, exec, s[4:5]
	s_cbranch_vccz .LBB73_227
; %bb.143:
	s_waitcnt vmcnt(0)
	v_and_b32_e32 v31, 2, v0
	v_mov_b32_e32 v26, 0
	v_and_b32_e32 v2, -3, v0
	v_mov_b32_e32 v3, v1
	v_mov_b32_e32 v8, 2
	;; [unrolled: 1-line block ×3, first 2 shown]
	s_getpc_b64 s[12:13]
	s_add_u32 s12, s12, .str.3@rel32@lo+4
	s_addc_u32 s13, s13, .str.3@rel32@hi+12
	s_branch .LBB73_145
.LBB73_144:                             ;   in Loop: Header=BB73_145 Depth=1
	s_or_b64 exec, exec, s[18:19]
	s_sub_u32 s10, s10, s14
	s_subb_u32 s11, s11, s15
	s_add_u32 s12, s12, s14
	s_addc_u32 s13, s13, s15
	s_cmp_lg_u64 s[10:11], 0
	s_cbranch_scc0 .LBB73_228
.LBB73_145:                             ; =>This Loop Header: Depth=1
                                        ;     Child Loop BB73_148 Depth 2
                                        ;     Child Loop BB73_156 Depth 2
	;; [unrolled: 1-line block ×11, first 2 shown]
	v_cmp_lt_u64_e64 s[4:5], s[10:11], 56
	v_cmp_gt_u64_e64 s[16:17], s[10:11], 7
	s_and_b64 s[4:5], s[4:5], exec
	s_cselect_b32 s15, s11, 0
	s_cselect_b32 s14, s10, 56
	s_add_u32 s4, s12, 8
	s_addc_u32 s5, s13, 0
	s_and_b64 vcc, exec, s[16:17]
	s_cbranch_vccnz .LBB73_149
; %bb.146:                              ;   in Loop: Header=BB73_145 Depth=1
	s_cmp_eq_u64 s[10:11], 0
	s_cbranch_scc1 .LBB73_150
; %bb.147:                              ;   in Loop: Header=BB73_145 Depth=1
	v_mov_b32_e32 v4, 0
	s_lshl_b64 s[4:5], s[14:15], 3
	s_mov_b64 s[16:17], 0
	v_mov_b32_e32 v5, 0
	s_mov_b64 s[18:19], s[12:13]
.LBB73_148:                             ;   Parent Loop BB73_145 Depth=1
                                        ; =>  This Inner Loop Header: Depth=2
	global_load_ubyte v6, v26, s[18:19]
	s_waitcnt vmcnt(0)
	v_and_b32_e32 v25, 0xffff, v6
	v_lshlrev_b64 v[6:7], s16, v[25:26]
	s_add_u32 s16, s16, 8
	s_addc_u32 s17, s17, 0
	s_add_u32 s18, s18, 1
	s_addc_u32 s19, s19, 0
	v_or_b32_e32 v4, v6, v4
	s_cmp_lg_u32 s4, s16
	v_or_b32_e32 v5, v7, v5
	s_cbranch_scc1 .LBB73_148
	s_branch .LBB73_151
.LBB73_149:                             ;   in Loop: Header=BB73_145 Depth=1
	s_mov_b32 s20, 0
	s_branch .LBB73_152
.LBB73_150:                             ;   in Loop: Header=BB73_145 Depth=1
	v_mov_b32_e32 v4, 0
	v_mov_b32_e32 v5, 0
.LBB73_151:                             ;   in Loop: Header=BB73_145 Depth=1
	s_mov_b64 s[4:5], s[12:13]
	s_mov_b32 s20, 0
	s_cbranch_execnz .LBB73_153
.LBB73_152:                             ;   in Loop: Header=BB73_145 Depth=1
	global_load_dwordx2 v[4:5], v26, s[12:13]
	s_add_i32 s20, s14, -8
.LBB73_153:                             ;   in Loop: Header=BB73_145 Depth=1
	s_add_u32 s16, s4, 8
	s_addc_u32 s17, s5, 0
	s_cmp_gt_u32 s20, 7
	s_cbranch_scc1 .LBB73_157
; %bb.154:                              ;   in Loop: Header=BB73_145 Depth=1
	s_cmp_eq_u32 s20, 0
	s_cbranch_scc1 .LBB73_158
; %bb.155:                              ;   in Loop: Header=BB73_145 Depth=1
	v_mov_b32_e32 v10, 0
	s_mov_b64 s[16:17], 0
	v_mov_b32_e32 v11, 0
	s_mov_b64 s[18:19], 0
.LBB73_156:                             ;   Parent Loop BB73_145 Depth=1
                                        ; =>  This Inner Loop Header: Depth=2
	s_add_u32 s22, s4, s18
	s_addc_u32 s23, s5, s19
	global_load_ubyte v6, v26, s[22:23]
	s_add_u32 s18, s18, 1
	s_addc_u32 s19, s19, 0
	s_waitcnt vmcnt(0)
	v_and_b32_e32 v25, 0xffff, v6
	v_lshlrev_b64 v[6:7], s16, v[25:26]
	s_add_u32 s16, s16, 8
	s_addc_u32 s17, s17, 0
	v_or_b32_e32 v10, v6, v10
	s_cmp_lg_u32 s20, s18
	v_or_b32_e32 v11, v7, v11
	s_cbranch_scc1 .LBB73_156
	s_branch .LBB73_159
.LBB73_157:                             ;   in Loop: Header=BB73_145 Depth=1
                                        ; implicit-def: $vgpr10_vgpr11
	s_mov_b32 s21, 0
	s_branch .LBB73_160
.LBB73_158:                             ;   in Loop: Header=BB73_145 Depth=1
	v_mov_b32_e32 v10, 0
	v_mov_b32_e32 v11, 0
.LBB73_159:                             ;   in Loop: Header=BB73_145 Depth=1
	s_mov_b64 s[16:17], s[4:5]
	s_mov_b32 s21, 0
	s_cbranch_execnz .LBB73_161
.LBB73_160:                             ;   in Loop: Header=BB73_145 Depth=1
	global_load_dwordx2 v[10:11], v26, s[4:5]
	s_add_i32 s21, s20, -8
.LBB73_161:                             ;   in Loop: Header=BB73_145 Depth=1
	s_add_u32 s4, s16, 8
	s_addc_u32 s5, s17, 0
	s_cmp_gt_u32 s21, 7
	s_cbranch_scc1 .LBB73_165
; %bb.162:                              ;   in Loop: Header=BB73_145 Depth=1
	s_cmp_eq_u32 s21, 0
	s_cbranch_scc1 .LBB73_166
; %bb.163:                              ;   in Loop: Header=BB73_145 Depth=1
	v_mov_b32_e32 v12, 0
	s_mov_b64 s[4:5], 0
	v_mov_b32_e32 v13, 0
	s_mov_b64 s[18:19], 0
.LBB73_164:                             ;   Parent Loop BB73_145 Depth=1
                                        ; =>  This Inner Loop Header: Depth=2
	s_add_u32 s22, s16, s18
	s_addc_u32 s23, s17, s19
	global_load_ubyte v6, v26, s[22:23]
	s_add_u32 s18, s18, 1
	s_addc_u32 s19, s19, 0
	s_waitcnt vmcnt(0)
	v_and_b32_e32 v25, 0xffff, v6
	v_lshlrev_b64 v[6:7], s4, v[25:26]
	s_add_u32 s4, s4, 8
	s_addc_u32 s5, s5, 0
	v_or_b32_e32 v12, v6, v12
	s_cmp_lg_u32 s21, s18
	v_or_b32_e32 v13, v7, v13
	s_cbranch_scc1 .LBB73_164
	s_branch .LBB73_167
.LBB73_165:                             ;   in Loop: Header=BB73_145 Depth=1
	s_mov_b32 s20, 0
	s_branch .LBB73_168
.LBB73_166:                             ;   in Loop: Header=BB73_145 Depth=1
	v_mov_b32_e32 v12, 0
	v_mov_b32_e32 v13, 0
.LBB73_167:                             ;   in Loop: Header=BB73_145 Depth=1
	s_mov_b64 s[4:5], s[16:17]
	s_mov_b32 s20, 0
	s_cbranch_execnz .LBB73_169
.LBB73_168:                             ;   in Loop: Header=BB73_145 Depth=1
	global_load_dwordx2 v[12:13], v26, s[16:17]
	s_add_i32 s20, s21, -8
.LBB73_169:                             ;   in Loop: Header=BB73_145 Depth=1
	s_add_u32 s16, s4, 8
	s_addc_u32 s17, s5, 0
	s_cmp_gt_u32 s20, 7
	s_cbranch_scc1 .LBB73_173
; %bb.170:                              ;   in Loop: Header=BB73_145 Depth=1
	s_cmp_eq_u32 s20, 0
	s_cbranch_scc1 .LBB73_174
; %bb.171:                              ;   in Loop: Header=BB73_145 Depth=1
	v_mov_b32_e32 v14, 0
	s_mov_b64 s[16:17], 0
	v_mov_b32_e32 v15, 0
	s_mov_b64 s[18:19], 0
.LBB73_172:                             ;   Parent Loop BB73_145 Depth=1
                                        ; =>  This Inner Loop Header: Depth=2
	s_add_u32 s22, s4, s18
	s_addc_u32 s23, s5, s19
	global_load_ubyte v6, v26, s[22:23]
	s_add_u32 s18, s18, 1
	s_addc_u32 s19, s19, 0
	s_waitcnt vmcnt(0)
	v_and_b32_e32 v25, 0xffff, v6
	v_lshlrev_b64 v[6:7], s16, v[25:26]
	s_add_u32 s16, s16, 8
	s_addc_u32 s17, s17, 0
	v_or_b32_e32 v14, v6, v14
	s_cmp_lg_u32 s20, s18
	v_or_b32_e32 v15, v7, v15
	s_cbranch_scc1 .LBB73_172
	s_branch .LBB73_175
.LBB73_173:                             ;   in Loop: Header=BB73_145 Depth=1
                                        ; implicit-def: $vgpr14_vgpr15
	s_mov_b32 s21, 0
	s_branch .LBB73_176
.LBB73_174:                             ;   in Loop: Header=BB73_145 Depth=1
	v_mov_b32_e32 v14, 0
	v_mov_b32_e32 v15, 0
.LBB73_175:                             ;   in Loop: Header=BB73_145 Depth=1
	s_mov_b64 s[16:17], s[4:5]
	s_mov_b32 s21, 0
	s_cbranch_execnz .LBB73_177
.LBB73_176:                             ;   in Loop: Header=BB73_145 Depth=1
	global_load_dwordx2 v[14:15], v26, s[4:5]
	s_add_i32 s21, s20, -8
.LBB73_177:                             ;   in Loop: Header=BB73_145 Depth=1
	s_add_u32 s4, s16, 8
	s_addc_u32 s5, s17, 0
	s_cmp_gt_u32 s21, 7
	s_cbranch_scc1 .LBB73_181
; %bb.178:                              ;   in Loop: Header=BB73_145 Depth=1
	s_cmp_eq_u32 s21, 0
	s_cbranch_scc1 .LBB73_182
; %bb.179:                              ;   in Loop: Header=BB73_145 Depth=1
	v_mov_b32_e32 v16, 0
	s_mov_b64 s[4:5], 0
	v_mov_b32_e32 v17, 0
	s_mov_b64 s[18:19], 0
.LBB73_180:                             ;   Parent Loop BB73_145 Depth=1
                                        ; =>  This Inner Loop Header: Depth=2
	s_add_u32 s22, s16, s18
	s_addc_u32 s23, s17, s19
	global_load_ubyte v6, v26, s[22:23]
	s_add_u32 s18, s18, 1
	s_addc_u32 s19, s19, 0
	s_waitcnt vmcnt(0)
	v_and_b32_e32 v25, 0xffff, v6
	v_lshlrev_b64 v[6:7], s4, v[25:26]
	s_add_u32 s4, s4, 8
	s_addc_u32 s5, s5, 0
	v_or_b32_e32 v16, v6, v16
	s_cmp_lg_u32 s21, s18
	v_or_b32_e32 v17, v7, v17
	s_cbranch_scc1 .LBB73_180
	s_branch .LBB73_183
.LBB73_181:                             ;   in Loop: Header=BB73_145 Depth=1
	s_mov_b32 s20, 0
	s_branch .LBB73_184
.LBB73_182:                             ;   in Loop: Header=BB73_145 Depth=1
	v_mov_b32_e32 v16, 0
	v_mov_b32_e32 v17, 0
.LBB73_183:                             ;   in Loop: Header=BB73_145 Depth=1
	s_mov_b64 s[4:5], s[16:17]
	s_mov_b32 s20, 0
	s_cbranch_execnz .LBB73_185
.LBB73_184:                             ;   in Loop: Header=BB73_145 Depth=1
	global_load_dwordx2 v[16:17], v26, s[16:17]
	s_add_i32 s20, s21, -8
.LBB73_185:                             ;   in Loop: Header=BB73_145 Depth=1
	s_add_u32 s16, s4, 8
	s_addc_u32 s17, s5, 0
	s_cmp_gt_u32 s20, 7
	s_cbranch_scc1 .LBB73_189
; %bb.186:                              ;   in Loop: Header=BB73_145 Depth=1
	s_cmp_eq_u32 s20, 0
	s_cbranch_scc1 .LBB73_190
; %bb.187:                              ;   in Loop: Header=BB73_145 Depth=1
	v_mov_b32_e32 v18, 0
	s_mov_b64 s[16:17], 0
	v_mov_b32_e32 v19, 0
	s_mov_b64 s[18:19], 0
.LBB73_188:                             ;   Parent Loop BB73_145 Depth=1
                                        ; =>  This Inner Loop Header: Depth=2
	s_add_u32 s22, s4, s18
	s_addc_u32 s23, s5, s19
	global_load_ubyte v6, v26, s[22:23]
	s_add_u32 s18, s18, 1
	s_addc_u32 s19, s19, 0
	s_waitcnt vmcnt(0)
	v_and_b32_e32 v25, 0xffff, v6
	v_lshlrev_b64 v[6:7], s16, v[25:26]
	s_add_u32 s16, s16, 8
	s_addc_u32 s17, s17, 0
	v_or_b32_e32 v18, v6, v18
	s_cmp_lg_u32 s20, s18
	v_or_b32_e32 v19, v7, v19
	s_cbranch_scc1 .LBB73_188
	s_branch .LBB73_191
.LBB73_189:                             ;   in Loop: Header=BB73_145 Depth=1
                                        ; implicit-def: $vgpr18_vgpr19
	s_mov_b32 s21, 0
	s_branch .LBB73_192
.LBB73_190:                             ;   in Loop: Header=BB73_145 Depth=1
	v_mov_b32_e32 v18, 0
	v_mov_b32_e32 v19, 0
.LBB73_191:                             ;   in Loop: Header=BB73_145 Depth=1
	s_mov_b64 s[16:17], s[4:5]
	s_mov_b32 s21, 0
	s_cbranch_execnz .LBB73_193
.LBB73_192:                             ;   in Loop: Header=BB73_145 Depth=1
	global_load_dwordx2 v[18:19], v26, s[4:5]
	s_add_i32 s21, s20, -8
.LBB73_193:                             ;   in Loop: Header=BB73_145 Depth=1
	s_cmp_gt_u32 s21, 7
	s_cbranch_scc1 .LBB73_197
; %bb.194:                              ;   in Loop: Header=BB73_145 Depth=1
	s_cmp_eq_u32 s21, 0
	s_cbranch_scc1 .LBB73_198
; %bb.195:                              ;   in Loop: Header=BB73_145 Depth=1
	v_mov_b32_e32 v20, 0
	s_mov_b64 s[4:5], 0
	v_mov_b32_e32 v21, 0
	s_mov_b64 s[18:19], s[16:17]
.LBB73_196:                             ;   Parent Loop BB73_145 Depth=1
                                        ; =>  This Inner Loop Header: Depth=2
	global_load_ubyte v6, v26, s[18:19]
	s_add_i32 s21, s21, -1
	s_waitcnt vmcnt(0)
	v_and_b32_e32 v25, 0xffff, v6
	v_lshlrev_b64 v[6:7], s4, v[25:26]
	s_add_u32 s4, s4, 8
	s_addc_u32 s5, s5, 0
	s_add_u32 s18, s18, 1
	s_addc_u32 s19, s19, 0
	v_or_b32_e32 v20, v6, v20
	s_cmp_lg_u32 s21, 0
	v_or_b32_e32 v21, v7, v21
	s_cbranch_scc1 .LBB73_196
	s_branch .LBB73_199
.LBB73_197:                             ;   in Loop: Header=BB73_145 Depth=1
	s_branch .LBB73_200
.LBB73_198:                             ;   in Loop: Header=BB73_145 Depth=1
	v_mov_b32_e32 v20, 0
	v_mov_b32_e32 v21, 0
.LBB73_199:                             ;   in Loop: Header=BB73_145 Depth=1
	s_cbranch_execnz .LBB73_201
.LBB73_200:                             ;   in Loop: Header=BB73_145 Depth=1
	global_load_dwordx2 v[20:21], v26, s[16:17]
.LBB73_201:                             ;   in Loop: Header=BB73_145 Depth=1
	v_readfirstlane_b32 s4, v30
	v_mov_b32_e32 v6, 0
	v_mov_b32_e32 v7, 0
	v_cmp_eq_u32_e64 s[4:5], s4, v30
	s_and_saveexec_b64 s[16:17], s[4:5]
	s_cbranch_execz .LBB73_207
; %bb.202:                              ;   in Loop: Header=BB73_145 Depth=1
	global_load_dwordx2 v[24:25], v26, s[6:7] offset:24 glc
	s_waitcnt vmcnt(0)
	buffer_wbinvl1_vol
	global_load_dwordx2 v[6:7], v26, s[6:7] offset:40
	global_load_dwordx2 v[22:23], v26, s[6:7]
	s_waitcnt vmcnt(1)
	v_and_b32_e32 v6, v6, v24
	v_and_b32_e32 v7, v7, v25
	v_mul_lo_u32 v7, v7, 24
	v_mul_hi_u32 v27, v6, 24
	v_mul_lo_u32 v6, v6, 24
	v_add_u32_e32 v7, v27, v7
	s_waitcnt vmcnt(0)
	v_add_co_u32_e32 v6, vcc, v22, v6
	v_addc_co_u32_e32 v7, vcc, v23, v7, vcc
	global_load_dwordx2 v[22:23], v[6:7], off glc
	s_waitcnt vmcnt(0)
	global_atomic_cmpswap_x2 v[6:7], v26, v[22:25], s[6:7] offset:24 glc
	s_waitcnt vmcnt(0)
	buffer_wbinvl1_vol
	v_cmp_ne_u64_e32 vcc, v[6:7], v[24:25]
	s_and_saveexec_b64 s[18:19], vcc
	s_cbranch_execz .LBB73_206
; %bb.203:                              ;   in Loop: Header=BB73_145 Depth=1
	s_mov_b64 s[20:21], 0
.LBB73_204:                             ;   Parent Loop BB73_145 Depth=1
                                        ; =>  This Inner Loop Header: Depth=2
	s_sleep 1
	global_load_dwordx2 v[22:23], v26, s[6:7] offset:40
	global_load_dwordx2 v[27:28], v26, s[6:7]
	v_mov_b32_e32 v25, v7
	v_mov_b32_e32 v24, v6
	s_waitcnt vmcnt(1)
	v_and_b32_e32 v6, v22, v24
	s_waitcnt vmcnt(0)
	v_mad_u64_u32 v[6:7], s[22:23], v6, 24, v[27:28]
	v_and_b32_e32 v22, v23, v25
	v_mad_u64_u32 v[22:23], s[22:23], v22, 24, v[7:8]
	v_mov_b32_e32 v7, v22
	global_load_dwordx2 v[22:23], v[6:7], off glc
	s_waitcnt vmcnt(0)
	global_atomic_cmpswap_x2 v[6:7], v26, v[22:25], s[6:7] offset:24 glc
	s_waitcnt vmcnt(0)
	buffer_wbinvl1_vol
	v_cmp_eq_u64_e32 vcc, v[6:7], v[24:25]
	s_or_b64 s[20:21], vcc, s[20:21]
	s_andn2_b64 exec, exec, s[20:21]
	s_cbranch_execnz .LBB73_204
; %bb.205:                              ;   in Loop: Header=BB73_145 Depth=1
	s_or_b64 exec, exec, s[20:21]
.LBB73_206:                             ;   in Loop: Header=BB73_145 Depth=1
	s_or_b64 exec, exec, s[18:19]
.LBB73_207:                             ;   in Loop: Header=BB73_145 Depth=1
	s_or_b64 exec, exec, s[16:17]
	global_load_dwordx2 v[27:28], v26, s[6:7] offset:40
	global_load_dwordx4 v[22:25], v26, s[6:7]
	v_readfirstlane_b32 s17, v7
	v_readfirstlane_b32 s16, v6
	s_mov_b64 s[18:19], exec
	s_waitcnt vmcnt(1)
	v_readfirstlane_b32 s20, v27
	v_readfirstlane_b32 s21, v28
	s_and_b64 s[20:21], s[20:21], s[16:17]
	s_mul_i32 s22, s21, 24
	s_mul_hi_u32 s23, s20, 24
	s_mul_i32 s24, s20, 24
	s_add_i32 s22, s23, s22
	v_mov_b32_e32 v6, s22
	s_waitcnt vmcnt(0)
	v_add_co_u32_e32 v27, vcc, s24, v22
	v_addc_co_u32_e32 v28, vcc, v23, v6, vcc
	s_and_saveexec_b64 s[22:23], s[4:5]
	s_cbranch_execz .LBB73_209
; %bb.208:                              ;   in Loop: Header=BB73_145 Depth=1
	v_mov_b32_e32 v6, s18
	v_mov_b32_e32 v7, s19
	global_store_dwordx4 v[27:28], v[6:9], off offset:8
.LBB73_209:                             ;   in Loop: Header=BB73_145 Depth=1
	s_or_b64 exec, exec, s[22:23]
	s_lshl_b64 s[18:19], s[20:21], 12
	v_mov_b32_e32 v6, s19
	v_add_co_u32_e32 v24, vcc, s18, v24
	v_addc_co_u32_e32 v32, vcc, v25, v6, vcc
	v_cmp_lt_u64_e64 vcc, s[10:11], 57
	s_lshl_b32 s18, s14, 2
	v_cndmask_b32_e32 v6, 0, v31, vcc
	s_add_i32 s18, s18, 28
	v_and_b32_e32 v2, 0xffffff1f, v2
	s_and_b32 s18, s18, 0x1e0
	v_or_b32_e32 v2, v2, v6
	v_or_b32_e32 v2, s18, v2
	v_readfirstlane_b32 s18, v24
	v_readfirstlane_b32 s19, v32
	s_nop 4
	global_store_dwordx4 v29, v[2:5], s[18:19]
	global_store_dwordx4 v29, v[10:13], s[18:19] offset:16
	global_store_dwordx4 v29, v[14:17], s[18:19] offset:32
	global_store_dwordx4 v29, v[18:21], s[18:19] offset:48
	s_and_saveexec_b64 s[18:19], s[4:5]
	s_cbranch_execz .LBB73_217
; %bb.210:                              ;   in Loop: Header=BB73_145 Depth=1
	global_load_dwordx2 v[12:13], v26, s[6:7] offset:32 glc
	global_load_dwordx2 v[2:3], v26, s[6:7] offset:40
	v_mov_b32_e32 v10, s16
	v_mov_b32_e32 v11, s17
	s_waitcnt vmcnt(0)
	v_readfirstlane_b32 s20, v2
	v_readfirstlane_b32 s21, v3
	s_and_b64 s[20:21], s[20:21], s[16:17]
	s_mul_i32 s21, s21, 24
	s_mul_hi_u32 s22, s20, 24
	s_mul_i32 s20, s20, 24
	s_add_i32 s21, s22, s21
	v_mov_b32_e32 v2, s21
	v_add_co_u32_e32 v6, vcc, s20, v22
	v_addc_co_u32_e32 v7, vcc, v23, v2, vcc
	global_store_dwordx2 v[6:7], v[12:13], off
	s_waitcnt vmcnt(0)
	global_atomic_cmpswap_x2 v[4:5], v26, v[10:13], s[6:7] offset:32 glc
	s_waitcnt vmcnt(0)
	v_cmp_ne_u64_e32 vcc, v[4:5], v[12:13]
	s_and_saveexec_b64 s[20:21], vcc
	s_cbranch_execz .LBB73_213
; %bb.211:                              ;   in Loop: Header=BB73_145 Depth=1
	s_mov_b64 s[22:23], 0
.LBB73_212:                             ;   Parent Loop BB73_145 Depth=1
                                        ; =>  This Inner Loop Header: Depth=2
	s_sleep 1
	global_store_dwordx2 v[6:7], v[4:5], off
	v_mov_b32_e32 v2, s16
	v_mov_b32_e32 v3, s17
	s_waitcnt vmcnt(0)
	global_atomic_cmpswap_x2 v[2:3], v26, v[2:5], s[6:7] offset:32 glc
	s_waitcnt vmcnt(0)
	v_cmp_eq_u64_e32 vcc, v[2:3], v[4:5]
	v_mov_b32_e32 v5, v3
	s_or_b64 s[22:23], vcc, s[22:23]
	v_mov_b32_e32 v4, v2
	s_andn2_b64 exec, exec, s[22:23]
	s_cbranch_execnz .LBB73_212
.LBB73_213:                             ;   in Loop: Header=BB73_145 Depth=1
	s_or_b64 exec, exec, s[20:21]
	global_load_dwordx2 v[2:3], v26, s[6:7] offset:16
	s_mov_b64 s[22:23], exec
	v_mbcnt_lo_u32_b32 v4, s22, 0
	v_mbcnt_hi_u32_b32 v4, s23, v4
	v_cmp_eq_u32_e32 vcc, 0, v4
	s_and_saveexec_b64 s[20:21], vcc
	s_cbranch_execz .LBB73_215
; %bb.214:                              ;   in Loop: Header=BB73_145 Depth=1
	s_bcnt1_i32_b64 s22, s[22:23]
	v_mov_b32_e32 v25, s22
	s_waitcnt vmcnt(0)
	global_atomic_add_x2 v[2:3], v[25:26], off offset:8
.LBB73_215:                             ;   in Loop: Header=BB73_145 Depth=1
	s_or_b64 exec, exec, s[20:21]
	s_waitcnt vmcnt(0)
	global_load_dwordx2 v[4:5], v[2:3], off offset:16
	s_waitcnt vmcnt(0)
	v_cmp_eq_u64_e32 vcc, 0, v[4:5]
	s_cbranch_vccnz .LBB73_217
; %bb.216:                              ;   in Loop: Header=BB73_145 Depth=1
	global_load_dword v25, v[2:3], off offset:24
	s_waitcnt vmcnt(0)
	v_readfirstlane_b32 s20, v25
	s_and_b32 m0, s20, 0xffffff
	global_store_dwordx2 v[4:5], v[25:26], off
	s_sendmsg sendmsg(MSG_INTERRUPT)
.LBB73_217:                             ;   in Loop: Header=BB73_145 Depth=1
	s_or_b64 exec, exec, s[18:19]
	v_add_co_u32_e32 v2, vcc, v24, v29
	v_addc_co_u32_e32 v3, vcc, 0, v32, vcc
	s_branch .LBB73_221
.LBB73_218:                             ;   in Loop: Header=BB73_221 Depth=2
	s_or_b64 exec, exec, s[18:19]
	v_readfirstlane_b32 s18, v4
	s_cmp_eq_u32 s18, 0
	s_cbranch_scc1 .LBB73_220
; %bb.219:                              ;   in Loop: Header=BB73_221 Depth=2
	s_sleep 1
	s_cbranch_execnz .LBB73_221
	s_branch .LBB73_223
.LBB73_220:                             ;   in Loop: Header=BB73_145 Depth=1
	s_branch .LBB73_223
.LBB73_221:                             ;   Parent Loop BB73_145 Depth=1
                                        ; =>  This Inner Loop Header: Depth=2
	v_mov_b32_e32 v4, 1
	s_and_saveexec_b64 s[18:19], s[4:5]
	s_cbranch_execz .LBB73_218
; %bb.222:                              ;   in Loop: Header=BB73_221 Depth=2
	global_load_dword v4, v[27:28], off offset:20 glc
	s_waitcnt vmcnt(0)
	buffer_wbinvl1_vol
	v_and_b32_e32 v4, 1, v4
	s_branch .LBB73_218
.LBB73_223:                             ;   in Loop: Header=BB73_145 Depth=1
	global_load_dwordx2 v[2:3], v[2:3], off
	s_and_saveexec_b64 s[18:19], s[4:5]
	s_cbranch_execz .LBB73_144
; %bb.224:                              ;   in Loop: Header=BB73_145 Depth=1
	global_load_dwordx2 v[4:5], v26, s[6:7] offset:40
	global_load_dwordx2 v[14:15], v26, s[6:7] offset:24 glc
	global_load_dwordx2 v[6:7], v26, s[6:7]
	s_waitcnt vmcnt(2)
	v_readfirstlane_b32 s20, v4
	v_readfirstlane_b32 s21, v5
	s_add_u32 s22, s20, 1
	s_addc_u32 s23, s21, 0
	s_add_u32 s4, s22, s16
	s_addc_u32 s5, s23, s17
	s_cmp_eq_u64 s[4:5], 0
	s_cselect_b32 s5, s23, s5
	s_cselect_b32 s4, s22, s4
	s_and_b64 s[16:17], s[4:5], s[20:21]
	s_mul_i32 s17, s17, 24
	s_mul_hi_u32 s20, s16, 24
	s_mul_i32 s16, s16, 24
	s_add_i32 s17, s20, s17
	v_mov_b32_e32 v4, s17
	s_waitcnt vmcnt(0)
	v_add_co_u32_e32 v10, vcc, s16, v6
	v_addc_co_u32_e32 v11, vcc, v7, v4, vcc
	v_mov_b32_e32 v12, s4
	global_store_dwordx2 v[10:11], v[14:15], off
	v_mov_b32_e32 v13, s5
	s_waitcnt vmcnt(0)
	global_atomic_cmpswap_x2 v[6:7], v26, v[12:15], s[6:7] offset:24 glc
	s_waitcnt vmcnt(0)
	v_cmp_ne_u64_e32 vcc, v[6:7], v[14:15]
	s_and_b64 exec, exec, vcc
	s_cbranch_execz .LBB73_144
; %bb.225:                              ;   in Loop: Header=BB73_145 Depth=1
	s_mov_b64 s[16:17], 0
.LBB73_226:                             ;   Parent Loop BB73_145 Depth=1
                                        ; =>  This Inner Loop Header: Depth=2
	s_sleep 1
	global_store_dwordx2 v[10:11], v[6:7], off
	v_mov_b32_e32 v4, s4
	v_mov_b32_e32 v5, s5
	s_waitcnt vmcnt(0)
	global_atomic_cmpswap_x2 v[4:5], v26, v[4:7], s[6:7] offset:24 glc
	s_waitcnt vmcnt(0)
	v_cmp_eq_u64_e32 vcc, v[4:5], v[6:7]
	v_mov_b32_e32 v7, v5
	s_or_b64 s[16:17], vcc, s[16:17]
	v_mov_b32_e32 v6, v4
	s_andn2_b64 exec, exec, s[16:17]
	s_cbranch_execnz .LBB73_226
	s_branch .LBB73_144
.LBB73_227:
                                        ; implicit-def: $vgpr2_vgpr3
	s_cbranch_execnz .LBB73_229
	s_branch .LBB73_255
.LBB73_228:
	s_branch .LBB73_255
.LBB73_229:
	v_readfirstlane_b32 s4, v30
	v_mov_b32_e32 v8, 0
	v_mov_b32_e32 v9, 0
	v_cmp_eq_u32_e64 s[4:5], s4, v30
	s_and_saveexec_b64 s[10:11], s[4:5]
	s_cbranch_execz .LBB73_235
; %bb.230:
	s_waitcnt vmcnt(0)
	v_mov_b32_e32 v2, 0
	global_load_dwordx2 v[5:6], v2, s[6:7] offset:24 glc
	s_waitcnt vmcnt(0)
	buffer_wbinvl1_vol
	global_load_dwordx2 v[3:4], v2, s[6:7] offset:40
	global_load_dwordx2 v[7:8], v2, s[6:7]
	s_waitcnt vmcnt(1)
	v_and_b32_e32 v3, v3, v5
	v_and_b32_e32 v4, v4, v6
	v_mul_lo_u32 v4, v4, 24
	v_mul_hi_u32 v9, v3, 24
	v_mul_lo_u32 v3, v3, 24
	v_add_u32_e32 v4, v9, v4
	s_waitcnt vmcnt(0)
	v_add_co_u32_e32 v3, vcc, v7, v3
	v_addc_co_u32_e32 v4, vcc, v8, v4, vcc
	global_load_dwordx2 v[3:4], v[3:4], off glc
	s_waitcnt vmcnt(0)
	global_atomic_cmpswap_x2 v[8:9], v2, v[3:6], s[6:7] offset:24 glc
	s_waitcnt vmcnt(0)
	buffer_wbinvl1_vol
	v_cmp_ne_u64_e32 vcc, v[8:9], v[5:6]
	s_and_saveexec_b64 s[12:13], vcc
	s_cbranch_execz .LBB73_234
; %bb.231:
	s_mov_b64 s[14:15], 0
.LBB73_232:                             ; =>This Inner Loop Header: Depth=1
	s_sleep 1
	global_load_dwordx2 v[3:4], v2, s[6:7] offset:40
	global_load_dwordx2 v[10:11], v2, s[6:7]
	v_mov_b32_e32 v5, v8
	v_mov_b32_e32 v6, v9
	s_waitcnt vmcnt(1)
	v_and_b32_e32 v3, v3, v5
	s_waitcnt vmcnt(0)
	v_mad_u64_u32 v[7:8], s[16:17], v3, 24, v[10:11]
	v_and_b32_e32 v4, v4, v6
	v_mov_b32_e32 v3, v8
	v_mad_u64_u32 v[3:4], s[16:17], v4, 24, v[3:4]
	v_mov_b32_e32 v8, v3
	global_load_dwordx2 v[3:4], v[7:8], off glc
	s_waitcnt vmcnt(0)
	global_atomic_cmpswap_x2 v[8:9], v2, v[3:6], s[6:7] offset:24 glc
	s_waitcnt vmcnt(0)
	buffer_wbinvl1_vol
	v_cmp_eq_u64_e32 vcc, v[8:9], v[5:6]
	s_or_b64 s[14:15], vcc, s[14:15]
	s_andn2_b64 exec, exec, s[14:15]
	s_cbranch_execnz .LBB73_232
; %bb.233:
	s_or_b64 exec, exec, s[14:15]
.LBB73_234:
	s_or_b64 exec, exec, s[12:13]
.LBB73_235:
	s_or_b64 exec, exec, s[10:11]
	s_waitcnt vmcnt(0)
	v_mov_b32_e32 v2, 0
	global_load_dwordx2 v[10:11], v2, s[6:7] offset:40
	global_load_dwordx4 v[4:7], v2, s[6:7]
	v_readfirstlane_b32 s11, v9
	v_readfirstlane_b32 s10, v8
	s_mov_b64 s[12:13], exec
	s_waitcnt vmcnt(1)
	v_readfirstlane_b32 s14, v10
	v_readfirstlane_b32 s15, v11
	s_and_b64 s[14:15], s[14:15], s[10:11]
	s_mul_i32 s16, s15, 24
	s_mul_hi_u32 s17, s14, 24
	s_mul_i32 s18, s14, 24
	s_add_i32 s16, s17, s16
	v_mov_b32_e32 v3, s16
	s_waitcnt vmcnt(0)
	v_add_co_u32_e32 v8, vcc, s18, v4
	v_addc_co_u32_e32 v9, vcc, v5, v3, vcc
	s_and_saveexec_b64 s[16:17], s[4:5]
	s_cbranch_execz .LBB73_237
; %bb.236:
	v_mov_b32_e32 v10, s12
	v_mov_b32_e32 v11, s13
	;; [unrolled: 1-line block ×4, first 2 shown]
	global_store_dwordx4 v[8:9], v[10:13], off offset:8
.LBB73_237:
	s_or_b64 exec, exec, s[16:17]
	s_lshl_b64 s[12:13], s[14:15], 12
	v_mov_b32_e32 v3, s13
	v_add_co_u32_e32 v10, vcc, s12, v6
	v_addc_co_u32_e32 v11, vcc, v7, v3, vcc
	s_movk_i32 s12, 0xff1f
	v_and_or_b32 v0, v0, s12, 32
	s_mov_b32 s12, 0
	v_mov_b32_e32 v3, v2
	v_readfirstlane_b32 s16, v10
	v_readfirstlane_b32 s17, v11
	v_add_co_u32_e32 v6, vcc, v10, v29
	s_mov_b32 s13, s12
	s_mov_b32 s14, s12
	;; [unrolled: 1-line block ×3, first 2 shown]
	s_nop 0
	global_store_dwordx4 v29, v[0:3], s[16:17]
	v_addc_co_u32_e32 v7, vcc, 0, v11, vcc
	v_mov_b32_e32 v0, s12
	v_mov_b32_e32 v1, s13
	;; [unrolled: 1-line block ×4, first 2 shown]
	global_store_dwordx4 v29, v[0:3], s[16:17] offset:16
	global_store_dwordx4 v29, v[0:3], s[16:17] offset:32
	;; [unrolled: 1-line block ×3, first 2 shown]
	s_and_saveexec_b64 s[12:13], s[4:5]
	s_cbranch_execz .LBB73_245
; %bb.238:
	v_mov_b32_e32 v10, 0
	global_load_dwordx2 v[13:14], v10, s[6:7] offset:32 glc
	global_load_dwordx2 v[0:1], v10, s[6:7] offset:40
	v_mov_b32_e32 v11, s10
	v_mov_b32_e32 v12, s11
	s_waitcnt vmcnt(0)
	v_readfirstlane_b32 s14, v0
	v_readfirstlane_b32 s15, v1
	s_and_b64 s[14:15], s[14:15], s[10:11]
	s_mul_i32 s15, s15, 24
	s_mul_hi_u32 s16, s14, 24
	s_mul_i32 s14, s14, 24
	s_add_i32 s15, s16, s15
	v_mov_b32_e32 v0, s15
	v_add_co_u32_e32 v4, vcc, s14, v4
	v_addc_co_u32_e32 v5, vcc, v5, v0, vcc
	global_store_dwordx2 v[4:5], v[13:14], off
	s_waitcnt vmcnt(0)
	global_atomic_cmpswap_x2 v[2:3], v10, v[11:14], s[6:7] offset:32 glc
	s_waitcnt vmcnt(0)
	v_cmp_ne_u64_e32 vcc, v[2:3], v[13:14]
	s_and_saveexec_b64 s[14:15], vcc
	s_cbranch_execz .LBB73_241
; %bb.239:
	s_mov_b64 s[16:17], 0
.LBB73_240:                             ; =>This Inner Loop Header: Depth=1
	s_sleep 1
	global_store_dwordx2 v[4:5], v[2:3], off
	v_mov_b32_e32 v0, s10
	v_mov_b32_e32 v1, s11
	s_waitcnt vmcnt(0)
	global_atomic_cmpswap_x2 v[0:1], v10, v[0:3], s[6:7] offset:32 glc
	s_waitcnt vmcnt(0)
	v_cmp_eq_u64_e32 vcc, v[0:1], v[2:3]
	v_mov_b32_e32 v3, v1
	s_or_b64 s[16:17], vcc, s[16:17]
	v_mov_b32_e32 v2, v0
	s_andn2_b64 exec, exec, s[16:17]
	s_cbranch_execnz .LBB73_240
.LBB73_241:
	s_or_b64 exec, exec, s[14:15]
	v_mov_b32_e32 v3, 0
	global_load_dwordx2 v[0:1], v3, s[6:7] offset:16
	s_mov_b64 s[14:15], exec
	v_mbcnt_lo_u32_b32 v2, s14, 0
	v_mbcnt_hi_u32_b32 v2, s15, v2
	v_cmp_eq_u32_e32 vcc, 0, v2
	s_and_saveexec_b64 s[16:17], vcc
	s_cbranch_execz .LBB73_243
; %bb.242:
	s_bcnt1_i32_b64 s14, s[14:15]
	v_mov_b32_e32 v2, s14
	s_waitcnt vmcnt(0)
	global_atomic_add_x2 v[0:1], v[2:3], off offset:8
.LBB73_243:
	s_or_b64 exec, exec, s[16:17]
	s_waitcnt vmcnt(0)
	global_load_dwordx2 v[2:3], v[0:1], off offset:16
	s_waitcnt vmcnt(0)
	v_cmp_eq_u64_e32 vcc, 0, v[2:3]
	s_cbranch_vccnz .LBB73_245
; %bb.244:
	global_load_dword v0, v[0:1], off offset:24
	v_mov_b32_e32 v1, 0
	s_waitcnt vmcnt(0)
	v_readfirstlane_b32 s14, v0
	s_and_b32 m0, s14, 0xffffff
	global_store_dwordx2 v[2:3], v[0:1], off
	s_sendmsg sendmsg(MSG_INTERRUPT)
.LBB73_245:
	s_or_b64 exec, exec, s[12:13]
	s_branch .LBB73_249
.LBB73_246:                             ;   in Loop: Header=BB73_249 Depth=1
	s_or_b64 exec, exec, s[12:13]
	v_readfirstlane_b32 s12, v0
	s_cmp_eq_u32 s12, 0
	s_cbranch_scc1 .LBB73_248
; %bb.247:                              ;   in Loop: Header=BB73_249 Depth=1
	s_sleep 1
	s_cbranch_execnz .LBB73_249
	s_branch .LBB73_251
.LBB73_248:
	s_branch .LBB73_251
.LBB73_249:                             ; =>This Inner Loop Header: Depth=1
	v_mov_b32_e32 v0, 1
	s_and_saveexec_b64 s[12:13], s[4:5]
	s_cbranch_execz .LBB73_246
; %bb.250:                              ;   in Loop: Header=BB73_249 Depth=1
	global_load_dword v0, v[8:9], off offset:20 glc
	s_waitcnt vmcnt(0)
	buffer_wbinvl1_vol
	v_and_b32_e32 v0, 1, v0
	s_branch .LBB73_246
.LBB73_251:
	global_load_dwordx2 v[2:3], v[6:7], off
	s_and_saveexec_b64 s[12:13], s[4:5]
	s_cbranch_execz .LBB73_254
; %bb.252:
	v_mov_b32_e32 v8, 0
	global_load_dwordx2 v[0:1], v8, s[6:7] offset:40
	global_load_dwordx2 v[11:12], v8, s[6:7] offset:24 glc
	global_load_dwordx2 v[4:5], v8, s[6:7]
	s_waitcnt vmcnt(2)
	v_readfirstlane_b32 s14, v0
	v_readfirstlane_b32 s15, v1
	s_add_u32 s16, s14, 1
	s_addc_u32 s17, s15, 0
	s_add_u32 s4, s16, s10
	s_addc_u32 s5, s17, s11
	s_cmp_eq_u64 s[4:5], 0
	s_cselect_b32 s5, s17, s5
	s_cselect_b32 s4, s16, s4
	s_and_b64 s[10:11], s[4:5], s[14:15]
	s_mul_i32 s11, s11, 24
	s_mul_hi_u32 s14, s10, 24
	s_mul_i32 s10, s10, 24
	s_add_i32 s11, s14, s11
	v_mov_b32_e32 v1, s11
	s_waitcnt vmcnt(0)
	v_add_co_u32_e32 v0, vcc, s10, v4
	v_addc_co_u32_e32 v1, vcc, v5, v1, vcc
	v_mov_b32_e32 v9, s4
	global_store_dwordx2 v[0:1], v[11:12], off
	v_mov_b32_e32 v10, s5
	s_waitcnt vmcnt(0)
	global_atomic_cmpswap_x2 v[6:7], v8, v[9:12], s[6:7] offset:24 glc
	s_mov_b64 s[10:11], 0
	s_waitcnt vmcnt(0)
	v_cmp_ne_u64_e32 vcc, v[6:7], v[11:12]
	s_and_b64 exec, exec, vcc
	s_cbranch_execz .LBB73_254
.LBB73_253:                             ; =>This Inner Loop Header: Depth=1
	s_sleep 1
	global_store_dwordx2 v[0:1], v[6:7], off
	v_mov_b32_e32 v4, s4
	v_mov_b32_e32 v5, s5
	s_waitcnt vmcnt(0)
	global_atomic_cmpswap_x2 v[4:5], v8, v[4:7], s[6:7] offset:24 glc
	s_waitcnt vmcnt(0)
	v_cmp_eq_u64_e32 vcc, v[4:5], v[6:7]
	v_mov_b32_e32 v7, v5
	s_or_b64 s[10:11], vcc, s[10:11]
	v_mov_b32_e32 v6, v4
	s_andn2_b64 exec, exec, s[10:11]
	s_cbranch_execnz .LBB73_253
.LBB73_254:
	s_or_b64 exec, exec, s[12:13]
.LBB73_255:
	v_readfirstlane_b32 s4, v30
	s_waitcnt vmcnt(0)
	v_mov_b32_e32 v0, 0
	v_mov_b32_e32 v1, 0
	v_cmp_eq_u32_e64 s[4:5], s4, v30
	s_and_saveexec_b64 s[10:11], s[4:5]
	s_cbranch_execz .LBB73_261
; %bb.256:
	v_mov_b32_e32 v4, 0
	global_load_dwordx2 v[7:8], v4, s[6:7] offset:24 glc
	s_waitcnt vmcnt(0)
	buffer_wbinvl1_vol
	global_load_dwordx2 v[0:1], v4, s[6:7] offset:40
	global_load_dwordx2 v[5:6], v4, s[6:7]
	s_waitcnt vmcnt(1)
	v_and_b32_e32 v0, v0, v7
	v_and_b32_e32 v1, v1, v8
	v_mul_lo_u32 v1, v1, 24
	v_mul_hi_u32 v9, v0, 24
	v_mul_lo_u32 v0, v0, 24
	v_add_u32_e32 v1, v9, v1
	s_waitcnt vmcnt(0)
	v_add_co_u32_e32 v0, vcc, v5, v0
	v_addc_co_u32_e32 v1, vcc, v6, v1, vcc
	global_load_dwordx2 v[5:6], v[0:1], off glc
	s_waitcnt vmcnt(0)
	global_atomic_cmpswap_x2 v[0:1], v4, v[5:8], s[6:7] offset:24 glc
	s_waitcnt vmcnt(0)
	buffer_wbinvl1_vol
	v_cmp_ne_u64_e32 vcc, v[0:1], v[7:8]
	s_and_saveexec_b64 s[12:13], vcc
	s_cbranch_execz .LBB73_260
; %bb.257:
	s_mov_b64 s[14:15], 0
.LBB73_258:                             ; =>This Inner Loop Header: Depth=1
	s_sleep 1
	global_load_dwordx2 v[5:6], v4, s[6:7] offset:40
	global_load_dwordx2 v[9:10], v4, s[6:7]
	v_mov_b32_e32 v8, v1
	v_mov_b32_e32 v7, v0
	s_waitcnt vmcnt(1)
	v_and_b32_e32 v0, v5, v7
	s_waitcnt vmcnt(0)
	v_mad_u64_u32 v[0:1], s[16:17], v0, 24, v[9:10]
	v_and_b32_e32 v5, v6, v8
	v_mad_u64_u32 v[5:6], s[16:17], v5, 24, v[1:2]
	v_mov_b32_e32 v1, v5
	global_load_dwordx2 v[5:6], v[0:1], off glc
	s_waitcnt vmcnt(0)
	global_atomic_cmpswap_x2 v[0:1], v4, v[5:8], s[6:7] offset:24 glc
	s_waitcnt vmcnt(0)
	buffer_wbinvl1_vol
	v_cmp_eq_u64_e32 vcc, v[0:1], v[7:8]
	s_or_b64 s[14:15], vcc, s[14:15]
	s_andn2_b64 exec, exec, s[14:15]
	s_cbranch_execnz .LBB73_258
; %bb.259:
	s_or_b64 exec, exec, s[14:15]
.LBB73_260:
	s_or_b64 exec, exec, s[12:13]
.LBB73_261:
	s_or_b64 exec, exec, s[10:11]
	v_mov_b32_e32 v5, 0
	global_load_dwordx2 v[10:11], v5, s[6:7] offset:40
	global_load_dwordx4 v[6:9], v5, s[6:7]
	v_readfirstlane_b32 s11, v1
	v_readfirstlane_b32 s10, v0
	s_mov_b64 s[12:13], exec
	s_waitcnt vmcnt(1)
	v_readfirstlane_b32 s14, v10
	v_readfirstlane_b32 s15, v11
	s_and_b64 s[14:15], s[14:15], s[10:11]
	s_mul_i32 s16, s15, 24
	s_mul_hi_u32 s17, s14, 24
	s_mul_i32 s18, s14, 24
	s_add_i32 s16, s17, s16
	v_mov_b32_e32 v0, s16
	s_waitcnt vmcnt(0)
	v_add_co_u32_e32 v10, vcc, s18, v6
	v_addc_co_u32_e32 v11, vcc, v7, v0, vcc
	s_and_saveexec_b64 s[16:17], s[4:5]
	s_cbranch_execz .LBB73_263
; %bb.262:
	v_mov_b32_e32 v12, s12
	v_mov_b32_e32 v13, s13
	;; [unrolled: 1-line block ×4, first 2 shown]
	global_store_dwordx4 v[10:11], v[12:15], off offset:8
.LBB73_263:
	s_or_b64 exec, exec, s[16:17]
	s_lshl_b64 s[12:13], s[14:15], 12
	v_mov_b32_e32 v0, s13
	v_add_co_u32_e32 v1, vcc, s12, v8
	v_addc_co_u32_e32 v0, vcc, v9, v0, vcc
	s_movk_i32 s12, 0xff1f
	v_and_or_b32 v2, v2, s12, 32
	v_add_co_u32_e32 v8, vcc, v1, v29
	s_mov_b32 s12, 0
	v_mov_b32_e32 v4, 0x347
	v_readfirstlane_b32 s16, v1
	v_readfirstlane_b32 s17, v0
	v_addc_co_u32_e32 v9, vcc, 0, v0, vcc
	s_mov_b32 s13, s12
	s_mov_b32 s14, s12
	;; [unrolled: 1-line block ×3, first 2 shown]
	s_nop 0
	global_store_dwordx4 v29, v[2:5], s[16:17]
	v_mov_b32_e32 v0, s12
	v_mov_b32_e32 v1, s13
	;; [unrolled: 1-line block ×4, first 2 shown]
	global_store_dwordx4 v29, v[0:3], s[16:17] offset:16
	global_store_dwordx4 v29, v[0:3], s[16:17] offset:32
	;; [unrolled: 1-line block ×3, first 2 shown]
	s_and_saveexec_b64 s[12:13], s[4:5]
	s_cbranch_execz .LBB73_271
; %bb.264:
	v_mov_b32_e32 v12, 0
	global_load_dwordx2 v[15:16], v12, s[6:7] offset:32 glc
	global_load_dwordx2 v[0:1], v12, s[6:7] offset:40
	v_mov_b32_e32 v13, s10
	v_mov_b32_e32 v14, s11
	s_waitcnt vmcnt(0)
	v_readfirstlane_b32 s14, v0
	v_readfirstlane_b32 s15, v1
	s_and_b64 s[14:15], s[14:15], s[10:11]
	s_mul_i32 s15, s15, 24
	s_mul_hi_u32 s16, s14, 24
	s_mul_i32 s14, s14, 24
	s_add_i32 s15, s16, s15
	v_mov_b32_e32 v0, s15
	v_add_co_u32_e32 v4, vcc, s14, v6
	v_addc_co_u32_e32 v5, vcc, v7, v0, vcc
	global_store_dwordx2 v[4:5], v[15:16], off
	s_waitcnt vmcnt(0)
	global_atomic_cmpswap_x2 v[2:3], v12, v[13:16], s[6:7] offset:32 glc
	s_waitcnt vmcnt(0)
	v_cmp_ne_u64_e32 vcc, v[2:3], v[15:16]
	s_and_saveexec_b64 s[14:15], vcc
	s_cbranch_execz .LBB73_267
; %bb.265:
	s_mov_b64 s[16:17], 0
.LBB73_266:                             ; =>This Inner Loop Header: Depth=1
	s_sleep 1
	global_store_dwordx2 v[4:5], v[2:3], off
	v_mov_b32_e32 v0, s10
	v_mov_b32_e32 v1, s11
	s_waitcnt vmcnt(0)
	global_atomic_cmpswap_x2 v[0:1], v12, v[0:3], s[6:7] offset:32 glc
	s_waitcnt vmcnt(0)
	v_cmp_eq_u64_e32 vcc, v[0:1], v[2:3]
	v_mov_b32_e32 v3, v1
	s_or_b64 s[16:17], vcc, s[16:17]
	v_mov_b32_e32 v2, v0
	s_andn2_b64 exec, exec, s[16:17]
	s_cbranch_execnz .LBB73_266
.LBB73_267:
	s_or_b64 exec, exec, s[14:15]
	v_mov_b32_e32 v3, 0
	global_load_dwordx2 v[0:1], v3, s[6:7] offset:16
	s_mov_b64 s[14:15], exec
	v_mbcnt_lo_u32_b32 v2, s14, 0
	v_mbcnt_hi_u32_b32 v2, s15, v2
	v_cmp_eq_u32_e32 vcc, 0, v2
	s_and_saveexec_b64 s[16:17], vcc
	s_cbranch_execz .LBB73_269
; %bb.268:
	s_bcnt1_i32_b64 s14, s[14:15]
	v_mov_b32_e32 v2, s14
	s_waitcnt vmcnt(0)
	global_atomic_add_x2 v[0:1], v[2:3], off offset:8
.LBB73_269:
	s_or_b64 exec, exec, s[16:17]
	s_waitcnt vmcnt(0)
	global_load_dwordx2 v[2:3], v[0:1], off offset:16
	s_waitcnt vmcnt(0)
	v_cmp_eq_u64_e32 vcc, 0, v[2:3]
	s_cbranch_vccnz .LBB73_271
; %bb.270:
	global_load_dword v0, v[0:1], off offset:24
	v_mov_b32_e32 v1, 0
	s_waitcnt vmcnt(0)
	v_readfirstlane_b32 s14, v0
	s_and_b32 m0, s14, 0xffffff
	global_store_dwordx2 v[2:3], v[0:1], off
	s_sendmsg sendmsg(MSG_INTERRUPT)
.LBB73_271:
	s_or_b64 exec, exec, s[12:13]
	s_branch .LBB73_275
.LBB73_272:                             ;   in Loop: Header=BB73_275 Depth=1
	s_or_b64 exec, exec, s[12:13]
	v_readfirstlane_b32 s12, v0
	s_cmp_eq_u32 s12, 0
	s_cbranch_scc1 .LBB73_274
; %bb.273:                              ;   in Loop: Header=BB73_275 Depth=1
	s_sleep 1
	s_cbranch_execnz .LBB73_275
	s_branch .LBB73_277
.LBB73_274:
	s_branch .LBB73_277
.LBB73_275:                             ; =>This Inner Loop Header: Depth=1
	v_mov_b32_e32 v0, 1
	s_and_saveexec_b64 s[12:13], s[4:5]
	s_cbranch_execz .LBB73_272
; %bb.276:                              ;   in Loop: Header=BB73_275 Depth=1
	global_load_dword v0, v[10:11], off offset:20 glc
	s_waitcnt vmcnt(0)
	buffer_wbinvl1_vol
	v_and_b32_e32 v0, 1, v0
	s_branch .LBB73_272
.LBB73_277:
	global_load_dwordx2 v[0:1], v[8:9], off
	s_and_saveexec_b64 s[12:13], s[4:5]
	s_cbranch_execz .LBB73_280
; %bb.278:
	v_mov_b32_e32 v8, 0
	global_load_dwordx2 v[2:3], v8, s[6:7] offset:40
	global_load_dwordx2 v[11:12], v8, s[6:7] offset:24 glc
	global_load_dwordx2 v[4:5], v8, s[6:7]
	s_waitcnt vmcnt(2)
	v_readfirstlane_b32 s14, v2
	v_readfirstlane_b32 s15, v3
	s_add_u32 s16, s14, 1
	s_addc_u32 s17, s15, 0
	s_add_u32 s4, s16, s10
	s_addc_u32 s5, s17, s11
	s_cmp_eq_u64 s[4:5], 0
	s_cselect_b32 s5, s17, s5
	s_cselect_b32 s4, s16, s4
	s_and_b64 s[10:11], s[4:5], s[14:15]
	s_mul_i32 s11, s11, 24
	s_mul_hi_u32 s14, s10, 24
	s_mul_i32 s10, s10, 24
	s_add_i32 s11, s14, s11
	v_mov_b32_e32 v2, s11
	s_waitcnt vmcnt(0)
	v_add_co_u32_e32 v6, vcc, s10, v4
	v_addc_co_u32_e32 v7, vcc, v5, v2, vcc
	v_mov_b32_e32 v9, s4
	global_store_dwordx2 v[6:7], v[11:12], off
	v_mov_b32_e32 v10, s5
	s_waitcnt vmcnt(0)
	global_atomic_cmpswap_x2 v[4:5], v8, v[9:12], s[6:7] offset:24 glc
	s_mov_b64 s[10:11], 0
	s_waitcnt vmcnt(0)
	v_cmp_ne_u64_e32 vcc, v[4:5], v[11:12]
	s_and_b64 exec, exec, vcc
	s_cbranch_execz .LBB73_280
.LBB73_279:                             ; =>This Inner Loop Header: Depth=1
	s_sleep 1
	global_store_dwordx2 v[6:7], v[4:5], off
	v_mov_b32_e32 v2, s4
	v_mov_b32_e32 v3, s5
	s_waitcnt vmcnt(0)
	global_atomic_cmpswap_x2 v[2:3], v8, v[2:5], s[6:7] offset:24 glc
	s_waitcnt vmcnt(0)
	v_cmp_eq_u64_e32 vcc, v[2:3], v[4:5]
	v_mov_b32_e32 v5, v3
	s_or_b64 s[10:11], vcc, s[10:11]
	v_mov_b32_e32 v4, v2
	s_andn2_b64 exec, exec, s[10:11]
	s_cbranch_execnz .LBB73_279
.LBB73_280:
	s_or_b64 exec, exec, s[12:13]
	s_getpc_b64 s[4:5]
	s_add_u32 s4, s4, __FUNCTION__._ZL15flash_attn_tileILi64ELi64ELi8ELi8ELb1EEvPKcS1_S1_S1_S1_PKiPfP15HIP_vector_typeIfLj2EEffffjfiS5_IjLj3EEiiiiiiiiiiiliiliiiiil@rel32@lo+4
	s_addc_u32 s5, s5, __FUNCTION__._ZL15flash_attn_tileILi64ELi64ELi8ELi8ELb1EEvPKcS1_S1_S1_S1_PKiPfP15HIP_vector_typeIfLj2EEffffjfiS5_IjLj3EEiiiiiiiiiiiliiliiiiil@rel32@hi+12
	s_cmp_lg_u64 s[4:5], 0
	s_cselect_b32 s10, 16, 0
	s_getpc_b64 s[6:7]
	s_add_u32 s6, s6, __ockl_printf_append_string_n@rel32@lo+4
	s_addc_u32 s7, s7, __ockl_printf_append_string_n@rel32@hi+12
	v_mov_b32_e32 v2, s4
	v_mov_b32_e32 v3, s5
	;; [unrolled: 1-line block ×4, first 2 shown]
	s_mov_b64 s[24:25], s[8:9]
	s_swappc_b64 s[30:31], s[6:7]
	s_getpc_b64 s[4:5]
	s_add_u32 s4, s4, __ockl_printf_append_args@rel32@lo+4
	s_addc_u32 s5, s5, __ockl_printf_append_args@rel32@hi+12
	s_mov_b64 s[8:9], s[24:25]
	v_mov_b32_e32 v2, 0x514
	v_mov_b32_e32 v3, 0
	;; [unrolled: 1-line block ×3, first 2 shown]
	s_swappc_b64 s[30:31], s[4:5]
	s_trap 2
.Lfunc_end73:
	.size	_ZL14no_device_codePKciS0_iS0_, .Lfunc_end73-_ZL14no_device_codePKciS0_iS0_
                                        ; -- End function
	.set .L_ZL14no_device_codePKciS0_iS0_.num_vgpr, max(41, .L__ockl_printf_append_string_n.num_vgpr, .L__ockl_printf_append_args.num_vgpr)
	.set .L_ZL14no_device_codePKciS0_iS0_.num_agpr, max(0, .L__ockl_printf_append_string_n.num_agpr, .L__ockl_printf_append_args.num_agpr)
	.set .L_ZL14no_device_codePKciS0_iS0_.numbered_sgpr, max(34, .L__ockl_printf_append_string_n.numbered_sgpr, .L__ockl_printf_append_args.numbered_sgpr)
	.set .L_ZL14no_device_codePKciS0_iS0_.num_named_barrier, max(0, .L__ockl_printf_append_string_n.num_named_barrier, .L__ockl_printf_append_args.num_named_barrier)
	.set .L_ZL14no_device_codePKciS0_iS0_.private_seg_size, 16+max(.L__ockl_printf_append_string_n.private_seg_size, .L__ockl_printf_append_args.private_seg_size)
	.set .L_ZL14no_device_codePKciS0_iS0_.uses_vcc, or(1, .L__ockl_printf_append_string_n.uses_vcc, .L__ockl_printf_append_args.uses_vcc)
	.set .L_ZL14no_device_codePKciS0_iS0_.uses_flat_scratch, or(0, .L__ockl_printf_append_string_n.uses_flat_scratch, .L__ockl_printf_append_args.uses_flat_scratch)
	.set .L_ZL14no_device_codePKciS0_iS0_.has_dyn_sized_stack, or(0, .L__ockl_printf_append_string_n.has_dyn_sized_stack, .L__ockl_printf_append_args.has_dyn_sized_stack)
	.set .L_ZL14no_device_codePKciS0_iS0_.has_recursion, or(0, .L__ockl_printf_append_string_n.has_recursion, .L__ockl_printf_append_args.has_recursion)
	.set .L_ZL14no_device_codePKciS0_iS0_.has_indirect_call, or(0, .L__ockl_printf_append_string_n.has_indirect_call, .L__ockl_printf_append_args.has_indirect_call)
	.section	.AMDGPU.csdata,"",@progbits
; Function info:
; codeLenInByte = 9536
; TotalNumSgprs: 38
; NumVgprs: 41
; ScratchSize: 16
; MemoryBound: 0
	.section	.text._ZL15flash_attn_tileILi64ELi64ELi8ELi8ELb1EEvPKcS1_S1_S1_S1_PKiPfP15HIP_vector_typeIfLj2EEffffjfiS5_IjLj3EEiiiiiiiiiiiliiliiiiil,"axG",@progbits,_ZL15flash_attn_tileILi64ELi64ELi8ELi8ELb1EEvPKcS1_S1_S1_S1_PKiPfP15HIP_vector_typeIfLj2EEffffjfiS5_IjLj3EEiiiiiiiiiiiliiliiiiil,comdat
	.globl	_ZL15flash_attn_tileILi64ELi64ELi8ELi8ELb1EEvPKcS1_S1_S1_S1_PKiPfP15HIP_vector_typeIfLj2EEffffjfiS5_IjLj3EEiiiiiiiiiiiliiliiiiil ; -- Begin function _ZL15flash_attn_tileILi64ELi64ELi8ELi8ELb1EEvPKcS1_S1_S1_S1_PKiPfP15HIP_vector_typeIfLj2EEffffjfiS5_IjLj3EEiiiiiiiiiiiliiliiiiil
	.p2align	8
	.type	_ZL15flash_attn_tileILi64ELi64ELi8ELi8ELb1EEvPKcS1_S1_S1_S1_PKiPfP15HIP_vector_typeIfLj2EEffffjfiS5_IjLj3EEiiiiiiiiiiiliiliiiiil,@function
_ZL15flash_attn_tileILi64ELi64ELi8ELi8ELb1EEvPKcS1_S1_S1_S1_PKiPfP15HIP_vector_typeIfLj2EEffffjfiS5_IjLj3EEiiiiiiiiiiiliiliiiiil: ; @_ZL15flash_attn_tileILi64ELi64ELi8ELi8ELb1EEvPKcS1_S1_S1_S1_PKiPfP15HIP_vector_typeIfLj2EEffffjfiS5_IjLj3EEiiiiiiiiiiiliiliiiiil
; %bb.0:
	s_add_u32 s0, s0, s7
	s_addc_u32 s1, s1, 0
	s_add_u32 s8, s4, 0xd0
	s_addc_u32 s9, s5, 0
	s_getpc_b64 s[4:5]
	s_add_u32 s4, s4, _ZL14no_device_codePKciS0_iS0_@rel32@lo+4
	s_addc_u32 s5, s5, _ZL14no_device_codePKciS0_iS0_@rel32@hi+12
	s_mov_b32 s32, 0
	s_swappc_b64 s[30:31], s[4:5]
	.section	.rodata,"a",@progbits
	.p2align	6, 0x0
	.amdhsa_kernel _ZL15flash_attn_tileILi64ELi64ELi8ELi8ELb1EEvPKcS1_S1_S1_S1_PKiPfP15HIP_vector_typeIfLj2EEffffjfiS5_IjLj3EEiiiiiiiiiiiliiliiiiil
		.amdhsa_group_segment_fixed_size 0
		.amdhsa_private_segment_fixed_size 16
		.amdhsa_kernarg_size 464
		.amdhsa_user_sgpr_count 6
		.amdhsa_user_sgpr_private_segment_buffer 1
		.amdhsa_user_sgpr_dispatch_ptr 0
		.amdhsa_user_sgpr_queue_ptr 0
		.amdhsa_user_sgpr_kernarg_segment_ptr 1
		.amdhsa_user_sgpr_dispatch_id 0
		.amdhsa_user_sgpr_flat_scratch_init 0
		.amdhsa_user_sgpr_private_segment_size 0
		.amdhsa_uses_dynamic_stack 0
		.amdhsa_system_sgpr_private_segment_wavefront_offset 1
		.amdhsa_system_sgpr_workgroup_id_x 1
		.amdhsa_system_sgpr_workgroup_id_y 0
		.amdhsa_system_sgpr_workgroup_id_z 0
		.amdhsa_system_sgpr_workgroup_info 0
		.amdhsa_system_vgpr_workitem_id 0
		.amdhsa_next_free_vgpr 41
		.amdhsa_next_free_sgpr 34
		.amdhsa_reserve_vcc 1
		.amdhsa_reserve_flat_scratch 0
		.amdhsa_float_round_mode_32 0
		.amdhsa_float_round_mode_16_64 0
		.amdhsa_float_denorm_mode_32 3
		.amdhsa_float_denorm_mode_16_64 3
		.amdhsa_dx10_clamp 1
		.amdhsa_ieee_mode 1
		.amdhsa_fp16_overflow 0
		.amdhsa_exception_fp_ieee_invalid_op 0
		.amdhsa_exception_fp_denorm_src 0
		.amdhsa_exception_fp_ieee_div_zero 0
		.amdhsa_exception_fp_ieee_overflow 0
		.amdhsa_exception_fp_ieee_underflow 0
		.amdhsa_exception_fp_ieee_inexact 0
		.amdhsa_exception_int_div_zero 0
	.end_amdhsa_kernel
	.section	.text._ZL15flash_attn_tileILi64ELi64ELi8ELi8ELb1EEvPKcS1_S1_S1_S1_PKiPfP15HIP_vector_typeIfLj2EEffffjfiS5_IjLj3EEiiiiiiiiiiiliiliiiiil,"axG",@progbits,_ZL15flash_attn_tileILi64ELi64ELi8ELi8ELb1EEvPKcS1_S1_S1_S1_PKiPfP15HIP_vector_typeIfLj2EEffffjfiS5_IjLj3EEiiiiiiiiiiiliiliiiiil,comdat
.Lfunc_end74:
	.size	_ZL15flash_attn_tileILi64ELi64ELi8ELi8ELb1EEvPKcS1_S1_S1_S1_PKiPfP15HIP_vector_typeIfLj2EEffffjfiS5_IjLj3EEiiiiiiiiiiiliiliiiiil, .Lfunc_end74-_ZL15flash_attn_tileILi64ELi64ELi8ELi8ELb1EEvPKcS1_S1_S1_S1_PKiPfP15HIP_vector_typeIfLj2EEffffjfiS5_IjLj3EEiiiiiiiiiiiliiliiiiil
                                        ; -- End function
	.set _ZL15flash_attn_tileILi64ELi64ELi8ELi8ELb1EEvPKcS1_S1_S1_S1_PKiPfP15HIP_vector_typeIfLj2EEffffjfiS5_IjLj3EEiiiiiiiiiiiliiliiiiil.num_vgpr, max(0, .L_ZL14no_device_codePKciS0_iS0_.num_vgpr)
	.set _ZL15flash_attn_tileILi64ELi64ELi8ELi8ELb1EEvPKcS1_S1_S1_S1_PKiPfP15HIP_vector_typeIfLj2EEffffjfiS5_IjLj3EEiiiiiiiiiiiliiliiiiil.num_agpr, max(0, .L_ZL14no_device_codePKciS0_iS0_.num_agpr)
	.set _ZL15flash_attn_tileILi64ELi64ELi8ELi8ELb1EEvPKcS1_S1_S1_S1_PKiPfP15HIP_vector_typeIfLj2EEffffjfiS5_IjLj3EEiiiiiiiiiiiliiliiiiil.numbered_sgpr, max(33, .L_ZL14no_device_codePKciS0_iS0_.numbered_sgpr)
	.set _ZL15flash_attn_tileILi64ELi64ELi8ELi8ELb1EEvPKcS1_S1_S1_S1_PKiPfP15HIP_vector_typeIfLj2EEffffjfiS5_IjLj3EEiiiiiiiiiiiliiliiiiil.num_named_barrier, max(0, .L_ZL14no_device_codePKciS0_iS0_.num_named_barrier)
	.set _ZL15flash_attn_tileILi64ELi64ELi8ELi8ELb1EEvPKcS1_S1_S1_S1_PKiPfP15HIP_vector_typeIfLj2EEffffjfiS5_IjLj3EEiiiiiiiiiiiliiliiiiil.private_seg_size, 0+max(.L_ZL14no_device_codePKciS0_iS0_.private_seg_size)
	.set _ZL15flash_attn_tileILi64ELi64ELi8ELi8ELb1EEvPKcS1_S1_S1_S1_PKiPfP15HIP_vector_typeIfLj2EEffffjfiS5_IjLj3EEiiiiiiiiiiiliiliiiiil.uses_vcc, or(1, .L_ZL14no_device_codePKciS0_iS0_.uses_vcc)
	.set _ZL15flash_attn_tileILi64ELi64ELi8ELi8ELb1EEvPKcS1_S1_S1_S1_PKiPfP15HIP_vector_typeIfLj2EEffffjfiS5_IjLj3EEiiiiiiiiiiiliiliiiiil.uses_flat_scratch, or(0, .L_ZL14no_device_codePKciS0_iS0_.uses_flat_scratch)
	.set _ZL15flash_attn_tileILi64ELi64ELi8ELi8ELb1EEvPKcS1_S1_S1_S1_PKiPfP15HIP_vector_typeIfLj2EEffffjfiS5_IjLj3EEiiiiiiiiiiiliiliiiiil.has_dyn_sized_stack, or(0, .L_ZL14no_device_codePKciS0_iS0_.has_dyn_sized_stack)
	.set _ZL15flash_attn_tileILi64ELi64ELi8ELi8ELb1EEvPKcS1_S1_S1_S1_PKiPfP15HIP_vector_typeIfLj2EEffffjfiS5_IjLj3EEiiiiiiiiiiiliiliiiiil.has_recursion, or(0, .L_ZL14no_device_codePKciS0_iS0_.has_recursion)
	.set _ZL15flash_attn_tileILi64ELi64ELi8ELi8ELb1EEvPKcS1_S1_S1_S1_PKiPfP15HIP_vector_typeIfLj2EEffffjfiS5_IjLj3EEiiiiiiiiiiiliiliiiiil.has_indirect_call, or(0, .L_ZL14no_device_codePKciS0_iS0_.has_indirect_call)
	.section	.AMDGPU.csdata,"",@progbits
; Kernel info:
; codeLenInByte = 48
; TotalNumSgprs: 38
; NumVgprs: 41
; ScratchSize: 16
; MemoryBound: 0
; FloatMode: 240
; IeeeMode: 1
; LDSByteSize: 0 bytes/workgroup (compile time only)
; SGPRBlocks: 4
; VGPRBlocks: 10
; NumSGPRsForWavesPerEU: 38
; NumVGPRsForWavesPerEU: 41
; Occupancy: 5
; WaveLimiterHint : 1
; COMPUTE_PGM_RSRC2:SCRATCH_EN: 1
; COMPUTE_PGM_RSRC2:USER_SGPR: 6
; COMPUTE_PGM_RSRC2:TRAP_HANDLER: 0
; COMPUTE_PGM_RSRC2:TGID_X_EN: 1
; COMPUTE_PGM_RSRC2:TGID_Y_EN: 0
; COMPUTE_PGM_RSRC2:TGID_Z_EN: 0
; COMPUTE_PGM_RSRC2:TIDIG_COMP_CNT: 0
	.section	.text._ZL15flash_attn_tileILi64ELi64ELi4ELi8ELb1EEvPKcS1_S1_S1_S1_PKiPfP15HIP_vector_typeIfLj2EEffffjfiS5_IjLj3EEiiiiiiiiiiiliiliiiiil,"axG",@progbits,_ZL15flash_attn_tileILi64ELi64ELi4ELi8ELb1EEvPKcS1_S1_S1_S1_PKiPfP15HIP_vector_typeIfLj2EEffffjfiS5_IjLj3EEiiiiiiiiiiiliiliiiiil,comdat
	.globl	_ZL15flash_attn_tileILi64ELi64ELi4ELi8ELb1EEvPKcS1_S1_S1_S1_PKiPfP15HIP_vector_typeIfLj2EEffffjfiS5_IjLj3EEiiiiiiiiiiiliiliiiiil ; -- Begin function _ZL15flash_attn_tileILi64ELi64ELi4ELi8ELb1EEvPKcS1_S1_S1_S1_PKiPfP15HIP_vector_typeIfLj2EEffffjfiS5_IjLj3EEiiiiiiiiiiiliiliiiiil
	.p2align	8
	.type	_ZL15flash_attn_tileILi64ELi64ELi4ELi8ELb1EEvPKcS1_S1_S1_S1_PKiPfP15HIP_vector_typeIfLj2EEffffjfiS5_IjLj3EEiiiiiiiiiiiliiliiiiil,@function
_ZL15flash_attn_tileILi64ELi64ELi4ELi8ELb1EEvPKcS1_S1_S1_S1_PKiPfP15HIP_vector_typeIfLj2EEffffjfiS5_IjLj3EEiiiiiiiiiiiliiliiiiil: ; @_ZL15flash_attn_tileILi64ELi64ELi4ELi8ELb1EEvPKcS1_S1_S1_S1_PKiPfP15HIP_vector_typeIfLj2EEffffjfiS5_IjLj3EEiiiiiiiiiiiliiliiiiil
; %bb.0:
	s_add_u32 s0, s0, s7
	s_addc_u32 s1, s1, 0
	s_add_u32 s8, s4, 0xd0
	s_addc_u32 s9, s5, 0
	s_getpc_b64 s[4:5]
	s_add_u32 s4, s4, _ZL14no_device_codePKciS0_iS0_@rel32@lo+4
	s_addc_u32 s5, s5, _ZL14no_device_codePKciS0_iS0_@rel32@hi+12
	s_mov_b32 s32, 0
	s_swappc_b64 s[30:31], s[4:5]
	.section	.rodata,"a",@progbits
	.p2align	6, 0x0
	.amdhsa_kernel _ZL15flash_attn_tileILi64ELi64ELi4ELi8ELb1EEvPKcS1_S1_S1_S1_PKiPfP15HIP_vector_typeIfLj2EEffffjfiS5_IjLj3EEiiiiiiiiiiiliiliiiiil
		.amdhsa_group_segment_fixed_size 0
		.amdhsa_private_segment_fixed_size 16
		.amdhsa_kernarg_size 464
		.amdhsa_user_sgpr_count 6
		.amdhsa_user_sgpr_private_segment_buffer 1
		.amdhsa_user_sgpr_dispatch_ptr 0
		.amdhsa_user_sgpr_queue_ptr 0
		.amdhsa_user_sgpr_kernarg_segment_ptr 1
		.amdhsa_user_sgpr_dispatch_id 0
		.amdhsa_user_sgpr_flat_scratch_init 0
		.amdhsa_user_sgpr_private_segment_size 0
		.amdhsa_uses_dynamic_stack 0
		.amdhsa_system_sgpr_private_segment_wavefront_offset 1
		.amdhsa_system_sgpr_workgroup_id_x 1
		.amdhsa_system_sgpr_workgroup_id_y 0
		.amdhsa_system_sgpr_workgroup_id_z 0
		.amdhsa_system_sgpr_workgroup_info 0
		.amdhsa_system_vgpr_workitem_id 0
		.amdhsa_next_free_vgpr 41
		.amdhsa_next_free_sgpr 34
		.amdhsa_reserve_vcc 1
		.amdhsa_reserve_flat_scratch 0
		.amdhsa_float_round_mode_32 0
		.amdhsa_float_round_mode_16_64 0
		.amdhsa_float_denorm_mode_32 3
		.amdhsa_float_denorm_mode_16_64 3
		.amdhsa_dx10_clamp 1
		.amdhsa_ieee_mode 1
		.amdhsa_fp16_overflow 0
		.amdhsa_exception_fp_ieee_invalid_op 0
		.amdhsa_exception_fp_denorm_src 0
		.amdhsa_exception_fp_ieee_div_zero 0
		.amdhsa_exception_fp_ieee_overflow 0
		.amdhsa_exception_fp_ieee_underflow 0
		.amdhsa_exception_fp_ieee_inexact 0
		.amdhsa_exception_int_div_zero 0
	.end_amdhsa_kernel
	.section	.text._ZL15flash_attn_tileILi64ELi64ELi4ELi8ELb1EEvPKcS1_S1_S1_S1_PKiPfP15HIP_vector_typeIfLj2EEffffjfiS5_IjLj3EEiiiiiiiiiiiliiliiiiil,"axG",@progbits,_ZL15flash_attn_tileILi64ELi64ELi4ELi8ELb1EEvPKcS1_S1_S1_S1_PKiPfP15HIP_vector_typeIfLj2EEffffjfiS5_IjLj3EEiiiiiiiiiiiliiliiiiil,comdat
.Lfunc_end75:
	.size	_ZL15flash_attn_tileILi64ELi64ELi4ELi8ELb1EEvPKcS1_S1_S1_S1_PKiPfP15HIP_vector_typeIfLj2EEffffjfiS5_IjLj3EEiiiiiiiiiiiliiliiiiil, .Lfunc_end75-_ZL15flash_attn_tileILi64ELi64ELi4ELi8ELb1EEvPKcS1_S1_S1_S1_PKiPfP15HIP_vector_typeIfLj2EEffffjfiS5_IjLj3EEiiiiiiiiiiiliiliiiiil
                                        ; -- End function
	.set _ZL15flash_attn_tileILi64ELi64ELi4ELi8ELb1EEvPKcS1_S1_S1_S1_PKiPfP15HIP_vector_typeIfLj2EEffffjfiS5_IjLj3EEiiiiiiiiiiiliiliiiiil.num_vgpr, max(0, .L_ZL14no_device_codePKciS0_iS0_.num_vgpr)
	.set _ZL15flash_attn_tileILi64ELi64ELi4ELi8ELb1EEvPKcS1_S1_S1_S1_PKiPfP15HIP_vector_typeIfLj2EEffffjfiS5_IjLj3EEiiiiiiiiiiiliiliiiiil.num_agpr, max(0, .L_ZL14no_device_codePKciS0_iS0_.num_agpr)
	.set _ZL15flash_attn_tileILi64ELi64ELi4ELi8ELb1EEvPKcS1_S1_S1_S1_PKiPfP15HIP_vector_typeIfLj2EEffffjfiS5_IjLj3EEiiiiiiiiiiiliiliiiiil.numbered_sgpr, max(33, .L_ZL14no_device_codePKciS0_iS0_.numbered_sgpr)
	.set _ZL15flash_attn_tileILi64ELi64ELi4ELi8ELb1EEvPKcS1_S1_S1_S1_PKiPfP15HIP_vector_typeIfLj2EEffffjfiS5_IjLj3EEiiiiiiiiiiiliiliiiiil.num_named_barrier, max(0, .L_ZL14no_device_codePKciS0_iS0_.num_named_barrier)
	.set _ZL15flash_attn_tileILi64ELi64ELi4ELi8ELb1EEvPKcS1_S1_S1_S1_PKiPfP15HIP_vector_typeIfLj2EEffffjfiS5_IjLj3EEiiiiiiiiiiiliiliiiiil.private_seg_size, 0+max(.L_ZL14no_device_codePKciS0_iS0_.private_seg_size)
	.set _ZL15flash_attn_tileILi64ELi64ELi4ELi8ELb1EEvPKcS1_S1_S1_S1_PKiPfP15HIP_vector_typeIfLj2EEffffjfiS5_IjLj3EEiiiiiiiiiiiliiliiiiil.uses_vcc, or(1, .L_ZL14no_device_codePKciS0_iS0_.uses_vcc)
	.set _ZL15flash_attn_tileILi64ELi64ELi4ELi8ELb1EEvPKcS1_S1_S1_S1_PKiPfP15HIP_vector_typeIfLj2EEffffjfiS5_IjLj3EEiiiiiiiiiiiliiliiiiil.uses_flat_scratch, or(0, .L_ZL14no_device_codePKciS0_iS0_.uses_flat_scratch)
	.set _ZL15flash_attn_tileILi64ELi64ELi4ELi8ELb1EEvPKcS1_S1_S1_S1_PKiPfP15HIP_vector_typeIfLj2EEffffjfiS5_IjLj3EEiiiiiiiiiiiliiliiiiil.has_dyn_sized_stack, or(0, .L_ZL14no_device_codePKciS0_iS0_.has_dyn_sized_stack)
	.set _ZL15flash_attn_tileILi64ELi64ELi4ELi8ELb1EEvPKcS1_S1_S1_S1_PKiPfP15HIP_vector_typeIfLj2EEffffjfiS5_IjLj3EEiiiiiiiiiiiliiliiiiil.has_recursion, or(0, .L_ZL14no_device_codePKciS0_iS0_.has_recursion)
	.set _ZL15flash_attn_tileILi64ELi64ELi4ELi8ELb1EEvPKcS1_S1_S1_S1_PKiPfP15HIP_vector_typeIfLj2EEffffjfiS5_IjLj3EEiiiiiiiiiiiliiliiiiil.has_indirect_call, or(0, .L_ZL14no_device_codePKciS0_iS0_.has_indirect_call)
	.section	.AMDGPU.csdata,"",@progbits
; Kernel info:
; codeLenInByte = 48
; TotalNumSgprs: 38
; NumVgprs: 41
; ScratchSize: 16
; MemoryBound: 0
; FloatMode: 240
; IeeeMode: 1
; LDSByteSize: 0 bytes/workgroup (compile time only)
; SGPRBlocks: 4
; VGPRBlocks: 10
; NumSGPRsForWavesPerEU: 38
; NumVGPRsForWavesPerEU: 41
; Occupancy: 5
; WaveLimiterHint : 1
; COMPUTE_PGM_RSRC2:SCRATCH_EN: 1
; COMPUTE_PGM_RSRC2:USER_SGPR: 6
; COMPUTE_PGM_RSRC2:TRAP_HANDLER: 0
; COMPUTE_PGM_RSRC2:TGID_X_EN: 1
; COMPUTE_PGM_RSRC2:TGID_Y_EN: 0
; COMPUTE_PGM_RSRC2:TGID_Z_EN: 0
; COMPUTE_PGM_RSRC2:TIDIG_COMP_CNT: 0
	.section	.text._ZL15flash_attn_tileILi64ELi64ELi2ELi8ELb1EEvPKcS1_S1_S1_S1_PKiPfP15HIP_vector_typeIfLj2EEffffjfiS5_IjLj3EEiiiiiiiiiiiliiliiiiil,"axG",@progbits,_ZL15flash_attn_tileILi64ELi64ELi2ELi8ELb1EEvPKcS1_S1_S1_S1_PKiPfP15HIP_vector_typeIfLj2EEffffjfiS5_IjLj3EEiiiiiiiiiiiliiliiiiil,comdat
	.globl	_ZL15flash_attn_tileILi64ELi64ELi2ELi8ELb1EEvPKcS1_S1_S1_S1_PKiPfP15HIP_vector_typeIfLj2EEffffjfiS5_IjLj3EEiiiiiiiiiiiliiliiiiil ; -- Begin function _ZL15flash_attn_tileILi64ELi64ELi2ELi8ELb1EEvPKcS1_S1_S1_S1_PKiPfP15HIP_vector_typeIfLj2EEffffjfiS5_IjLj3EEiiiiiiiiiiiliiliiiiil
	.p2align	8
	.type	_ZL15flash_attn_tileILi64ELi64ELi2ELi8ELb1EEvPKcS1_S1_S1_S1_PKiPfP15HIP_vector_typeIfLj2EEffffjfiS5_IjLj3EEiiiiiiiiiiiliiliiiiil,@function
_ZL15flash_attn_tileILi64ELi64ELi2ELi8ELb1EEvPKcS1_S1_S1_S1_PKiPfP15HIP_vector_typeIfLj2EEffffjfiS5_IjLj3EEiiiiiiiiiiiliiliiiiil: ; @_ZL15flash_attn_tileILi64ELi64ELi2ELi8ELb1EEvPKcS1_S1_S1_S1_PKiPfP15HIP_vector_typeIfLj2EEffffjfiS5_IjLj3EEiiiiiiiiiiiliiliiiiil
; %bb.0:
	s_add_u32 s0, s0, s7
	s_addc_u32 s1, s1, 0
	s_add_u32 s8, s4, 0xd0
	s_addc_u32 s9, s5, 0
	s_getpc_b64 s[4:5]
	s_add_u32 s4, s4, _ZL14no_device_codePKciS0_iS0_@rel32@lo+4
	s_addc_u32 s5, s5, _ZL14no_device_codePKciS0_iS0_@rel32@hi+12
	s_mov_b32 s32, 0
	s_swappc_b64 s[30:31], s[4:5]
	.section	.rodata,"a",@progbits
	.p2align	6, 0x0
	.amdhsa_kernel _ZL15flash_attn_tileILi64ELi64ELi2ELi8ELb1EEvPKcS1_S1_S1_S1_PKiPfP15HIP_vector_typeIfLj2EEffffjfiS5_IjLj3EEiiiiiiiiiiiliiliiiiil
		.amdhsa_group_segment_fixed_size 0
		.amdhsa_private_segment_fixed_size 16
		.amdhsa_kernarg_size 464
		.amdhsa_user_sgpr_count 6
		.amdhsa_user_sgpr_private_segment_buffer 1
		.amdhsa_user_sgpr_dispatch_ptr 0
		.amdhsa_user_sgpr_queue_ptr 0
		.amdhsa_user_sgpr_kernarg_segment_ptr 1
		.amdhsa_user_sgpr_dispatch_id 0
		.amdhsa_user_sgpr_flat_scratch_init 0
		.amdhsa_user_sgpr_private_segment_size 0
		.amdhsa_uses_dynamic_stack 0
		.amdhsa_system_sgpr_private_segment_wavefront_offset 1
		.amdhsa_system_sgpr_workgroup_id_x 1
		.amdhsa_system_sgpr_workgroup_id_y 0
		.amdhsa_system_sgpr_workgroup_id_z 0
		.amdhsa_system_sgpr_workgroup_info 0
		.amdhsa_system_vgpr_workitem_id 0
		.amdhsa_next_free_vgpr 41
		.amdhsa_next_free_sgpr 34
		.amdhsa_reserve_vcc 1
		.amdhsa_reserve_flat_scratch 0
		.amdhsa_float_round_mode_32 0
		.amdhsa_float_round_mode_16_64 0
		.amdhsa_float_denorm_mode_32 3
		.amdhsa_float_denorm_mode_16_64 3
		.amdhsa_dx10_clamp 1
		.amdhsa_ieee_mode 1
		.amdhsa_fp16_overflow 0
		.amdhsa_exception_fp_ieee_invalid_op 0
		.amdhsa_exception_fp_denorm_src 0
		.amdhsa_exception_fp_ieee_div_zero 0
		.amdhsa_exception_fp_ieee_overflow 0
		.amdhsa_exception_fp_ieee_underflow 0
		.amdhsa_exception_fp_ieee_inexact 0
		.amdhsa_exception_int_div_zero 0
	.end_amdhsa_kernel
	.section	.text._ZL15flash_attn_tileILi64ELi64ELi2ELi8ELb1EEvPKcS1_S1_S1_S1_PKiPfP15HIP_vector_typeIfLj2EEffffjfiS5_IjLj3EEiiiiiiiiiiiliiliiiiil,"axG",@progbits,_ZL15flash_attn_tileILi64ELi64ELi2ELi8ELb1EEvPKcS1_S1_S1_S1_PKiPfP15HIP_vector_typeIfLj2EEffffjfiS5_IjLj3EEiiiiiiiiiiiliiliiiiil,comdat
.Lfunc_end76:
	.size	_ZL15flash_attn_tileILi64ELi64ELi2ELi8ELb1EEvPKcS1_S1_S1_S1_PKiPfP15HIP_vector_typeIfLj2EEffffjfiS5_IjLj3EEiiiiiiiiiiiliiliiiiil, .Lfunc_end76-_ZL15flash_attn_tileILi64ELi64ELi2ELi8ELb1EEvPKcS1_S1_S1_S1_PKiPfP15HIP_vector_typeIfLj2EEffffjfiS5_IjLj3EEiiiiiiiiiiiliiliiiiil
                                        ; -- End function
	.set _ZL15flash_attn_tileILi64ELi64ELi2ELi8ELb1EEvPKcS1_S1_S1_S1_PKiPfP15HIP_vector_typeIfLj2EEffffjfiS5_IjLj3EEiiiiiiiiiiiliiliiiiil.num_vgpr, max(0, .L_ZL14no_device_codePKciS0_iS0_.num_vgpr)
	.set _ZL15flash_attn_tileILi64ELi64ELi2ELi8ELb1EEvPKcS1_S1_S1_S1_PKiPfP15HIP_vector_typeIfLj2EEffffjfiS5_IjLj3EEiiiiiiiiiiiliiliiiiil.num_agpr, max(0, .L_ZL14no_device_codePKciS0_iS0_.num_agpr)
	.set _ZL15flash_attn_tileILi64ELi64ELi2ELi8ELb1EEvPKcS1_S1_S1_S1_PKiPfP15HIP_vector_typeIfLj2EEffffjfiS5_IjLj3EEiiiiiiiiiiiliiliiiiil.numbered_sgpr, max(33, .L_ZL14no_device_codePKciS0_iS0_.numbered_sgpr)
	.set _ZL15flash_attn_tileILi64ELi64ELi2ELi8ELb1EEvPKcS1_S1_S1_S1_PKiPfP15HIP_vector_typeIfLj2EEffffjfiS5_IjLj3EEiiiiiiiiiiiliiliiiiil.num_named_barrier, max(0, .L_ZL14no_device_codePKciS0_iS0_.num_named_barrier)
	.set _ZL15flash_attn_tileILi64ELi64ELi2ELi8ELb1EEvPKcS1_S1_S1_S1_PKiPfP15HIP_vector_typeIfLj2EEffffjfiS5_IjLj3EEiiiiiiiiiiiliiliiiiil.private_seg_size, 0+max(.L_ZL14no_device_codePKciS0_iS0_.private_seg_size)
	.set _ZL15flash_attn_tileILi64ELi64ELi2ELi8ELb1EEvPKcS1_S1_S1_S1_PKiPfP15HIP_vector_typeIfLj2EEffffjfiS5_IjLj3EEiiiiiiiiiiiliiliiiiil.uses_vcc, or(1, .L_ZL14no_device_codePKciS0_iS0_.uses_vcc)
	.set _ZL15flash_attn_tileILi64ELi64ELi2ELi8ELb1EEvPKcS1_S1_S1_S1_PKiPfP15HIP_vector_typeIfLj2EEffffjfiS5_IjLj3EEiiiiiiiiiiiliiliiiiil.uses_flat_scratch, or(0, .L_ZL14no_device_codePKciS0_iS0_.uses_flat_scratch)
	.set _ZL15flash_attn_tileILi64ELi64ELi2ELi8ELb1EEvPKcS1_S1_S1_S1_PKiPfP15HIP_vector_typeIfLj2EEffffjfiS5_IjLj3EEiiiiiiiiiiiliiliiiiil.has_dyn_sized_stack, or(0, .L_ZL14no_device_codePKciS0_iS0_.has_dyn_sized_stack)
	.set _ZL15flash_attn_tileILi64ELi64ELi2ELi8ELb1EEvPKcS1_S1_S1_S1_PKiPfP15HIP_vector_typeIfLj2EEffffjfiS5_IjLj3EEiiiiiiiiiiiliiliiiiil.has_recursion, or(0, .L_ZL14no_device_codePKciS0_iS0_.has_recursion)
	.set _ZL15flash_attn_tileILi64ELi64ELi2ELi8ELb1EEvPKcS1_S1_S1_S1_PKiPfP15HIP_vector_typeIfLj2EEffffjfiS5_IjLj3EEiiiiiiiiiiiliiliiiiil.has_indirect_call, or(0, .L_ZL14no_device_codePKciS0_iS0_.has_indirect_call)
	.section	.AMDGPU.csdata,"",@progbits
; Kernel info:
; codeLenInByte = 48
; TotalNumSgprs: 38
; NumVgprs: 41
; ScratchSize: 16
; MemoryBound: 0
; FloatMode: 240
; IeeeMode: 1
; LDSByteSize: 0 bytes/workgroup (compile time only)
; SGPRBlocks: 4
; VGPRBlocks: 10
; NumSGPRsForWavesPerEU: 38
; NumVGPRsForWavesPerEU: 41
; Occupancy: 5
; WaveLimiterHint : 1
; COMPUTE_PGM_RSRC2:SCRATCH_EN: 1
; COMPUTE_PGM_RSRC2:USER_SGPR: 6
; COMPUTE_PGM_RSRC2:TRAP_HANDLER: 0
; COMPUTE_PGM_RSRC2:TGID_X_EN: 1
; COMPUTE_PGM_RSRC2:TGID_Y_EN: 0
; COMPUTE_PGM_RSRC2:TGID_Z_EN: 0
; COMPUTE_PGM_RSRC2:TIDIG_COMP_CNT: 0
	.section	.text._ZL15flash_attn_tileILi64ELi64ELi1ELi8ELb1EEvPKcS1_S1_S1_S1_PKiPfP15HIP_vector_typeIfLj2EEffffjfiS5_IjLj3EEiiiiiiiiiiiliiliiiiil,"axG",@progbits,_ZL15flash_attn_tileILi64ELi64ELi1ELi8ELb1EEvPKcS1_S1_S1_S1_PKiPfP15HIP_vector_typeIfLj2EEffffjfiS5_IjLj3EEiiiiiiiiiiiliiliiiiil,comdat
	.globl	_ZL15flash_attn_tileILi64ELi64ELi1ELi8ELb1EEvPKcS1_S1_S1_S1_PKiPfP15HIP_vector_typeIfLj2EEffffjfiS5_IjLj3EEiiiiiiiiiiiliiliiiiil ; -- Begin function _ZL15flash_attn_tileILi64ELi64ELi1ELi8ELb1EEvPKcS1_S1_S1_S1_PKiPfP15HIP_vector_typeIfLj2EEffffjfiS5_IjLj3EEiiiiiiiiiiiliiliiiiil
	.p2align	8
	.type	_ZL15flash_attn_tileILi64ELi64ELi1ELi8ELb1EEvPKcS1_S1_S1_S1_PKiPfP15HIP_vector_typeIfLj2EEffffjfiS5_IjLj3EEiiiiiiiiiiiliiliiiiil,@function
_ZL15flash_attn_tileILi64ELi64ELi1ELi8ELb1EEvPKcS1_S1_S1_S1_PKiPfP15HIP_vector_typeIfLj2EEffffjfiS5_IjLj3EEiiiiiiiiiiiliiliiiiil: ; @_ZL15flash_attn_tileILi64ELi64ELi1ELi8ELb1EEvPKcS1_S1_S1_S1_PKiPfP15HIP_vector_typeIfLj2EEffffjfiS5_IjLj3EEiiiiiiiiiiiliiliiiiil
; %bb.0:
	s_add_u32 s0, s0, s7
	s_addc_u32 s1, s1, 0
	s_add_u32 s8, s4, 0xd0
	s_addc_u32 s9, s5, 0
	s_getpc_b64 s[4:5]
	s_add_u32 s4, s4, _ZL14no_device_codePKciS0_iS0_@rel32@lo+4
	s_addc_u32 s5, s5, _ZL14no_device_codePKciS0_iS0_@rel32@hi+12
	s_mov_b32 s32, 0
	s_swappc_b64 s[30:31], s[4:5]
	.section	.rodata,"a",@progbits
	.p2align	6, 0x0
	.amdhsa_kernel _ZL15flash_attn_tileILi64ELi64ELi1ELi8ELb1EEvPKcS1_S1_S1_S1_PKiPfP15HIP_vector_typeIfLj2EEffffjfiS5_IjLj3EEiiiiiiiiiiiliiliiiiil
		.amdhsa_group_segment_fixed_size 0
		.amdhsa_private_segment_fixed_size 16
		.amdhsa_kernarg_size 464
		.amdhsa_user_sgpr_count 6
		.amdhsa_user_sgpr_private_segment_buffer 1
		.amdhsa_user_sgpr_dispatch_ptr 0
		.amdhsa_user_sgpr_queue_ptr 0
		.amdhsa_user_sgpr_kernarg_segment_ptr 1
		.amdhsa_user_sgpr_dispatch_id 0
		.amdhsa_user_sgpr_flat_scratch_init 0
		.amdhsa_user_sgpr_private_segment_size 0
		.amdhsa_uses_dynamic_stack 0
		.amdhsa_system_sgpr_private_segment_wavefront_offset 1
		.amdhsa_system_sgpr_workgroup_id_x 1
		.amdhsa_system_sgpr_workgroup_id_y 0
		.amdhsa_system_sgpr_workgroup_id_z 0
		.amdhsa_system_sgpr_workgroup_info 0
		.amdhsa_system_vgpr_workitem_id 0
		.amdhsa_next_free_vgpr 41
		.amdhsa_next_free_sgpr 34
		.amdhsa_reserve_vcc 1
		.amdhsa_reserve_flat_scratch 0
		.amdhsa_float_round_mode_32 0
		.amdhsa_float_round_mode_16_64 0
		.amdhsa_float_denorm_mode_32 3
		.amdhsa_float_denorm_mode_16_64 3
		.amdhsa_dx10_clamp 1
		.amdhsa_ieee_mode 1
		.amdhsa_fp16_overflow 0
		.amdhsa_exception_fp_ieee_invalid_op 0
		.amdhsa_exception_fp_denorm_src 0
		.amdhsa_exception_fp_ieee_div_zero 0
		.amdhsa_exception_fp_ieee_overflow 0
		.amdhsa_exception_fp_ieee_underflow 0
		.amdhsa_exception_fp_ieee_inexact 0
		.amdhsa_exception_int_div_zero 0
	.end_amdhsa_kernel
	.section	.text._ZL15flash_attn_tileILi64ELi64ELi1ELi8ELb1EEvPKcS1_S1_S1_S1_PKiPfP15HIP_vector_typeIfLj2EEffffjfiS5_IjLj3EEiiiiiiiiiiiliiliiiiil,"axG",@progbits,_ZL15flash_attn_tileILi64ELi64ELi1ELi8ELb1EEvPKcS1_S1_S1_S1_PKiPfP15HIP_vector_typeIfLj2EEffffjfiS5_IjLj3EEiiiiiiiiiiiliiliiiiil,comdat
.Lfunc_end77:
	.size	_ZL15flash_attn_tileILi64ELi64ELi1ELi8ELb1EEvPKcS1_S1_S1_S1_PKiPfP15HIP_vector_typeIfLj2EEffffjfiS5_IjLj3EEiiiiiiiiiiiliiliiiiil, .Lfunc_end77-_ZL15flash_attn_tileILi64ELi64ELi1ELi8ELb1EEvPKcS1_S1_S1_S1_PKiPfP15HIP_vector_typeIfLj2EEffffjfiS5_IjLj3EEiiiiiiiiiiiliiliiiiil
                                        ; -- End function
	.set _ZL15flash_attn_tileILi64ELi64ELi1ELi8ELb1EEvPKcS1_S1_S1_S1_PKiPfP15HIP_vector_typeIfLj2EEffffjfiS5_IjLj3EEiiiiiiiiiiiliiliiiiil.num_vgpr, max(0, .L_ZL14no_device_codePKciS0_iS0_.num_vgpr)
	.set _ZL15flash_attn_tileILi64ELi64ELi1ELi8ELb1EEvPKcS1_S1_S1_S1_PKiPfP15HIP_vector_typeIfLj2EEffffjfiS5_IjLj3EEiiiiiiiiiiiliiliiiiil.num_agpr, max(0, .L_ZL14no_device_codePKciS0_iS0_.num_agpr)
	.set _ZL15flash_attn_tileILi64ELi64ELi1ELi8ELb1EEvPKcS1_S1_S1_S1_PKiPfP15HIP_vector_typeIfLj2EEffffjfiS5_IjLj3EEiiiiiiiiiiiliiliiiiil.numbered_sgpr, max(33, .L_ZL14no_device_codePKciS0_iS0_.numbered_sgpr)
	.set _ZL15flash_attn_tileILi64ELi64ELi1ELi8ELb1EEvPKcS1_S1_S1_S1_PKiPfP15HIP_vector_typeIfLj2EEffffjfiS5_IjLj3EEiiiiiiiiiiiliiliiiiil.num_named_barrier, max(0, .L_ZL14no_device_codePKciS0_iS0_.num_named_barrier)
	.set _ZL15flash_attn_tileILi64ELi64ELi1ELi8ELb1EEvPKcS1_S1_S1_S1_PKiPfP15HIP_vector_typeIfLj2EEffffjfiS5_IjLj3EEiiiiiiiiiiiliiliiiiil.private_seg_size, 0+max(.L_ZL14no_device_codePKciS0_iS0_.private_seg_size)
	.set _ZL15flash_attn_tileILi64ELi64ELi1ELi8ELb1EEvPKcS1_S1_S1_S1_PKiPfP15HIP_vector_typeIfLj2EEffffjfiS5_IjLj3EEiiiiiiiiiiiliiliiiiil.uses_vcc, or(1, .L_ZL14no_device_codePKciS0_iS0_.uses_vcc)
	.set _ZL15flash_attn_tileILi64ELi64ELi1ELi8ELb1EEvPKcS1_S1_S1_S1_PKiPfP15HIP_vector_typeIfLj2EEffffjfiS5_IjLj3EEiiiiiiiiiiiliiliiiiil.uses_flat_scratch, or(0, .L_ZL14no_device_codePKciS0_iS0_.uses_flat_scratch)
	.set _ZL15flash_attn_tileILi64ELi64ELi1ELi8ELb1EEvPKcS1_S1_S1_S1_PKiPfP15HIP_vector_typeIfLj2EEffffjfiS5_IjLj3EEiiiiiiiiiiiliiliiiiil.has_dyn_sized_stack, or(0, .L_ZL14no_device_codePKciS0_iS0_.has_dyn_sized_stack)
	.set _ZL15flash_attn_tileILi64ELi64ELi1ELi8ELb1EEvPKcS1_S1_S1_S1_PKiPfP15HIP_vector_typeIfLj2EEffffjfiS5_IjLj3EEiiiiiiiiiiiliiliiiiil.has_recursion, or(0, .L_ZL14no_device_codePKciS0_iS0_.has_recursion)
	.set _ZL15flash_attn_tileILi64ELi64ELi1ELi8ELb1EEvPKcS1_S1_S1_S1_PKiPfP15HIP_vector_typeIfLj2EEffffjfiS5_IjLj3EEiiiiiiiiiiiliiliiiiil.has_indirect_call, or(0, .L_ZL14no_device_codePKciS0_iS0_.has_indirect_call)
	.section	.AMDGPU.csdata,"",@progbits
; Kernel info:
; codeLenInByte = 48
; TotalNumSgprs: 38
; NumVgprs: 41
; ScratchSize: 16
; MemoryBound: 0
; FloatMode: 240
; IeeeMode: 1
; LDSByteSize: 0 bytes/workgroup (compile time only)
; SGPRBlocks: 4
; VGPRBlocks: 10
; NumSGPRsForWavesPerEU: 38
; NumVGPRsForWavesPerEU: 41
; Occupancy: 5
; WaveLimiterHint : 1
; COMPUTE_PGM_RSRC2:SCRATCH_EN: 1
; COMPUTE_PGM_RSRC2:USER_SGPR: 6
; COMPUTE_PGM_RSRC2:TRAP_HANDLER: 0
; COMPUTE_PGM_RSRC2:TGID_X_EN: 1
; COMPUTE_PGM_RSRC2:TGID_Y_EN: 0
; COMPUTE_PGM_RSRC2:TGID_Z_EN: 0
; COMPUTE_PGM_RSRC2:TIDIG_COMP_CNT: 0
	.section	.text._ZL15flash_attn_tileILi64ELi64ELi16ELi4ELb1EEvPKcS1_S1_S1_S1_PKiPfP15HIP_vector_typeIfLj2EEffffjfiS5_IjLj3EEiiiiiiiiiiiliiliiiiil,"axG",@progbits,_ZL15flash_attn_tileILi64ELi64ELi16ELi4ELb1EEvPKcS1_S1_S1_S1_PKiPfP15HIP_vector_typeIfLj2EEffffjfiS5_IjLj3EEiiiiiiiiiiiliiliiiiil,comdat
	.globl	_ZL15flash_attn_tileILi64ELi64ELi16ELi4ELb1EEvPKcS1_S1_S1_S1_PKiPfP15HIP_vector_typeIfLj2EEffffjfiS5_IjLj3EEiiiiiiiiiiiliiliiiiil ; -- Begin function _ZL15flash_attn_tileILi64ELi64ELi16ELi4ELb1EEvPKcS1_S1_S1_S1_PKiPfP15HIP_vector_typeIfLj2EEffffjfiS5_IjLj3EEiiiiiiiiiiiliiliiiiil
	.p2align	8
	.type	_ZL15flash_attn_tileILi64ELi64ELi16ELi4ELb1EEvPKcS1_S1_S1_S1_PKiPfP15HIP_vector_typeIfLj2EEffffjfiS5_IjLj3EEiiiiiiiiiiiliiliiiiil,@function
_ZL15flash_attn_tileILi64ELi64ELi16ELi4ELb1EEvPKcS1_S1_S1_S1_PKiPfP15HIP_vector_typeIfLj2EEffffjfiS5_IjLj3EEiiiiiiiiiiiliiliiiiil: ; @_ZL15flash_attn_tileILi64ELi64ELi16ELi4ELb1EEvPKcS1_S1_S1_S1_PKiPfP15HIP_vector_typeIfLj2EEffffjfiS5_IjLj3EEiiiiiiiiiiiliiliiiiil
; %bb.0:
	s_add_u32 s0, s0, s7
	s_addc_u32 s1, s1, 0
	s_add_u32 s8, s4, 0xd0
	s_addc_u32 s9, s5, 0
	s_getpc_b64 s[4:5]
	s_add_u32 s4, s4, _ZL14no_device_codePKciS0_iS0_@rel32@lo+4
	s_addc_u32 s5, s5, _ZL14no_device_codePKciS0_iS0_@rel32@hi+12
	s_mov_b32 s32, 0
	s_swappc_b64 s[30:31], s[4:5]
	.section	.rodata,"a",@progbits
	.p2align	6, 0x0
	.amdhsa_kernel _ZL15flash_attn_tileILi64ELi64ELi16ELi4ELb1EEvPKcS1_S1_S1_S1_PKiPfP15HIP_vector_typeIfLj2EEffffjfiS5_IjLj3EEiiiiiiiiiiiliiliiiiil
		.amdhsa_group_segment_fixed_size 0
		.amdhsa_private_segment_fixed_size 16
		.amdhsa_kernarg_size 464
		.amdhsa_user_sgpr_count 6
		.amdhsa_user_sgpr_private_segment_buffer 1
		.amdhsa_user_sgpr_dispatch_ptr 0
		.amdhsa_user_sgpr_queue_ptr 0
		.amdhsa_user_sgpr_kernarg_segment_ptr 1
		.amdhsa_user_sgpr_dispatch_id 0
		.amdhsa_user_sgpr_flat_scratch_init 0
		.amdhsa_user_sgpr_private_segment_size 0
		.amdhsa_uses_dynamic_stack 0
		.amdhsa_system_sgpr_private_segment_wavefront_offset 1
		.amdhsa_system_sgpr_workgroup_id_x 1
		.amdhsa_system_sgpr_workgroup_id_y 0
		.amdhsa_system_sgpr_workgroup_id_z 0
		.amdhsa_system_sgpr_workgroup_info 0
		.amdhsa_system_vgpr_workitem_id 0
		.amdhsa_next_free_vgpr 41
		.amdhsa_next_free_sgpr 34
		.amdhsa_reserve_vcc 1
		.amdhsa_reserve_flat_scratch 0
		.amdhsa_float_round_mode_32 0
		.amdhsa_float_round_mode_16_64 0
		.amdhsa_float_denorm_mode_32 3
		.amdhsa_float_denorm_mode_16_64 3
		.amdhsa_dx10_clamp 1
		.amdhsa_ieee_mode 1
		.amdhsa_fp16_overflow 0
		.amdhsa_exception_fp_ieee_invalid_op 0
		.amdhsa_exception_fp_denorm_src 0
		.amdhsa_exception_fp_ieee_div_zero 0
		.amdhsa_exception_fp_ieee_overflow 0
		.amdhsa_exception_fp_ieee_underflow 0
		.amdhsa_exception_fp_ieee_inexact 0
		.amdhsa_exception_int_div_zero 0
	.end_amdhsa_kernel
	.section	.text._ZL15flash_attn_tileILi64ELi64ELi16ELi4ELb1EEvPKcS1_S1_S1_S1_PKiPfP15HIP_vector_typeIfLj2EEffffjfiS5_IjLj3EEiiiiiiiiiiiliiliiiiil,"axG",@progbits,_ZL15flash_attn_tileILi64ELi64ELi16ELi4ELb1EEvPKcS1_S1_S1_S1_PKiPfP15HIP_vector_typeIfLj2EEffffjfiS5_IjLj3EEiiiiiiiiiiiliiliiiiil,comdat
.Lfunc_end78:
	.size	_ZL15flash_attn_tileILi64ELi64ELi16ELi4ELb1EEvPKcS1_S1_S1_S1_PKiPfP15HIP_vector_typeIfLj2EEffffjfiS5_IjLj3EEiiiiiiiiiiiliiliiiiil, .Lfunc_end78-_ZL15flash_attn_tileILi64ELi64ELi16ELi4ELb1EEvPKcS1_S1_S1_S1_PKiPfP15HIP_vector_typeIfLj2EEffffjfiS5_IjLj3EEiiiiiiiiiiiliiliiiiil
                                        ; -- End function
	.set _ZL15flash_attn_tileILi64ELi64ELi16ELi4ELb1EEvPKcS1_S1_S1_S1_PKiPfP15HIP_vector_typeIfLj2EEffffjfiS5_IjLj3EEiiiiiiiiiiiliiliiiiil.num_vgpr, max(0, .L_ZL14no_device_codePKciS0_iS0_.num_vgpr)
	.set _ZL15flash_attn_tileILi64ELi64ELi16ELi4ELb1EEvPKcS1_S1_S1_S1_PKiPfP15HIP_vector_typeIfLj2EEffffjfiS5_IjLj3EEiiiiiiiiiiiliiliiiiil.num_agpr, max(0, .L_ZL14no_device_codePKciS0_iS0_.num_agpr)
	.set _ZL15flash_attn_tileILi64ELi64ELi16ELi4ELb1EEvPKcS1_S1_S1_S1_PKiPfP15HIP_vector_typeIfLj2EEffffjfiS5_IjLj3EEiiiiiiiiiiiliiliiiiil.numbered_sgpr, max(33, .L_ZL14no_device_codePKciS0_iS0_.numbered_sgpr)
	.set _ZL15flash_attn_tileILi64ELi64ELi16ELi4ELb1EEvPKcS1_S1_S1_S1_PKiPfP15HIP_vector_typeIfLj2EEffffjfiS5_IjLj3EEiiiiiiiiiiiliiliiiiil.num_named_barrier, max(0, .L_ZL14no_device_codePKciS0_iS0_.num_named_barrier)
	.set _ZL15flash_attn_tileILi64ELi64ELi16ELi4ELb1EEvPKcS1_S1_S1_S1_PKiPfP15HIP_vector_typeIfLj2EEffffjfiS5_IjLj3EEiiiiiiiiiiiliiliiiiil.private_seg_size, 0+max(.L_ZL14no_device_codePKciS0_iS0_.private_seg_size)
	.set _ZL15flash_attn_tileILi64ELi64ELi16ELi4ELb1EEvPKcS1_S1_S1_S1_PKiPfP15HIP_vector_typeIfLj2EEffffjfiS5_IjLj3EEiiiiiiiiiiiliiliiiiil.uses_vcc, or(1, .L_ZL14no_device_codePKciS0_iS0_.uses_vcc)
	.set _ZL15flash_attn_tileILi64ELi64ELi16ELi4ELb1EEvPKcS1_S1_S1_S1_PKiPfP15HIP_vector_typeIfLj2EEffffjfiS5_IjLj3EEiiiiiiiiiiiliiliiiiil.uses_flat_scratch, or(0, .L_ZL14no_device_codePKciS0_iS0_.uses_flat_scratch)
	.set _ZL15flash_attn_tileILi64ELi64ELi16ELi4ELb1EEvPKcS1_S1_S1_S1_PKiPfP15HIP_vector_typeIfLj2EEffffjfiS5_IjLj3EEiiiiiiiiiiiliiliiiiil.has_dyn_sized_stack, or(0, .L_ZL14no_device_codePKciS0_iS0_.has_dyn_sized_stack)
	.set _ZL15flash_attn_tileILi64ELi64ELi16ELi4ELb1EEvPKcS1_S1_S1_S1_PKiPfP15HIP_vector_typeIfLj2EEffffjfiS5_IjLj3EEiiiiiiiiiiiliiliiiiil.has_recursion, or(0, .L_ZL14no_device_codePKciS0_iS0_.has_recursion)
	.set _ZL15flash_attn_tileILi64ELi64ELi16ELi4ELb1EEvPKcS1_S1_S1_S1_PKiPfP15HIP_vector_typeIfLj2EEffffjfiS5_IjLj3EEiiiiiiiiiiiliiliiiiil.has_indirect_call, or(0, .L_ZL14no_device_codePKciS0_iS0_.has_indirect_call)
	.section	.AMDGPU.csdata,"",@progbits
; Kernel info:
; codeLenInByte = 48
; TotalNumSgprs: 38
; NumVgprs: 41
; ScratchSize: 16
; MemoryBound: 0
; FloatMode: 240
; IeeeMode: 1
; LDSByteSize: 0 bytes/workgroup (compile time only)
; SGPRBlocks: 4
; VGPRBlocks: 10
; NumSGPRsForWavesPerEU: 38
; NumVGPRsForWavesPerEU: 41
; Occupancy: 5
; WaveLimiterHint : 1
; COMPUTE_PGM_RSRC2:SCRATCH_EN: 1
; COMPUTE_PGM_RSRC2:USER_SGPR: 6
; COMPUTE_PGM_RSRC2:TRAP_HANDLER: 0
; COMPUTE_PGM_RSRC2:TGID_X_EN: 1
; COMPUTE_PGM_RSRC2:TGID_Y_EN: 0
; COMPUTE_PGM_RSRC2:TGID_Z_EN: 0
; COMPUTE_PGM_RSRC2:TIDIG_COMP_CNT: 0
	.section	.text._ZL15flash_attn_tileILi64ELi64ELi8ELi4ELb1EEvPKcS1_S1_S1_S1_PKiPfP15HIP_vector_typeIfLj2EEffffjfiS5_IjLj3EEiiiiiiiiiiiliiliiiiil,"axG",@progbits,_ZL15flash_attn_tileILi64ELi64ELi8ELi4ELb1EEvPKcS1_S1_S1_S1_PKiPfP15HIP_vector_typeIfLj2EEffffjfiS5_IjLj3EEiiiiiiiiiiiliiliiiiil,comdat
	.globl	_ZL15flash_attn_tileILi64ELi64ELi8ELi4ELb1EEvPKcS1_S1_S1_S1_PKiPfP15HIP_vector_typeIfLj2EEffffjfiS5_IjLj3EEiiiiiiiiiiiliiliiiiil ; -- Begin function _ZL15flash_attn_tileILi64ELi64ELi8ELi4ELb1EEvPKcS1_S1_S1_S1_PKiPfP15HIP_vector_typeIfLj2EEffffjfiS5_IjLj3EEiiiiiiiiiiiliiliiiiil
	.p2align	8
	.type	_ZL15flash_attn_tileILi64ELi64ELi8ELi4ELb1EEvPKcS1_S1_S1_S1_PKiPfP15HIP_vector_typeIfLj2EEffffjfiS5_IjLj3EEiiiiiiiiiiiliiliiiiil,@function
_ZL15flash_attn_tileILi64ELi64ELi8ELi4ELb1EEvPKcS1_S1_S1_S1_PKiPfP15HIP_vector_typeIfLj2EEffffjfiS5_IjLj3EEiiiiiiiiiiiliiliiiiil: ; @_ZL15flash_attn_tileILi64ELi64ELi8ELi4ELb1EEvPKcS1_S1_S1_S1_PKiPfP15HIP_vector_typeIfLj2EEffffjfiS5_IjLj3EEiiiiiiiiiiiliiliiiiil
; %bb.0:
	s_add_u32 s0, s0, s7
	s_addc_u32 s1, s1, 0
	s_add_u32 s8, s4, 0xd0
	s_addc_u32 s9, s5, 0
	s_getpc_b64 s[4:5]
	s_add_u32 s4, s4, _ZL14no_device_codePKciS0_iS0_@rel32@lo+4
	s_addc_u32 s5, s5, _ZL14no_device_codePKciS0_iS0_@rel32@hi+12
	s_mov_b32 s32, 0
	s_swappc_b64 s[30:31], s[4:5]
	.section	.rodata,"a",@progbits
	.p2align	6, 0x0
	.amdhsa_kernel _ZL15flash_attn_tileILi64ELi64ELi8ELi4ELb1EEvPKcS1_S1_S1_S1_PKiPfP15HIP_vector_typeIfLj2EEffffjfiS5_IjLj3EEiiiiiiiiiiiliiliiiiil
		.amdhsa_group_segment_fixed_size 0
		.amdhsa_private_segment_fixed_size 16
		.amdhsa_kernarg_size 464
		.amdhsa_user_sgpr_count 6
		.amdhsa_user_sgpr_private_segment_buffer 1
		.amdhsa_user_sgpr_dispatch_ptr 0
		.amdhsa_user_sgpr_queue_ptr 0
		.amdhsa_user_sgpr_kernarg_segment_ptr 1
		.amdhsa_user_sgpr_dispatch_id 0
		.amdhsa_user_sgpr_flat_scratch_init 0
		.amdhsa_user_sgpr_private_segment_size 0
		.amdhsa_uses_dynamic_stack 0
		.amdhsa_system_sgpr_private_segment_wavefront_offset 1
		.amdhsa_system_sgpr_workgroup_id_x 1
		.amdhsa_system_sgpr_workgroup_id_y 0
		.amdhsa_system_sgpr_workgroup_id_z 0
		.amdhsa_system_sgpr_workgroup_info 0
		.amdhsa_system_vgpr_workitem_id 0
		.amdhsa_next_free_vgpr 41
		.amdhsa_next_free_sgpr 34
		.amdhsa_reserve_vcc 1
		.amdhsa_reserve_flat_scratch 0
		.amdhsa_float_round_mode_32 0
		.amdhsa_float_round_mode_16_64 0
		.amdhsa_float_denorm_mode_32 3
		.amdhsa_float_denorm_mode_16_64 3
		.amdhsa_dx10_clamp 1
		.amdhsa_ieee_mode 1
		.amdhsa_fp16_overflow 0
		.amdhsa_exception_fp_ieee_invalid_op 0
		.amdhsa_exception_fp_denorm_src 0
		.amdhsa_exception_fp_ieee_div_zero 0
		.amdhsa_exception_fp_ieee_overflow 0
		.amdhsa_exception_fp_ieee_underflow 0
		.amdhsa_exception_fp_ieee_inexact 0
		.amdhsa_exception_int_div_zero 0
	.end_amdhsa_kernel
	.section	.text._ZL15flash_attn_tileILi64ELi64ELi8ELi4ELb1EEvPKcS1_S1_S1_S1_PKiPfP15HIP_vector_typeIfLj2EEffffjfiS5_IjLj3EEiiiiiiiiiiiliiliiiiil,"axG",@progbits,_ZL15flash_attn_tileILi64ELi64ELi8ELi4ELb1EEvPKcS1_S1_S1_S1_PKiPfP15HIP_vector_typeIfLj2EEffffjfiS5_IjLj3EEiiiiiiiiiiiliiliiiiil,comdat
.Lfunc_end79:
	.size	_ZL15flash_attn_tileILi64ELi64ELi8ELi4ELb1EEvPKcS1_S1_S1_S1_PKiPfP15HIP_vector_typeIfLj2EEffffjfiS5_IjLj3EEiiiiiiiiiiiliiliiiiil, .Lfunc_end79-_ZL15flash_attn_tileILi64ELi64ELi8ELi4ELb1EEvPKcS1_S1_S1_S1_PKiPfP15HIP_vector_typeIfLj2EEffffjfiS5_IjLj3EEiiiiiiiiiiiliiliiiiil
                                        ; -- End function
	.set _ZL15flash_attn_tileILi64ELi64ELi8ELi4ELb1EEvPKcS1_S1_S1_S1_PKiPfP15HIP_vector_typeIfLj2EEffffjfiS5_IjLj3EEiiiiiiiiiiiliiliiiiil.num_vgpr, max(0, .L_ZL14no_device_codePKciS0_iS0_.num_vgpr)
	.set _ZL15flash_attn_tileILi64ELi64ELi8ELi4ELb1EEvPKcS1_S1_S1_S1_PKiPfP15HIP_vector_typeIfLj2EEffffjfiS5_IjLj3EEiiiiiiiiiiiliiliiiiil.num_agpr, max(0, .L_ZL14no_device_codePKciS0_iS0_.num_agpr)
	.set _ZL15flash_attn_tileILi64ELi64ELi8ELi4ELb1EEvPKcS1_S1_S1_S1_PKiPfP15HIP_vector_typeIfLj2EEffffjfiS5_IjLj3EEiiiiiiiiiiiliiliiiiil.numbered_sgpr, max(33, .L_ZL14no_device_codePKciS0_iS0_.numbered_sgpr)
	.set _ZL15flash_attn_tileILi64ELi64ELi8ELi4ELb1EEvPKcS1_S1_S1_S1_PKiPfP15HIP_vector_typeIfLj2EEffffjfiS5_IjLj3EEiiiiiiiiiiiliiliiiiil.num_named_barrier, max(0, .L_ZL14no_device_codePKciS0_iS0_.num_named_barrier)
	.set _ZL15flash_attn_tileILi64ELi64ELi8ELi4ELb1EEvPKcS1_S1_S1_S1_PKiPfP15HIP_vector_typeIfLj2EEffffjfiS5_IjLj3EEiiiiiiiiiiiliiliiiiil.private_seg_size, 0+max(.L_ZL14no_device_codePKciS0_iS0_.private_seg_size)
	.set _ZL15flash_attn_tileILi64ELi64ELi8ELi4ELb1EEvPKcS1_S1_S1_S1_PKiPfP15HIP_vector_typeIfLj2EEffffjfiS5_IjLj3EEiiiiiiiiiiiliiliiiiil.uses_vcc, or(1, .L_ZL14no_device_codePKciS0_iS0_.uses_vcc)
	.set _ZL15flash_attn_tileILi64ELi64ELi8ELi4ELb1EEvPKcS1_S1_S1_S1_PKiPfP15HIP_vector_typeIfLj2EEffffjfiS5_IjLj3EEiiiiiiiiiiiliiliiiiil.uses_flat_scratch, or(0, .L_ZL14no_device_codePKciS0_iS0_.uses_flat_scratch)
	.set _ZL15flash_attn_tileILi64ELi64ELi8ELi4ELb1EEvPKcS1_S1_S1_S1_PKiPfP15HIP_vector_typeIfLj2EEffffjfiS5_IjLj3EEiiiiiiiiiiiliiliiiiil.has_dyn_sized_stack, or(0, .L_ZL14no_device_codePKciS0_iS0_.has_dyn_sized_stack)
	.set _ZL15flash_attn_tileILi64ELi64ELi8ELi4ELb1EEvPKcS1_S1_S1_S1_PKiPfP15HIP_vector_typeIfLj2EEffffjfiS5_IjLj3EEiiiiiiiiiiiliiliiiiil.has_recursion, or(0, .L_ZL14no_device_codePKciS0_iS0_.has_recursion)
	.set _ZL15flash_attn_tileILi64ELi64ELi8ELi4ELb1EEvPKcS1_S1_S1_S1_PKiPfP15HIP_vector_typeIfLj2EEffffjfiS5_IjLj3EEiiiiiiiiiiiliiliiiiil.has_indirect_call, or(0, .L_ZL14no_device_codePKciS0_iS0_.has_indirect_call)
	.section	.AMDGPU.csdata,"",@progbits
; Kernel info:
; codeLenInByte = 48
; TotalNumSgprs: 38
; NumVgprs: 41
; ScratchSize: 16
; MemoryBound: 0
; FloatMode: 240
; IeeeMode: 1
; LDSByteSize: 0 bytes/workgroup (compile time only)
; SGPRBlocks: 4
; VGPRBlocks: 10
; NumSGPRsForWavesPerEU: 38
; NumVGPRsForWavesPerEU: 41
; Occupancy: 5
; WaveLimiterHint : 1
; COMPUTE_PGM_RSRC2:SCRATCH_EN: 1
; COMPUTE_PGM_RSRC2:USER_SGPR: 6
; COMPUTE_PGM_RSRC2:TRAP_HANDLER: 0
; COMPUTE_PGM_RSRC2:TGID_X_EN: 1
; COMPUTE_PGM_RSRC2:TGID_Y_EN: 0
; COMPUTE_PGM_RSRC2:TGID_Z_EN: 0
; COMPUTE_PGM_RSRC2:TIDIG_COMP_CNT: 0
	.section	.text._ZL15flash_attn_tileILi64ELi64ELi4ELi4ELb1EEvPKcS1_S1_S1_S1_PKiPfP15HIP_vector_typeIfLj2EEffffjfiS5_IjLj3EEiiiiiiiiiiiliiliiiiil,"axG",@progbits,_ZL15flash_attn_tileILi64ELi64ELi4ELi4ELb1EEvPKcS1_S1_S1_S1_PKiPfP15HIP_vector_typeIfLj2EEffffjfiS5_IjLj3EEiiiiiiiiiiiliiliiiiil,comdat
	.globl	_ZL15flash_attn_tileILi64ELi64ELi4ELi4ELb1EEvPKcS1_S1_S1_S1_PKiPfP15HIP_vector_typeIfLj2EEffffjfiS5_IjLj3EEiiiiiiiiiiiliiliiiiil ; -- Begin function _ZL15flash_attn_tileILi64ELi64ELi4ELi4ELb1EEvPKcS1_S1_S1_S1_PKiPfP15HIP_vector_typeIfLj2EEffffjfiS5_IjLj3EEiiiiiiiiiiiliiliiiiil
	.p2align	8
	.type	_ZL15flash_attn_tileILi64ELi64ELi4ELi4ELb1EEvPKcS1_S1_S1_S1_PKiPfP15HIP_vector_typeIfLj2EEffffjfiS5_IjLj3EEiiiiiiiiiiiliiliiiiil,@function
_ZL15flash_attn_tileILi64ELi64ELi4ELi4ELb1EEvPKcS1_S1_S1_S1_PKiPfP15HIP_vector_typeIfLj2EEffffjfiS5_IjLj3EEiiiiiiiiiiiliiliiiiil: ; @_ZL15flash_attn_tileILi64ELi64ELi4ELi4ELb1EEvPKcS1_S1_S1_S1_PKiPfP15HIP_vector_typeIfLj2EEffffjfiS5_IjLj3EEiiiiiiiiiiiliiliiiiil
; %bb.0:
	s_add_u32 s0, s0, s7
	s_addc_u32 s1, s1, 0
	s_add_u32 s8, s4, 0xd0
	s_addc_u32 s9, s5, 0
	s_getpc_b64 s[4:5]
	s_add_u32 s4, s4, _ZL14no_device_codePKciS0_iS0_@rel32@lo+4
	s_addc_u32 s5, s5, _ZL14no_device_codePKciS0_iS0_@rel32@hi+12
	s_mov_b32 s32, 0
	s_swappc_b64 s[30:31], s[4:5]
	.section	.rodata,"a",@progbits
	.p2align	6, 0x0
	.amdhsa_kernel _ZL15flash_attn_tileILi64ELi64ELi4ELi4ELb1EEvPKcS1_S1_S1_S1_PKiPfP15HIP_vector_typeIfLj2EEffffjfiS5_IjLj3EEiiiiiiiiiiiliiliiiiil
		.amdhsa_group_segment_fixed_size 0
		.amdhsa_private_segment_fixed_size 16
		.amdhsa_kernarg_size 464
		.amdhsa_user_sgpr_count 6
		.amdhsa_user_sgpr_private_segment_buffer 1
		.amdhsa_user_sgpr_dispatch_ptr 0
		.amdhsa_user_sgpr_queue_ptr 0
		.amdhsa_user_sgpr_kernarg_segment_ptr 1
		.amdhsa_user_sgpr_dispatch_id 0
		.amdhsa_user_sgpr_flat_scratch_init 0
		.amdhsa_user_sgpr_private_segment_size 0
		.amdhsa_uses_dynamic_stack 0
		.amdhsa_system_sgpr_private_segment_wavefront_offset 1
		.amdhsa_system_sgpr_workgroup_id_x 1
		.amdhsa_system_sgpr_workgroup_id_y 0
		.amdhsa_system_sgpr_workgroup_id_z 0
		.amdhsa_system_sgpr_workgroup_info 0
		.amdhsa_system_vgpr_workitem_id 0
		.amdhsa_next_free_vgpr 41
		.amdhsa_next_free_sgpr 34
		.amdhsa_reserve_vcc 1
		.amdhsa_reserve_flat_scratch 0
		.amdhsa_float_round_mode_32 0
		.amdhsa_float_round_mode_16_64 0
		.amdhsa_float_denorm_mode_32 3
		.amdhsa_float_denorm_mode_16_64 3
		.amdhsa_dx10_clamp 1
		.amdhsa_ieee_mode 1
		.amdhsa_fp16_overflow 0
		.amdhsa_exception_fp_ieee_invalid_op 0
		.amdhsa_exception_fp_denorm_src 0
		.amdhsa_exception_fp_ieee_div_zero 0
		.amdhsa_exception_fp_ieee_overflow 0
		.amdhsa_exception_fp_ieee_underflow 0
		.amdhsa_exception_fp_ieee_inexact 0
		.amdhsa_exception_int_div_zero 0
	.end_amdhsa_kernel
	.section	.text._ZL15flash_attn_tileILi64ELi64ELi4ELi4ELb1EEvPKcS1_S1_S1_S1_PKiPfP15HIP_vector_typeIfLj2EEffffjfiS5_IjLj3EEiiiiiiiiiiiliiliiiiil,"axG",@progbits,_ZL15flash_attn_tileILi64ELi64ELi4ELi4ELb1EEvPKcS1_S1_S1_S1_PKiPfP15HIP_vector_typeIfLj2EEffffjfiS5_IjLj3EEiiiiiiiiiiiliiliiiiil,comdat
.Lfunc_end80:
	.size	_ZL15flash_attn_tileILi64ELi64ELi4ELi4ELb1EEvPKcS1_S1_S1_S1_PKiPfP15HIP_vector_typeIfLj2EEffffjfiS5_IjLj3EEiiiiiiiiiiiliiliiiiil, .Lfunc_end80-_ZL15flash_attn_tileILi64ELi64ELi4ELi4ELb1EEvPKcS1_S1_S1_S1_PKiPfP15HIP_vector_typeIfLj2EEffffjfiS5_IjLj3EEiiiiiiiiiiiliiliiiiil
                                        ; -- End function
	.set _ZL15flash_attn_tileILi64ELi64ELi4ELi4ELb1EEvPKcS1_S1_S1_S1_PKiPfP15HIP_vector_typeIfLj2EEffffjfiS5_IjLj3EEiiiiiiiiiiiliiliiiiil.num_vgpr, max(0, .L_ZL14no_device_codePKciS0_iS0_.num_vgpr)
	.set _ZL15flash_attn_tileILi64ELi64ELi4ELi4ELb1EEvPKcS1_S1_S1_S1_PKiPfP15HIP_vector_typeIfLj2EEffffjfiS5_IjLj3EEiiiiiiiiiiiliiliiiiil.num_agpr, max(0, .L_ZL14no_device_codePKciS0_iS0_.num_agpr)
	.set _ZL15flash_attn_tileILi64ELi64ELi4ELi4ELb1EEvPKcS1_S1_S1_S1_PKiPfP15HIP_vector_typeIfLj2EEffffjfiS5_IjLj3EEiiiiiiiiiiiliiliiiiil.numbered_sgpr, max(33, .L_ZL14no_device_codePKciS0_iS0_.numbered_sgpr)
	.set _ZL15flash_attn_tileILi64ELi64ELi4ELi4ELb1EEvPKcS1_S1_S1_S1_PKiPfP15HIP_vector_typeIfLj2EEffffjfiS5_IjLj3EEiiiiiiiiiiiliiliiiiil.num_named_barrier, max(0, .L_ZL14no_device_codePKciS0_iS0_.num_named_barrier)
	.set _ZL15flash_attn_tileILi64ELi64ELi4ELi4ELb1EEvPKcS1_S1_S1_S1_PKiPfP15HIP_vector_typeIfLj2EEffffjfiS5_IjLj3EEiiiiiiiiiiiliiliiiiil.private_seg_size, 0+max(.L_ZL14no_device_codePKciS0_iS0_.private_seg_size)
	.set _ZL15flash_attn_tileILi64ELi64ELi4ELi4ELb1EEvPKcS1_S1_S1_S1_PKiPfP15HIP_vector_typeIfLj2EEffffjfiS5_IjLj3EEiiiiiiiiiiiliiliiiiil.uses_vcc, or(1, .L_ZL14no_device_codePKciS0_iS0_.uses_vcc)
	.set _ZL15flash_attn_tileILi64ELi64ELi4ELi4ELb1EEvPKcS1_S1_S1_S1_PKiPfP15HIP_vector_typeIfLj2EEffffjfiS5_IjLj3EEiiiiiiiiiiiliiliiiiil.uses_flat_scratch, or(0, .L_ZL14no_device_codePKciS0_iS0_.uses_flat_scratch)
	.set _ZL15flash_attn_tileILi64ELi64ELi4ELi4ELb1EEvPKcS1_S1_S1_S1_PKiPfP15HIP_vector_typeIfLj2EEffffjfiS5_IjLj3EEiiiiiiiiiiiliiliiiiil.has_dyn_sized_stack, or(0, .L_ZL14no_device_codePKciS0_iS0_.has_dyn_sized_stack)
	.set _ZL15flash_attn_tileILi64ELi64ELi4ELi4ELb1EEvPKcS1_S1_S1_S1_PKiPfP15HIP_vector_typeIfLj2EEffffjfiS5_IjLj3EEiiiiiiiiiiiliiliiiiil.has_recursion, or(0, .L_ZL14no_device_codePKciS0_iS0_.has_recursion)
	.set _ZL15flash_attn_tileILi64ELi64ELi4ELi4ELb1EEvPKcS1_S1_S1_S1_PKiPfP15HIP_vector_typeIfLj2EEffffjfiS5_IjLj3EEiiiiiiiiiiiliiliiiiil.has_indirect_call, or(0, .L_ZL14no_device_codePKciS0_iS0_.has_indirect_call)
	.section	.AMDGPU.csdata,"",@progbits
; Kernel info:
; codeLenInByte = 48
; TotalNumSgprs: 38
; NumVgprs: 41
; ScratchSize: 16
; MemoryBound: 0
; FloatMode: 240
; IeeeMode: 1
; LDSByteSize: 0 bytes/workgroup (compile time only)
; SGPRBlocks: 4
; VGPRBlocks: 10
; NumSGPRsForWavesPerEU: 38
; NumVGPRsForWavesPerEU: 41
; Occupancy: 5
; WaveLimiterHint : 1
; COMPUTE_PGM_RSRC2:SCRATCH_EN: 1
; COMPUTE_PGM_RSRC2:USER_SGPR: 6
; COMPUTE_PGM_RSRC2:TRAP_HANDLER: 0
; COMPUTE_PGM_RSRC2:TGID_X_EN: 1
; COMPUTE_PGM_RSRC2:TGID_Y_EN: 0
; COMPUTE_PGM_RSRC2:TGID_Z_EN: 0
; COMPUTE_PGM_RSRC2:TIDIG_COMP_CNT: 0
	.section	.text._ZL15flash_attn_tileILi64ELi64ELi2ELi4ELb1EEvPKcS1_S1_S1_S1_PKiPfP15HIP_vector_typeIfLj2EEffffjfiS5_IjLj3EEiiiiiiiiiiiliiliiiiil,"axG",@progbits,_ZL15flash_attn_tileILi64ELi64ELi2ELi4ELb1EEvPKcS1_S1_S1_S1_PKiPfP15HIP_vector_typeIfLj2EEffffjfiS5_IjLj3EEiiiiiiiiiiiliiliiiiil,comdat
	.globl	_ZL15flash_attn_tileILi64ELi64ELi2ELi4ELb1EEvPKcS1_S1_S1_S1_PKiPfP15HIP_vector_typeIfLj2EEffffjfiS5_IjLj3EEiiiiiiiiiiiliiliiiiil ; -- Begin function _ZL15flash_attn_tileILi64ELi64ELi2ELi4ELb1EEvPKcS1_S1_S1_S1_PKiPfP15HIP_vector_typeIfLj2EEffffjfiS5_IjLj3EEiiiiiiiiiiiliiliiiiil
	.p2align	8
	.type	_ZL15flash_attn_tileILi64ELi64ELi2ELi4ELb1EEvPKcS1_S1_S1_S1_PKiPfP15HIP_vector_typeIfLj2EEffffjfiS5_IjLj3EEiiiiiiiiiiiliiliiiiil,@function
_ZL15flash_attn_tileILi64ELi64ELi2ELi4ELb1EEvPKcS1_S1_S1_S1_PKiPfP15HIP_vector_typeIfLj2EEffffjfiS5_IjLj3EEiiiiiiiiiiiliiliiiiil: ; @_ZL15flash_attn_tileILi64ELi64ELi2ELi4ELb1EEvPKcS1_S1_S1_S1_PKiPfP15HIP_vector_typeIfLj2EEffffjfiS5_IjLj3EEiiiiiiiiiiiliiliiiiil
; %bb.0:
	s_add_u32 s0, s0, s7
	s_addc_u32 s1, s1, 0
	s_add_u32 s8, s4, 0xd0
	s_addc_u32 s9, s5, 0
	s_getpc_b64 s[4:5]
	s_add_u32 s4, s4, _ZL14no_device_codePKciS0_iS0_@rel32@lo+4
	s_addc_u32 s5, s5, _ZL14no_device_codePKciS0_iS0_@rel32@hi+12
	s_mov_b32 s32, 0
	s_swappc_b64 s[30:31], s[4:5]
	.section	.rodata,"a",@progbits
	.p2align	6, 0x0
	.amdhsa_kernel _ZL15flash_attn_tileILi64ELi64ELi2ELi4ELb1EEvPKcS1_S1_S1_S1_PKiPfP15HIP_vector_typeIfLj2EEffffjfiS5_IjLj3EEiiiiiiiiiiiliiliiiiil
		.amdhsa_group_segment_fixed_size 0
		.amdhsa_private_segment_fixed_size 16
		.amdhsa_kernarg_size 464
		.amdhsa_user_sgpr_count 6
		.amdhsa_user_sgpr_private_segment_buffer 1
		.amdhsa_user_sgpr_dispatch_ptr 0
		.amdhsa_user_sgpr_queue_ptr 0
		.amdhsa_user_sgpr_kernarg_segment_ptr 1
		.amdhsa_user_sgpr_dispatch_id 0
		.amdhsa_user_sgpr_flat_scratch_init 0
		.amdhsa_user_sgpr_private_segment_size 0
		.amdhsa_uses_dynamic_stack 0
		.amdhsa_system_sgpr_private_segment_wavefront_offset 1
		.amdhsa_system_sgpr_workgroup_id_x 1
		.amdhsa_system_sgpr_workgroup_id_y 0
		.amdhsa_system_sgpr_workgroup_id_z 0
		.amdhsa_system_sgpr_workgroup_info 0
		.amdhsa_system_vgpr_workitem_id 0
		.amdhsa_next_free_vgpr 41
		.amdhsa_next_free_sgpr 34
		.amdhsa_reserve_vcc 1
		.amdhsa_reserve_flat_scratch 0
		.amdhsa_float_round_mode_32 0
		.amdhsa_float_round_mode_16_64 0
		.amdhsa_float_denorm_mode_32 3
		.amdhsa_float_denorm_mode_16_64 3
		.amdhsa_dx10_clamp 1
		.amdhsa_ieee_mode 1
		.amdhsa_fp16_overflow 0
		.amdhsa_exception_fp_ieee_invalid_op 0
		.amdhsa_exception_fp_denorm_src 0
		.amdhsa_exception_fp_ieee_div_zero 0
		.amdhsa_exception_fp_ieee_overflow 0
		.amdhsa_exception_fp_ieee_underflow 0
		.amdhsa_exception_fp_ieee_inexact 0
		.amdhsa_exception_int_div_zero 0
	.end_amdhsa_kernel
	.section	.text._ZL15flash_attn_tileILi64ELi64ELi2ELi4ELb1EEvPKcS1_S1_S1_S1_PKiPfP15HIP_vector_typeIfLj2EEffffjfiS5_IjLj3EEiiiiiiiiiiiliiliiiiil,"axG",@progbits,_ZL15flash_attn_tileILi64ELi64ELi2ELi4ELb1EEvPKcS1_S1_S1_S1_PKiPfP15HIP_vector_typeIfLj2EEffffjfiS5_IjLj3EEiiiiiiiiiiiliiliiiiil,comdat
.Lfunc_end81:
	.size	_ZL15flash_attn_tileILi64ELi64ELi2ELi4ELb1EEvPKcS1_S1_S1_S1_PKiPfP15HIP_vector_typeIfLj2EEffffjfiS5_IjLj3EEiiiiiiiiiiiliiliiiiil, .Lfunc_end81-_ZL15flash_attn_tileILi64ELi64ELi2ELi4ELb1EEvPKcS1_S1_S1_S1_PKiPfP15HIP_vector_typeIfLj2EEffffjfiS5_IjLj3EEiiiiiiiiiiiliiliiiiil
                                        ; -- End function
	.set _ZL15flash_attn_tileILi64ELi64ELi2ELi4ELb1EEvPKcS1_S1_S1_S1_PKiPfP15HIP_vector_typeIfLj2EEffffjfiS5_IjLj3EEiiiiiiiiiiiliiliiiiil.num_vgpr, max(0, .L_ZL14no_device_codePKciS0_iS0_.num_vgpr)
	.set _ZL15flash_attn_tileILi64ELi64ELi2ELi4ELb1EEvPKcS1_S1_S1_S1_PKiPfP15HIP_vector_typeIfLj2EEffffjfiS5_IjLj3EEiiiiiiiiiiiliiliiiiil.num_agpr, max(0, .L_ZL14no_device_codePKciS0_iS0_.num_agpr)
	.set _ZL15flash_attn_tileILi64ELi64ELi2ELi4ELb1EEvPKcS1_S1_S1_S1_PKiPfP15HIP_vector_typeIfLj2EEffffjfiS5_IjLj3EEiiiiiiiiiiiliiliiiiil.numbered_sgpr, max(33, .L_ZL14no_device_codePKciS0_iS0_.numbered_sgpr)
	.set _ZL15flash_attn_tileILi64ELi64ELi2ELi4ELb1EEvPKcS1_S1_S1_S1_PKiPfP15HIP_vector_typeIfLj2EEffffjfiS5_IjLj3EEiiiiiiiiiiiliiliiiiil.num_named_barrier, max(0, .L_ZL14no_device_codePKciS0_iS0_.num_named_barrier)
	.set _ZL15flash_attn_tileILi64ELi64ELi2ELi4ELb1EEvPKcS1_S1_S1_S1_PKiPfP15HIP_vector_typeIfLj2EEffffjfiS5_IjLj3EEiiiiiiiiiiiliiliiiiil.private_seg_size, 0+max(.L_ZL14no_device_codePKciS0_iS0_.private_seg_size)
	.set _ZL15flash_attn_tileILi64ELi64ELi2ELi4ELb1EEvPKcS1_S1_S1_S1_PKiPfP15HIP_vector_typeIfLj2EEffffjfiS5_IjLj3EEiiiiiiiiiiiliiliiiiil.uses_vcc, or(1, .L_ZL14no_device_codePKciS0_iS0_.uses_vcc)
	.set _ZL15flash_attn_tileILi64ELi64ELi2ELi4ELb1EEvPKcS1_S1_S1_S1_PKiPfP15HIP_vector_typeIfLj2EEffffjfiS5_IjLj3EEiiiiiiiiiiiliiliiiiil.uses_flat_scratch, or(0, .L_ZL14no_device_codePKciS0_iS0_.uses_flat_scratch)
	.set _ZL15flash_attn_tileILi64ELi64ELi2ELi4ELb1EEvPKcS1_S1_S1_S1_PKiPfP15HIP_vector_typeIfLj2EEffffjfiS5_IjLj3EEiiiiiiiiiiiliiliiiiil.has_dyn_sized_stack, or(0, .L_ZL14no_device_codePKciS0_iS0_.has_dyn_sized_stack)
	.set _ZL15flash_attn_tileILi64ELi64ELi2ELi4ELb1EEvPKcS1_S1_S1_S1_PKiPfP15HIP_vector_typeIfLj2EEffffjfiS5_IjLj3EEiiiiiiiiiiiliiliiiiil.has_recursion, or(0, .L_ZL14no_device_codePKciS0_iS0_.has_recursion)
	.set _ZL15flash_attn_tileILi64ELi64ELi2ELi4ELb1EEvPKcS1_S1_S1_S1_PKiPfP15HIP_vector_typeIfLj2EEffffjfiS5_IjLj3EEiiiiiiiiiiiliiliiiiil.has_indirect_call, or(0, .L_ZL14no_device_codePKciS0_iS0_.has_indirect_call)
	.section	.AMDGPU.csdata,"",@progbits
; Kernel info:
; codeLenInByte = 48
; TotalNumSgprs: 38
; NumVgprs: 41
; ScratchSize: 16
; MemoryBound: 0
; FloatMode: 240
; IeeeMode: 1
; LDSByteSize: 0 bytes/workgroup (compile time only)
; SGPRBlocks: 4
; VGPRBlocks: 10
; NumSGPRsForWavesPerEU: 38
; NumVGPRsForWavesPerEU: 41
; Occupancy: 5
; WaveLimiterHint : 1
; COMPUTE_PGM_RSRC2:SCRATCH_EN: 1
; COMPUTE_PGM_RSRC2:USER_SGPR: 6
; COMPUTE_PGM_RSRC2:TRAP_HANDLER: 0
; COMPUTE_PGM_RSRC2:TGID_X_EN: 1
; COMPUTE_PGM_RSRC2:TGID_Y_EN: 0
; COMPUTE_PGM_RSRC2:TGID_Z_EN: 0
; COMPUTE_PGM_RSRC2:TIDIG_COMP_CNT: 0
	.section	.text._ZL15flash_attn_tileILi64ELi64ELi1ELi4ELb1EEvPKcS1_S1_S1_S1_PKiPfP15HIP_vector_typeIfLj2EEffffjfiS5_IjLj3EEiiiiiiiiiiiliiliiiiil,"axG",@progbits,_ZL15flash_attn_tileILi64ELi64ELi1ELi4ELb1EEvPKcS1_S1_S1_S1_PKiPfP15HIP_vector_typeIfLj2EEffffjfiS5_IjLj3EEiiiiiiiiiiiliiliiiiil,comdat
	.globl	_ZL15flash_attn_tileILi64ELi64ELi1ELi4ELb1EEvPKcS1_S1_S1_S1_PKiPfP15HIP_vector_typeIfLj2EEffffjfiS5_IjLj3EEiiiiiiiiiiiliiliiiiil ; -- Begin function _ZL15flash_attn_tileILi64ELi64ELi1ELi4ELb1EEvPKcS1_S1_S1_S1_PKiPfP15HIP_vector_typeIfLj2EEffffjfiS5_IjLj3EEiiiiiiiiiiiliiliiiiil
	.p2align	8
	.type	_ZL15flash_attn_tileILi64ELi64ELi1ELi4ELb1EEvPKcS1_S1_S1_S1_PKiPfP15HIP_vector_typeIfLj2EEffffjfiS5_IjLj3EEiiiiiiiiiiiliiliiiiil,@function
_ZL15flash_attn_tileILi64ELi64ELi1ELi4ELb1EEvPKcS1_S1_S1_S1_PKiPfP15HIP_vector_typeIfLj2EEffffjfiS5_IjLj3EEiiiiiiiiiiiliiliiiiil: ; @_ZL15flash_attn_tileILi64ELi64ELi1ELi4ELb1EEvPKcS1_S1_S1_S1_PKiPfP15HIP_vector_typeIfLj2EEffffjfiS5_IjLj3EEiiiiiiiiiiiliiliiiiil
; %bb.0:
	s_add_u32 s0, s0, s7
	s_addc_u32 s1, s1, 0
	s_add_u32 s8, s4, 0xd0
	s_addc_u32 s9, s5, 0
	s_getpc_b64 s[4:5]
	s_add_u32 s4, s4, _ZL14no_device_codePKciS0_iS0_@rel32@lo+4
	s_addc_u32 s5, s5, _ZL14no_device_codePKciS0_iS0_@rel32@hi+12
	s_mov_b32 s32, 0
	s_swappc_b64 s[30:31], s[4:5]
	.section	.rodata,"a",@progbits
	.p2align	6, 0x0
	.amdhsa_kernel _ZL15flash_attn_tileILi64ELi64ELi1ELi4ELb1EEvPKcS1_S1_S1_S1_PKiPfP15HIP_vector_typeIfLj2EEffffjfiS5_IjLj3EEiiiiiiiiiiiliiliiiiil
		.amdhsa_group_segment_fixed_size 0
		.amdhsa_private_segment_fixed_size 16
		.amdhsa_kernarg_size 464
		.amdhsa_user_sgpr_count 6
		.amdhsa_user_sgpr_private_segment_buffer 1
		.amdhsa_user_sgpr_dispatch_ptr 0
		.amdhsa_user_sgpr_queue_ptr 0
		.amdhsa_user_sgpr_kernarg_segment_ptr 1
		.amdhsa_user_sgpr_dispatch_id 0
		.amdhsa_user_sgpr_flat_scratch_init 0
		.amdhsa_user_sgpr_private_segment_size 0
		.amdhsa_uses_dynamic_stack 0
		.amdhsa_system_sgpr_private_segment_wavefront_offset 1
		.amdhsa_system_sgpr_workgroup_id_x 1
		.amdhsa_system_sgpr_workgroup_id_y 0
		.amdhsa_system_sgpr_workgroup_id_z 0
		.amdhsa_system_sgpr_workgroup_info 0
		.amdhsa_system_vgpr_workitem_id 0
		.amdhsa_next_free_vgpr 41
		.amdhsa_next_free_sgpr 34
		.amdhsa_reserve_vcc 1
		.amdhsa_reserve_flat_scratch 0
		.amdhsa_float_round_mode_32 0
		.amdhsa_float_round_mode_16_64 0
		.amdhsa_float_denorm_mode_32 3
		.amdhsa_float_denorm_mode_16_64 3
		.amdhsa_dx10_clamp 1
		.amdhsa_ieee_mode 1
		.amdhsa_fp16_overflow 0
		.amdhsa_exception_fp_ieee_invalid_op 0
		.amdhsa_exception_fp_denorm_src 0
		.amdhsa_exception_fp_ieee_div_zero 0
		.amdhsa_exception_fp_ieee_overflow 0
		.amdhsa_exception_fp_ieee_underflow 0
		.amdhsa_exception_fp_ieee_inexact 0
		.amdhsa_exception_int_div_zero 0
	.end_amdhsa_kernel
	.section	.text._ZL15flash_attn_tileILi64ELi64ELi1ELi4ELb1EEvPKcS1_S1_S1_S1_PKiPfP15HIP_vector_typeIfLj2EEffffjfiS5_IjLj3EEiiiiiiiiiiiliiliiiiil,"axG",@progbits,_ZL15flash_attn_tileILi64ELi64ELi1ELi4ELb1EEvPKcS1_S1_S1_S1_PKiPfP15HIP_vector_typeIfLj2EEffffjfiS5_IjLj3EEiiiiiiiiiiiliiliiiiil,comdat
.Lfunc_end82:
	.size	_ZL15flash_attn_tileILi64ELi64ELi1ELi4ELb1EEvPKcS1_S1_S1_S1_PKiPfP15HIP_vector_typeIfLj2EEffffjfiS5_IjLj3EEiiiiiiiiiiiliiliiiiil, .Lfunc_end82-_ZL15flash_attn_tileILi64ELi64ELi1ELi4ELb1EEvPKcS1_S1_S1_S1_PKiPfP15HIP_vector_typeIfLj2EEffffjfiS5_IjLj3EEiiiiiiiiiiiliiliiiiil
                                        ; -- End function
	.set _ZL15flash_attn_tileILi64ELi64ELi1ELi4ELb1EEvPKcS1_S1_S1_S1_PKiPfP15HIP_vector_typeIfLj2EEffffjfiS5_IjLj3EEiiiiiiiiiiiliiliiiiil.num_vgpr, max(0, .L_ZL14no_device_codePKciS0_iS0_.num_vgpr)
	.set _ZL15flash_attn_tileILi64ELi64ELi1ELi4ELb1EEvPKcS1_S1_S1_S1_PKiPfP15HIP_vector_typeIfLj2EEffffjfiS5_IjLj3EEiiiiiiiiiiiliiliiiiil.num_agpr, max(0, .L_ZL14no_device_codePKciS0_iS0_.num_agpr)
	.set _ZL15flash_attn_tileILi64ELi64ELi1ELi4ELb1EEvPKcS1_S1_S1_S1_PKiPfP15HIP_vector_typeIfLj2EEffffjfiS5_IjLj3EEiiiiiiiiiiiliiliiiiil.numbered_sgpr, max(33, .L_ZL14no_device_codePKciS0_iS0_.numbered_sgpr)
	.set _ZL15flash_attn_tileILi64ELi64ELi1ELi4ELb1EEvPKcS1_S1_S1_S1_PKiPfP15HIP_vector_typeIfLj2EEffffjfiS5_IjLj3EEiiiiiiiiiiiliiliiiiil.num_named_barrier, max(0, .L_ZL14no_device_codePKciS0_iS0_.num_named_barrier)
	.set _ZL15flash_attn_tileILi64ELi64ELi1ELi4ELb1EEvPKcS1_S1_S1_S1_PKiPfP15HIP_vector_typeIfLj2EEffffjfiS5_IjLj3EEiiiiiiiiiiiliiliiiiil.private_seg_size, 0+max(.L_ZL14no_device_codePKciS0_iS0_.private_seg_size)
	.set _ZL15flash_attn_tileILi64ELi64ELi1ELi4ELb1EEvPKcS1_S1_S1_S1_PKiPfP15HIP_vector_typeIfLj2EEffffjfiS5_IjLj3EEiiiiiiiiiiiliiliiiiil.uses_vcc, or(1, .L_ZL14no_device_codePKciS0_iS0_.uses_vcc)
	.set _ZL15flash_attn_tileILi64ELi64ELi1ELi4ELb1EEvPKcS1_S1_S1_S1_PKiPfP15HIP_vector_typeIfLj2EEffffjfiS5_IjLj3EEiiiiiiiiiiiliiliiiiil.uses_flat_scratch, or(0, .L_ZL14no_device_codePKciS0_iS0_.uses_flat_scratch)
	.set _ZL15flash_attn_tileILi64ELi64ELi1ELi4ELb1EEvPKcS1_S1_S1_S1_PKiPfP15HIP_vector_typeIfLj2EEffffjfiS5_IjLj3EEiiiiiiiiiiiliiliiiiil.has_dyn_sized_stack, or(0, .L_ZL14no_device_codePKciS0_iS0_.has_dyn_sized_stack)
	.set _ZL15flash_attn_tileILi64ELi64ELi1ELi4ELb1EEvPKcS1_S1_S1_S1_PKiPfP15HIP_vector_typeIfLj2EEffffjfiS5_IjLj3EEiiiiiiiiiiiliiliiiiil.has_recursion, or(0, .L_ZL14no_device_codePKciS0_iS0_.has_recursion)
	.set _ZL15flash_attn_tileILi64ELi64ELi1ELi4ELb1EEvPKcS1_S1_S1_S1_PKiPfP15HIP_vector_typeIfLj2EEffffjfiS5_IjLj3EEiiiiiiiiiiiliiliiiiil.has_indirect_call, or(0, .L_ZL14no_device_codePKciS0_iS0_.has_indirect_call)
	.section	.AMDGPU.csdata,"",@progbits
; Kernel info:
; codeLenInByte = 48
; TotalNumSgprs: 38
; NumVgprs: 41
; ScratchSize: 16
; MemoryBound: 0
; FloatMode: 240
; IeeeMode: 1
; LDSByteSize: 0 bytes/workgroup (compile time only)
; SGPRBlocks: 4
; VGPRBlocks: 10
; NumSGPRsForWavesPerEU: 38
; NumVGPRsForWavesPerEU: 41
; Occupancy: 5
; WaveLimiterHint : 1
; COMPUTE_PGM_RSRC2:SCRATCH_EN: 1
; COMPUTE_PGM_RSRC2:USER_SGPR: 6
; COMPUTE_PGM_RSRC2:TRAP_HANDLER: 0
; COMPUTE_PGM_RSRC2:TGID_X_EN: 1
; COMPUTE_PGM_RSRC2:TGID_Y_EN: 0
; COMPUTE_PGM_RSRC2:TGID_Z_EN: 0
; COMPUTE_PGM_RSRC2:TIDIG_COMP_CNT: 0
	.section	.text._ZL15flash_attn_tileILi64ELi64ELi32ELi2ELb1EEvPKcS1_S1_S1_S1_PKiPfP15HIP_vector_typeIfLj2EEffffjfiS5_IjLj3EEiiiiiiiiiiiliiliiiiil,"axG",@progbits,_ZL15flash_attn_tileILi64ELi64ELi32ELi2ELb1EEvPKcS1_S1_S1_S1_PKiPfP15HIP_vector_typeIfLj2EEffffjfiS5_IjLj3EEiiiiiiiiiiiliiliiiiil,comdat
	.globl	_ZL15flash_attn_tileILi64ELi64ELi32ELi2ELb1EEvPKcS1_S1_S1_S1_PKiPfP15HIP_vector_typeIfLj2EEffffjfiS5_IjLj3EEiiiiiiiiiiiliiliiiiil ; -- Begin function _ZL15flash_attn_tileILi64ELi64ELi32ELi2ELb1EEvPKcS1_S1_S1_S1_PKiPfP15HIP_vector_typeIfLj2EEffffjfiS5_IjLj3EEiiiiiiiiiiiliiliiiiil
	.p2align	8
	.type	_ZL15flash_attn_tileILi64ELi64ELi32ELi2ELb1EEvPKcS1_S1_S1_S1_PKiPfP15HIP_vector_typeIfLj2EEffffjfiS5_IjLj3EEiiiiiiiiiiiliiliiiiil,@function
_ZL15flash_attn_tileILi64ELi64ELi32ELi2ELb1EEvPKcS1_S1_S1_S1_PKiPfP15HIP_vector_typeIfLj2EEffffjfiS5_IjLj3EEiiiiiiiiiiiliiliiiiil: ; @_ZL15flash_attn_tileILi64ELi64ELi32ELi2ELb1EEvPKcS1_S1_S1_S1_PKiPfP15HIP_vector_typeIfLj2EEffffjfiS5_IjLj3EEiiiiiiiiiiiliiliiiiil
; %bb.0:
	s_add_u32 s0, s0, s7
	s_addc_u32 s1, s1, 0
	s_add_u32 s8, s4, 0xd0
	s_addc_u32 s9, s5, 0
	s_getpc_b64 s[4:5]
	s_add_u32 s4, s4, _ZL14no_device_codePKciS0_iS0_@rel32@lo+4
	s_addc_u32 s5, s5, _ZL14no_device_codePKciS0_iS0_@rel32@hi+12
	s_mov_b32 s32, 0
	s_swappc_b64 s[30:31], s[4:5]
	.section	.rodata,"a",@progbits
	.p2align	6, 0x0
	.amdhsa_kernel _ZL15flash_attn_tileILi64ELi64ELi32ELi2ELb1EEvPKcS1_S1_S1_S1_PKiPfP15HIP_vector_typeIfLj2EEffffjfiS5_IjLj3EEiiiiiiiiiiiliiliiiiil
		.amdhsa_group_segment_fixed_size 0
		.amdhsa_private_segment_fixed_size 16
		.amdhsa_kernarg_size 464
		.amdhsa_user_sgpr_count 6
		.amdhsa_user_sgpr_private_segment_buffer 1
		.amdhsa_user_sgpr_dispatch_ptr 0
		.amdhsa_user_sgpr_queue_ptr 0
		.amdhsa_user_sgpr_kernarg_segment_ptr 1
		.amdhsa_user_sgpr_dispatch_id 0
		.amdhsa_user_sgpr_flat_scratch_init 0
		.amdhsa_user_sgpr_private_segment_size 0
		.amdhsa_uses_dynamic_stack 0
		.amdhsa_system_sgpr_private_segment_wavefront_offset 1
		.amdhsa_system_sgpr_workgroup_id_x 1
		.amdhsa_system_sgpr_workgroup_id_y 0
		.amdhsa_system_sgpr_workgroup_id_z 0
		.amdhsa_system_sgpr_workgroup_info 0
		.amdhsa_system_vgpr_workitem_id 0
		.amdhsa_next_free_vgpr 41
		.amdhsa_next_free_sgpr 34
		.amdhsa_reserve_vcc 1
		.amdhsa_reserve_flat_scratch 0
		.amdhsa_float_round_mode_32 0
		.amdhsa_float_round_mode_16_64 0
		.amdhsa_float_denorm_mode_32 3
		.amdhsa_float_denorm_mode_16_64 3
		.amdhsa_dx10_clamp 1
		.amdhsa_ieee_mode 1
		.amdhsa_fp16_overflow 0
		.amdhsa_exception_fp_ieee_invalid_op 0
		.amdhsa_exception_fp_denorm_src 0
		.amdhsa_exception_fp_ieee_div_zero 0
		.amdhsa_exception_fp_ieee_overflow 0
		.amdhsa_exception_fp_ieee_underflow 0
		.amdhsa_exception_fp_ieee_inexact 0
		.amdhsa_exception_int_div_zero 0
	.end_amdhsa_kernel
	.section	.text._ZL15flash_attn_tileILi64ELi64ELi32ELi2ELb1EEvPKcS1_S1_S1_S1_PKiPfP15HIP_vector_typeIfLj2EEffffjfiS5_IjLj3EEiiiiiiiiiiiliiliiiiil,"axG",@progbits,_ZL15flash_attn_tileILi64ELi64ELi32ELi2ELb1EEvPKcS1_S1_S1_S1_PKiPfP15HIP_vector_typeIfLj2EEffffjfiS5_IjLj3EEiiiiiiiiiiiliiliiiiil,comdat
.Lfunc_end83:
	.size	_ZL15flash_attn_tileILi64ELi64ELi32ELi2ELb1EEvPKcS1_S1_S1_S1_PKiPfP15HIP_vector_typeIfLj2EEffffjfiS5_IjLj3EEiiiiiiiiiiiliiliiiiil, .Lfunc_end83-_ZL15flash_attn_tileILi64ELi64ELi32ELi2ELb1EEvPKcS1_S1_S1_S1_PKiPfP15HIP_vector_typeIfLj2EEffffjfiS5_IjLj3EEiiiiiiiiiiiliiliiiiil
                                        ; -- End function
	.set _ZL15flash_attn_tileILi64ELi64ELi32ELi2ELb1EEvPKcS1_S1_S1_S1_PKiPfP15HIP_vector_typeIfLj2EEffffjfiS5_IjLj3EEiiiiiiiiiiiliiliiiiil.num_vgpr, max(0, .L_ZL14no_device_codePKciS0_iS0_.num_vgpr)
	.set _ZL15flash_attn_tileILi64ELi64ELi32ELi2ELb1EEvPKcS1_S1_S1_S1_PKiPfP15HIP_vector_typeIfLj2EEffffjfiS5_IjLj3EEiiiiiiiiiiiliiliiiiil.num_agpr, max(0, .L_ZL14no_device_codePKciS0_iS0_.num_agpr)
	.set _ZL15flash_attn_tileILi64ELi64ELi32ELi2ELb1EEvPKcS1_S1_S1_S1_PKiPfP15HIP_vector_typeIfLj2EEffffjfiS5_IjLj3EEiiiiiiiiiiiliiliiiiil.numbered_sgpr, max(33, .L_ZL14no_device_codePKciS0_iS0_.numbered_sgpr)
	.set _ZL15flash_attn_tileILi64ELi64ELi32ELi2ELb1EEvPKcS1_S1_S1_S1_PKiPfP15HIP_vector_typeIfLj2EEffffjfiS5_IjLj3EEiiiiiiiiiiiliiliiiiil.num_named_barrier, max(0, .L_ZL14no_device_codePKciS0_iS0_.num_named_barrier)
	.set _ZL15flash_attn_tileILi64ELi64ELi32ELi2ELb1EEvPKcS1_S1_S1_S1_PKiPfP15HIP_vector_typeIfLj2EEffffjfiS5_IjLj3EEiiiiiiiiiiiliiliiiiil.private_seg_size, 0+max(.L_ZL14no_device_codePKciS0_iS0_.private_seg_size)
	.set _ZL15flash_attn_tileILi64ELi64ELi32ELi2ELb1EEvPKcS1_S1_S1_S1_PKiPfP15HIP_vector_typeIfLj2EEffffjfiS5_IjLj3EEiiiiiiiiiiiliiliiiiil.uses_vcc, or(1, .L_ZL14no_device_codePKciS0_iS0_.uses_vcc)
	.set _ZL15flash_attn_tileILi64ELi64ELi32ELi2ELb1EEvPKcS1_S1_S1_S1_PKiPfP15HIP_vector_typeIfLj2EEffffjfiS5_IjLj3EEiiiiiiiiiiiliiliiiiil.uses_flat_scratch, or(0, .L_ZL14no_device_codePKciS0_iS0_.uses_flat_scratch)
	.set _ZL15flash_attn_tileILi64ELi64ELi32ELi2ELb1EEvPKcS1_S1_S1_S1_PKiPfP15HIP_vector_typeIfLj2EEffffjfiS5_IjLj3EEiiiiiiiiiiiliiliiiiil.has_dyn_sized_stack, or(0, .L_ZL14no_device_codePKciS0_iS0_.has_dyn_sized_stack)
	.set _ZL15flash_attn_tileILi64ELi64ELi32ELi2ELb1EEvPKcS1_S1_S1_S1_PKiPfP15HIP_vector_typeIfLj2EEffffjfiS5_IjLj3EEiiiiiiiiiiiliiliiiiil.has_recursion, or(0, .L_ZL14no_device_codePKciS0_iS0_.has_recursion)
	.set _ZL15flash_attn_tileILi64ELi64ELi32ELi2ELb1EEvPKcS1_S1_S1_S1_PKiPfP15HIP_vector_typeIfLj2EEffffjfiS5_IjLj3EEiiiiiiiiiiiliiliiiiil.has_indirect_call, or(0, .L_ZL14no_device_codePKciS0_iS0_.has_indirect_call)
	.section	.AMDGPU.csdata,"",@progbits
; Kernel info:
; codeLenInByte = 48
; TotalNumSgprs: 38
; NumVgprs: 41
; ScratchSize: 16
; MemoryBound: 0
; FloatMode: 240
; IeeeMode: 1
; LDSByteSize: 0 bytes/workgroup (compile time only)
; SGPRBlocks: 4
; VGPRBlocks: 10
; NumSGPRsForWavesPerEU: 38
; NumVGPRsForWavesPerEU: 41
; Occupancy: 5
; WaveLimiterHint : 1
; COMPUTE_PGM_RSRC2:SCRATCH_EN: 1
; COMPUTE_PGM_RSRC2:USER_SGPR: 6
; COMPUTE_PGM_RSRC2:TRAP_HANDLER: 0
; COMPUTE_PGM_RSRC2:TGID_X_EN: 1
; COMPUTE_PGM_RSRC2:TGID_Y_EN: 0
; COMPUTE_PGM_RSRC2:TGID_Z_EN: 0
; COMPUTE_PGM_RSRC2:TIDIG_COMP_CNT: 0
	.section	.text._ZL15flash_attn_tileILi64ELi64ELi16ELi2ELb1EEvPKcS1_S1_S1_S1_PKiPfP15HIP_vector_typeIfLj2EEffffjfiS5_IjLj3EEiiiiiiiiiiiliiliiiiil,"axG",@progbits,_ZL15flash_attn_tileILi64ELi64ELi16ELi2ELb1EEvPKcS1_S1_S1_S1_PKiPfP15HIP_vector_typeIfLj2EEffffjfiS5_IjLj3EEiiiiiiiiiiiliiliiiiil,comdat
	.globl	_ZL15flash_attn_tileILi64ELi64ELi16ELi2ELb1EEvPKcS1_S1_S1_S1_PKiPfP15HIP_vector_typeIfLj2EEffffjfiS5_IjLj3EEiiiiiiiiiiiliiliiiiil ; -- Begin function _ZL15flash_attn_tileILi64ELi64ELi16ELi2ELb1EEvPKcS1_S1_S1_S1_PKiPfP15HIP_vector_typeIfLj2EEffffjfiS5_IjLj3EEiiiiiiiiiiiliiliiiiil
	.p2align	8
	.type	_ZL15flash_attn_tileILi64ELi64ELi16ELi2ELb1EEvPKcS1_S1_S1_S1_PKiPfP15HIP_vector_typeIfLj2EEffffjfiS5_IjLj3EEiiiiiiiiiiiliiliiiiil,@function
_ZL15flash_attn_tileILi64ELi64ELi16ELi2ELb1EEvPKcS1_S1_S1_S1_PKiPfP15HIP_vector_typeIfLj2EEffffjfiS5_IjLj3EEiiiiiiiiiiiliiliiiiil: ; @_ZL15flash_attn_tileILi64ELi64ELi16ELi2ELb1EEvPKcS1_S1_S1_S1_PKiPfP15HIP_vector_typeIfLj2EEffffjfiS5_IjLj3EEiiiiiiiiiiiliiliiiiil
; %bb.0:
	s_add_u32 s0, s0, s7
	s_addc_u32 s1, s1, 0
	s_add_u32 s8, s4, 0xd0
	s_addc_u32 s9, s5, 0
	s_getpc_b64 s[4:5]
	s_add_u32 s4, s4, _ZL14no_device_codePKciS0_iS0_@rel32@lo+4
	s_addc_u32 s5, s5, _ZL14no_device_codePKciS0_iS0_@rel32@hi+12
	s_mov_b32 s32, 0
	s_swappc_b64 s[30:31], s[4:5]
	.section	.rodata,"a",@progbits
	.p2align	6, 0x0
	.amdhsa_kernel _ZL15flash_attn_tileILi64ELi64ELi16ELi2ELb1EEvPKcS1_S1_S1_S1_PKiPfP15HIP_vector_typeIfLj2EEffffjfiS5_IjLj3EEiiiiiiiiiiiliiliiiiil
		.amdhsa_group_segment_fixed_size 0
		.amdhsa_private_segment_fixed_size 16
		.amdhsa_kernarg_size 464
		.amdhsa_user_sgpr_count 6
		.amdhsa_user_sgpr_private_segment_buffer 1
		.amdhsa_user_sgpr_dispatch_ptr 0
		.amdhsa_user_sgpr_queue_ptr 0
		.amdhsa_user_sgpr_kernarg_segment_ptr 1
		.amdhsa_user_sgpr_dispatch_id 0
		.amdhsa_user_sgpr_flat_scratch_init 0
		.amdhsa_user_sgpr_private_segment_size 0
		.amdhsa_uses_dynamic_stack 0
		.amdhsa_system_sgpr_private_segment_wavefront_offset 1
		.amdhsa_system_sgpr_workgroup_id_x 1
		.amdhsa_system_sgpr_workgroup_id_y 0
		.amdhsa_system_sgpr_workgroup_id_z 0
		.amdhsa_system_sgpr_workgroup_info 0
		.amdhsa_system_vgpr_workitem_id 0
		.amdhsa_next_free_vgpr 41
		.amdhsa_next_free_sgpr 34
		.amdhsa_reserve_vcc 1
		.amdhsa_reserve_flat_scratch 0
		.amdhsa_float_round_mode_32 0
		.amdhsa_float_round_mode_16_64 0
		.amdhsa_float_denorm_mode_32 3
		.amdhsa_float_denorm_mode_16_64 3
		.amdhsa_dx10_clamp 1
		.amdhsa_ieee_mode 1
		.amdhsa_fp16_overflow 0
		.amdhsa_exception_fp_ieee_invalid_op 0
		.amdhsa_exception_fp_denorm_src 0
		.amdhsa_exception_fp_ieee_div_zero 0
		.amdhsa_exception_fp_ieee_overflow 0
		.amdhsa_exception_fp_ieee_underflow 0
		.amdhsa_exception_fp_ieee_inexact 0
		.amdhsa_exception_int_div_zero 0
	.end_amdhsa_kernel
	.section	.text._ZL15flash_attn_tileILi64ELi64ELi16ELi2ELb1EEvPKcS1_S1_S1_S1_PKiPfP15HIP_vector_typeIfLj2EEffffjfiS5_IjLj3EEiiiiiiiiiiiliiliiiiil,"axG",@progbits,_ZL15flash_attn_tileILi64ELi64ELi16ELi2ELb1EEvPKcS1_S1_S1_S1_PKiPfP15HIP_vector_typeIfLj2EEffffjfiS5_IjLj3EEiiiiiiiiiiiliiliiiiil,comdat
.Lfunc_end84:
	.size	_ZL15flash_attn_tileILi64ELi64ELi16ELi2ELb1EEvPKcS1_S1_S1_S1_PKiPfP15HIP_vector_typeIfLj2EEffffjfiS5_IjLj3EEiiiiiiiiiiiliiliiiiil, .Lfunc_end84-_ZL15flash_attn_tileILi64ELi64ELi16ELi2ELb1EEvPKcS1_S1_S1_S1_PKiPfP15HIP_vector_typeIfLj2EEffffjfiS5_IjLj3EEiiiiiiiiiiiliiliiiiil
                                        ; -- End function
	.set _ZL15flash_attn_tileILi64ELi64ELi16ELi2ELb1EEvPKcS1_S1_S1_S1_PKiPfP15HIP_vector_typeIfLj2EEffffjfiS5_IjLj3EEiiiiiiiiiiiliiliiiiil.num_vgpr, max(0, .L_ZL14no_device_codePKciS0_iS0_.num_vgpr)
	.set _ZL15flash_attn_tileILi64ELi64ELi16ELi2ELb1EEvPKcS1_S1_S1_S1_PKiPfP15HIP_vector_typeIfLj2EEffffjfiS5_IjLj3EEiiiiiiiiiiiliiliiiiil.num_agpr, max(0, .L_ZL14no_device_codePKciS0_iS0_.num_agpr)
	.set _ZL15flash_attn_tileILi64ELi64ELi16ELi2ELb1EEvPKcS1_S1_S1_S1_PKiPfP15HIP_vector_typeIfLj2EEffffjfiS5_IjLj3EEiiiiiiiiiiiliiliiiiil.numbered_sgpr, max(33, .L_ZL14no_device_codePKciS0_iS0_.numbered_sgpr)
	.set _ZL15flash_attn_tileILi64ELi64ELi16ELi2ELb1EEvPKcS1_S1_S1_S1_PKiPfP15HIP_vector_typeIfLj2EEffffjfiS5_IjLj3EEiiiiiiiiiiiliiliiiiil.num_named_barrier, max(0, .L_ZL14no_device_codePKciS0_iS0_.num_named_barrier)
	.set _ZL15flash_attn_tileILi64ELi64ELi16ELi2ELb1EEvPKcS1_S1_S1_S1_PKiPfP15HIP_vector_typeIfLj2EEffffjfiS5_IjLj3EEiiiiiiiiiiiliiliiiiil.private_seg_size, 0+max(.L_ZL14no_device_codePKciS0_iS0_.private_seg_size)
	.set _ZL15flash_attn_tileILi64ELi64ELi16ELi2ELb1EEvPKcS1_S1_S1_S1_PKiPfP15HIP_vector_typeIfLj2EEffffjfiS5_IjLj3EEiiiiiiiiiiiliiliiiiil.uses_vcc, or(1, .L_ZL14no_device_codePKciS0_iS0_.uses_vcc)
	.set _ZL15flash_attn_tileILi64ELi64ELi16ELi2ELb1EEvPKcS1_S1_S1_S1_PKiPfP15HIP_vector_typeIfLj2EEffffjfiS5_IjLj3EEiiiiiiiiiiiliiliiiiil.uses_flat_scratch, or(0, .L_ZL14no_device_codePKciS0_iS0_.uses_flat_scratch)
	.set _ZL15flash_attn_tileILi64ELi64ELi16ELi2ELb1EEvPKcS1_S1_S1_S1_PKiPfP15HIP_vector_typeIfLj2EEffffjfiS5_IjLj3EEiiiiiiiiiiiliiliiiiil.has_dyn_sized_stack, or(0, .L_ZL14no_device_codePKciS0_iS0_.has_dyn_sized_stack)
	.set _ZL15flash_attn_tileILi64ELi64ELi16ELi2ELb1EEvPKcS1_S1_S1_S1_PKiPfP15HIP_vector_typeIfLj2EEffffjfiS5_IjLj3EEiiiiiiiiiiiliiliiiiil.has_recursion, or(0, .L_ZL14no_device_codePKciS0_iS0_.has_recursion)
	.set _ZL15flash_attn_tileILi64ELi64ELi16ELi2ELb1EEvPKcS1_S1_S1_S1_PKiPfP15HIP_vector_typeIfLj2EEffffjfiS5_IjLj3EEiiiiiiiiiiiliiliiiiil.has_indirect_call, or(0, .L_ZL14no_device_codePKciS0_iS0_.has_indirect_call)
	.section	.AMDGPU.csdata,"",@progbits
; Kernel info:
; codeLenInByte = 48
; TotalNumSgprs: 38
; NumVgprs: 41
; ScratchSize: 16
; MemoryBound: 0
; FloatMode: 240
; IeeeMode: 1
; LDSByteSize: 0 bytes/workgroup (compile time only)
; SGPRBlocks: 4
; VGPRBlocks: 10
; NumSGPRsForWavesPerEU: 38
; NumVGPRsForWavesPerEU: 41
; Occupancy: 5
; WaveLimiterHint : 1
; COMPUTE_PGM_RSRC2:SCRATCH_EN: 1
; COMPUTE_PGM_RSRC2:USER_SGPR: 6
; COMPUTE_PGM_RSRC2:TRAP_HANDLER: 0
; COMPUTE_PGM_RSRC2:TGID_X_EN: 1
; COMPUTE_PGM_RSRC2:TGID_Y_EN: 0
; COMPUTE_PGM_RSRC2:TGID_Z_EN: 0
; COMPUTE_PGM_RSRC2:TIDIG_COMP_CNT: 0
	.section	.text._ZL15flash_attn_tileILi64ELi64ELi8ELi2ELb1EEvPKcS1_S1_S1_S1_PKiPfP15HIP_vector_typeIfLj2EEffffjfiS5_IjLj3EEiiiiiiiiiiiliiliiiiil,"axG",@progbits,_ZL15flash_attn_tileILi64ELi64ELi8ELi2ELb1EEvPKcS1_S1_S1_S1_PKiPfP15HIP_vector_typeIfLj2EEffffjfiS5_IjLj3EEiiiiiiiiiiiliiliiiiil,comdat
	.globl	_ZL15flash_attn_tileILi64ELi64ELi8ELi2ELb1EEvPKcS1_S1_S1_S1_PKiPfP15HIP_vector_typeIfLj2EEffffjfiS5_IjLj3EEiiiiiiiiiiiliiliiiiil ; -- Begin function _ZL15flash_attn_tileILi64ELi64ELi8ELi2ELb1EEvPKcS1_S1_S1_S1_PKiPfP15HIP_vector_typeIfLj2EEffffjfiS5_IjLj3EEiiiiiiiiiiiliiliiiiil
	.p2align	8
	.type	_ZL15flash_attn_tileILi64ELi64ELi8ELi2ELb1EEvPKcS1_S1_S1_S1_PKiPfP15HIP_vector_typeIfLj2EEffffjfiS5_IjLj3EEiiiiiiiiiiiliiliiiiil,@function
_ZL15flash_attn_tileILi64ELi64ELi8ELi2ELb1EEvPKcS1_S1_S1_S1_PKiPfP15HIP_vector_typeIfLj2EEffffjfiS5_IjLj3EEiiiiiiiiiiiliiliiiiil: ; @_ZL15flash_attn_tileILi64ELi64ELi8ELi2ELb1EEvPKcS1_S1_S1_S1_PKiPfP15HIP_vector_typeIfLj2EEffffjfiS5_IjLj3EEiiiiiiiiiiiliiliiiiil
; %bb.0:
	s_add_u32 s0, s0, s7
	s_addc_u32 s1, s1, 0
	s_add_u32 s8, s4, 0xd0
	s_addc_u32 s9, s5, 0
	s_getpc_b64 s[4:5]
	s_add_u32 s4, s4, _ZL14no_device_codePKciS0_iS0_@rel32@lo+4
	s_addc_u32 s5, s5, _ZL14no_device_codePKciS0_iS0_@rel32@hi+12
	s_mov_b32 s32, 0
	s_swappc_b64 s[30:31], s[4:5]
	.section	.rodata,"a",@progbits
	.p2align	6, 0x0
	.amdhsa_kernel _ZL15flash_attn_tileILi64ELi64ELi8ELi2ELb1EEvPKcS1_S1_S1_S1_PKiPfP15HIP_vector_typeIfLj2EEffffjfiS5_IjLj3EEiiiiiiiiiiiliiliiiiil
		.amdhsa_group_segment_fixed_size 0
		.amdhsa_private_segment_fixed_size 16
		.amdhsa_kernarg_size 464
		.amdhsa_user_sgpr_count 6
		.amdhsa_user_sgpr_private_segment_buffer 1
		.amdhsa_user_sgpr_dispatch_ptr 0
		.amdhsa_user_sgpr_queue_ptr 0
		.amdhsa_user_sgpr_kernarg_segment_ptr 1
		.amdhsa_user_sgpr_dispatch_id 0
		.amdhsa_user_sgpr_flat_scratch_init 0
		.amdhsa_user_sgpr_private_segment_size 0
		.amdhsa_uses_dynamic_stack 0
		.amdhsa_system_sgpr_private_segment_wavefront_offset 1
		.amdhsa_system_sgpr_workgroup_id_x 1
		.amdhsa_system_sgpr_workgroup_id_y 0
		.amdhsa_system_sgpr_workgroup_id_z 0
		.amdhsa_system_sgpr_workgroup_info 0
		.amdhsa_system_vgpr_workitem_id 0
		.amdhsa_next_free_vgpr 41
		.amdhsa_next_free_sgpr 34
		.amdhsa_reserve_vcc 1
		.amdhsa_reserve_flat_scratch 0
		.amdhsa_float_round_mode_32 0
		.amdhsa_float_round_mode_16_64 0
		.amdhsa_float_denorm_mode_32 3
		.amdhsa_float_denorm_mode_16_64 3
		.amdhsa_dx10_clamp 1
		.amdhsa_ieee_mode 1
		.amdhsa_fp16_overflow 0
		.amdhsa_exception_fp_ieee_invalid_op 0
		.amdhsa_exception_fp_denorm_src 0
		.amdhsa_exception_fp_ieee_div_zero 0
		.amdhsa_exception_fp_ieee_overflow 0
		.amdhsa_exception_fp_ieee_underflow 0
		.amdhsa_exception_fp_ieee_inexact 0
		.amdhsa_exception_int_div_zero 0
	.end_amdhsa_kernel
	.section	.text._ZL15flash_attn_tileILi64ELi64ELi8ELi2ELb1EEvPKcS1_S1_S1_S1_PKiPfP15HIP_vector_typeIfLj2EEffffjfiS5_IjLj3EEiiiiiiiiiiiliiliiiiil,"axG",@progbits,_ZL15flash_attn_tileILi64ELi64ELi8ELi2ELb1EEvPKcS1_S1_S1_S1_PKiPfP15HIP_vector_typeIfLj2EEffffjfiS5_IjLj3EEiiiiiiiiiiiliiliiiiil,comdat
.Lfunc_end85:
	.size	_ZL15flash_attn_tileILi64ELi64ELi8ELi2ELb1EEvPKcS1_S1_S1_S1_PKiPfP15HIP_vector_typeIfLj2EEffffjfiS5_IjLj3EEiiiiiiiiiiiliiliiiiil, .Lfunc_end85-_ZL15flash_attn_tileILi64ELi64ELi8ELi2ELb1EEvPKcS1_S1_S1_S1_PKiPfP15HIP_vector_typeIfLj2EEffffjfiS5_IjLj3EEiiiiiiiiiiiliiliiiiil
                                        ; -- End function
	.set _ZL15flash_attn_tileILi64ELi64ELi8ELi2ELb1EEvPKcS1_S1_S1_S1_PKiPfP15HIP_vector_typeIfLj2EEffffjfiS5_IjLj3EEiiiiiiiiiiiliiliiiiil.num_vgpr, max(0, .L_ZL14no_device_codePKciS0_iS0_.num_vgpr)
	.set _ZL15flash_attn_tileILi64ELi64ELi8ELi2ELb1EEvPKcS1_S1_S1_S1_PKiPfP15HIP_vector_typeIfLj2EEffffjfiS5_IjLj3EEiiiiiiiiiiiliiliiiiil.num_agpr, max(0, .L_ZL14no_device_codePKciS0_iS0_.num_agpr)
	.set _ZL15flash_attn_tileILi64ELi64ELi8ELi2ELb1EEvPKcS1_S1_S1_S1_PKiPfP15HIP_vector_typeIfLj2EEffffjfiS5_IjLj3EEiiiiiiiiiiiliiliiiiil.numbered_sgpr, max(33, .L_ZL14no_device_codePKciS0_iS0_.numbered_sgpr)
	.set _ZL15flash_attn_tileILi64ELi64ELi8ELi2ELb1EEvPKcS1_S1_S1_S1_PKiPfP15HIP_vector_typeIfLj2EEffffjfiS5_IjLj3EEiiiiiiiiiiiliiliiiiil.num_named_barrier, max(0, .L_ZL14no_device_codePKciS0_iS0_.num_named_barrier)
	.set _ZL15flash_attn_tileILi64ELi64ELi8ELi2ELb1EEvPKcS1_S1_S1_S1_PKiPfP15HIP_vector_typeIfLj2EEffffjfiS5_IjLj3EEiiiiiiiiiiiliiliiiiil.private_seg_size, 0+max(.L_ZL14no_device_codePKciS0_iS0_.private_seg_size)
	.set _ZL15flash_attn_tileILi64ELi64ELi8ELi2ELb1EEvPKcS1_S1_S1_S1_PKiPfP15HIP_vector_typeIfLj2EEffffjfiS5_IjLj3EEiiiiiiiiiiiliiliiiiil.uses_vcc, or(1, .L_ZL14no_device_codePKciS0_iS0_.uses_vcc)
	.set _ZL15flash_attn_tileILi64ELi64ELi8ELi2ELb1EEvPKcS1_S1_S1_S1_PKiPfP15HIP_vector_typeIfLj2EEffffjfiS5_IjLj3EEiiiiiiiiiiiliiliiiiil.uses_flat_scratch, or(0, .L_ZL14no_device_codePKciS0_iS0_.uses_flat_scratch)
	.set _ZL15flash_attn_tileILi64ELi64ELi8ELi2ELb1EEvPKcS1_S1_S1_S1_PKiPfP15HIP_vector_typeIfLj2EEffffjfiS5_IjLj3EEiiiiiiiiiiiliiliiiiil.has_dyn_sized_stack, or(0, .L_ZL14no_device_codePKciS0_iS0_.has_dyn_sized_stack)
	.set _ZL15flash_attn_tileILi64ELi64ELi8ELi2ELb1EEvPKcS1_S1_S1_S1_PKiPfP15HIP_vector_typeIfLj2EEffffjfiS5_IjLj3EEiiiiiiiiiiiliiliiiiil.has_recursion, or(0, .L_ZL14no_device_codePKciS0_iS0_.has_recursion)
	.set _ZL15flash_attn_tileILi64ELi64ELi8ELi2ELb1EEvPKcS1_S1_S1_S1_PKiPfP15HIP_vector_typeIfLj2EEffffjfiS5_IjLj3EEiiiiiiiiiiiliiliiiiil.has_indirect_call, or(0, .L_ZL14no_device_codePKciS0_iS0_.has_indirect_call)
	.section	.AMDGPU.csdata,"",@progbits
; Kernel info:
; codeLenInByte = 48
; TotalNumSgprs: 38
; NumVgprs: 41
; ScratchSize: 16
; MemoryBound: 0
; FloatMode: 240
; IeeeMode: 1
; LDSByteSize: 0 bytes/workgroup (compile time only)
; SGPRBlocks: 4
; VGPRBlocks: 10
; NumSGPRsForWavesPerEU: 38
; NumVGPRsForWavesPerEU: 41
; Occupancy: 5
; WaveLimiterHint : 1
; COMPUTE_PGM_RSRC2:SCRATCH_EN: 1
; COMPUTE_PGM_RSRC2:USER_SGPR: 6
; COMPUTE_PGM_RSRC2:TRAP_HANDLER: 0
; COMPUTE_PGM_RSRC2:TGID_X_EN: 1
; COMPUTE_PGM_RSRC2:TGID_Y_EN: 0
; COMPUTE_PGM_RSRC2:TGID_Z_EN: 0
; COMPUTE_PGM_RSRC2:TIDIG_COMP_CNT: 0
	.section	.text._ZL15flash_attn_tileILi64ELi64ELi4ELi2ELb1EEvPKcS1_S1_S1_S1_PKiPfP15HIP_vector_typeIfLj2EEffffjfiS5_IjLj3EEiiiiiiiiiiiliiliiiiil,"axG",@progbits,_ZL15flash_attn_tileILi64ELi64ELi4ELi2ELb1EEvPKcS1_S1_S1_S1_PKiPfP15HIP_vector_typeIfLj2EEffffjfiS5_IjLj3EEiiiiiiiiiiiliiliiiiil,comdat
	.globl	_ZL15flash_attn_tileILi64ELi64ELi4ELi2ELb1EEvPKcS1_S1_S1_S1_PKiPfP15HIP_vector_typeIfLj2EEffffjfiS5_IjLj3EEiiiiiiiiiiiliiliiiiil ; -- Begin function _ZL15flash_attn_tileILi64ELi64ELi4ELi2ELb1EEvPKcS1_S1_S1_S1_PKiPfP15HIP_vector_typeIfLj2EEffffjfiS5_IjLj3EEiiiiiiiiiiiliiliiiiil
	.p2align	8
	.type	_ZL15flash_attn_tileILi64ELi64ELi4ELi2ELb1EEvPKcS1_S1_S1_S1_PKiPfP15HIP_vector_typeIfLj2EEffffjfiS5_IjLj3EEiiiiiiiiiiiliiliiiiil,@function
_ZL15flash_attn_tileILi64ELi64ELi4ELi2ELb1EEvPKcS1_S1_S1_S1_PKiPfP15HIP_vector_typeIfLj2EEffffjfiS5_IjLj3EEiiiiiiiiiiiliiliiiiil: ; @_ZL15flash_attn_tileILi64ELi64ELi4ELi2ELb1EEvPKcS1_S1_S1_S1_PKiPfP15HIP_vector_typeIfLj2EEffffjfiS5_IjLj3EEiiiiiiiiiiiliiliiiiil
; %bb.0:
	s_add_u32 s0, s0, s7
	s_addc_u32 s1, s1, 0
	s_add_u32 s8, s4, 0xd0
	s_addc_u32 s9, s5, 0
	s_getpc_b64 s[4:5]
	s_add_u32 s4, s4, _ZL14no_device_codePKciS0_iS0_@rel32@lo+4
	s_addc_u32 s5, s5, _ZL14no_device_codePKciS0_iS0_@rel32@hi+12
	s_mov_b32 s32, 0
	s_swappc_b64 s[30:31], s[4:5]
	.section	.rodata,"a",@progbits
	.p2align	6, 0x0
	.amdhsa_kernel _ZL15flash_attn_tileILi64ELi64ELi4ELi2ELb1EEvPKcS1_S1_S1_S1_PKiPfP15HIP_vector_typeIfLj2EEffffjfiS5_IjLj3EEiiiiiiiiiiiliiliiiiil
		.amdhsa_group_segment_fixed_size 0
		.amdhsa_private_segment_fixed_size 16
		.amdhsa_kernarg_size 464
		.amdhsa_user_sgpr_count 6
		.amdhsa_user_sgpr_private_segment_buffer 1
		.amdhsa_user_sgpr_dispatch_ptr 0
		.amdhsa_user_sgpr_queue_ptr 0
		.amdhsa_user_sgpr_kernarg_segment_ptr 1
		.amdhsa_user_sgpr_dispatch_id 0
		.amdhsa_user_sgpr_flat_scratch_init 0
		.amdhsa_user_sgpr_private_segment_size 0
		.amdhsa_uses_dynamic_stack 0
		.amdhsa_system_sgpr_private_segment_wavefront_offset 1
		.amdhsa_system_sgpr_workgroup_id_x 1
		.amdhsa_system_sgpr_workgroup_id_y 0
		.amdhsa_system_sgpr_workgroup_id_z 0
		.amdhsa_system_sgpr_workgroup_info 0
		.amdhsa_system_vgpr_workitem_id 0
		.amdhsa_next_free_vgpr 41
		.amdhsa_next_free_sgpr 34
		.amdhsa_reserve_vcc 1
		.amdhsa_reserve_flat_scratch 0
		.amdhsa_float_round_mode_32 0
		.amdhsa_float_round_mode_16_64 0
		.amdhsa_float_denorm_mode_32 3
		.amdhsa_float_denorm_mode_16_64 3
		.amdhsa_dx10_clamp 1
		.amdhsa_ieee_mode 1
		.amdhsa_fp16_overflow 0
		.amdhsa_exception_fp_ieee_invalid_op 0
		.amdhsa_exception_fp_denorm_src 0
		.amdhsa_exception_fp_ieee_div_zero 0
		.amdhsa_exception_fp_ieee_overflow 0
		.amdhsa_exception_fp_ieee_underflow 0
		.amdhsa_exception_fp_ieee_inexact 0
		.amdhsa_exception_int_div_zero 0
	.end_amdhsa_kernel
	.section	.text._ZL15flash_attn_tileILi64ELi64ELi4ELi2ELb1EEvPKcS1_S1_S1_S1_PKiPfP15HIP_vector_typeIfLj2EEffffjfiS5_IjLj3EEiiiiiiiiiiiliiliiiiil,"axG",@progbits,_ZL15flash_attn_tileILi64ELi64ELi4ELi2ELb1EEvPKcS1_S1_S1_S1_PKiPfP15HIP_vector_typeIfLj2EEffffjfiS5_IjLj3EEiiiiiiiiiiiliiliiiiil,comdat
.Lfunc_end86:
	.size	_ZL15flash_attn_tileILi64ELi64ELi4ELi2ELb1EEvPKcS1_S1_S1_S1_PKiPfP15HIP_vector_typeIfLj2EEffffjfiS5_IjLj3EEiiiiiiiiiiiliiliiiiil, .Lfunc_end86-_ZL15flash_attn_tileILi64ELi64ELi4ELi2ELb1EEvPKcS1_S1_S1_S1_PKiPfP15HIP_vector_typeIfLj2EEffffjfiS5_IjLj3EEiiiiiiiiiiiliiliiiiil
                                        ; -- End function
	.set _ZL15flash_attn_tileILi64ELi64ELi4ELi2ELb1EEvPKcS1_S1_S1_S1_PKiPfP15HIP_vector_typeIfLj2EEffffjfiS5_IjLj3EEiiiiiiiiiiiliiliiiiil.num_vgpr, max(0, .L_ZL14no_device_codePKciS0_iS0_.num_vgpr)
	.set _ZL15flash_attn_tileILi64ELi64ELi4ELi2ELb1EEvPKcS1_S1_S1_S1_PKiPfP15HIP_vector_typeIfLj2EEffffjfiS5_IjLj3EEiiiiiiiiiiiliiliiiiil.num_agpr, max(0, .L_ZL14no_device_codePKciS0_iS0_.num_agpr)
	.set _ZL15flash_attn_tileILi64ELi64ELi4ELi2ELb1EEvPKcS1_S1_S1_S1_PKiPfP15HIP_vector_typeIfLj2EEffffjfiS5_IjLj3EEiiiiiiiiiiiliiliiiiil.numbered_sgpr, max(33, .L_ZL14no_device_codePKciS0_iS0_.numbered_sgpr)
	.set _ZL15flash_attn_tileILi64ELi64ELi4ELi2ELb1EEvPKcS1_S1_S1_S1_PKiPfP15HIP_vector_typeIfLj2EEffffjfiS5_IjLj3EEiiiiiiiiiiiliiliiiiil.num_named_barrier, max(0, .L_ZL14no_device_codePKciS0_iS0_.num_named_barrier)
	.set _ZL15flash_attn_tileILi64ELi64ELi4ELi2ELb1EEvPKcS1_S1_S1_S1_PKiPfP15HIP_vector_typeIfLj2EEffffjfiS5_IjLj3EEiiiiiiiiiiiliiliiiiil.private_seg_size, 0+max(.L_ZL14no_device_codePKciS0_iS0_.private_seg_size)
	.set _ZL15flash_attn_tileILi64ELi64ELi4ELi2ELb1EEvPKcS1_S1_S1_S1_PKiPfP15HIP_vector_typeIfLj2EEffffjfiS5_IjLj3EEiiiiiiiiiiiliiliiiiil.uses_vcc, or(1, .L_ZL14no_device_codePKciS0_iS0_.uses_vcc)
	.set _ZL15flash_attn_tileILi64ELi64ELi4ELi2ELb1EEvPKcS1_S1_S1_S1_PKiPfP15HIP_vector_typeIfLj2EEffffjfiS5_IjLj3EEiiiiiiiiiiiliiliiiiil.uses_flat_scratch, or(0, .L_ZL14no_device_codePKciS0_iS0_.uses_flat_scratch)
	.set _ZL15flash_attn_tileILi64ELi64ELi4ELi2ELb1EEvPKcS1_S1_S1_S1_PKiPfP15HIP_vector_typeIfLj2EEffffjfiS5_IjLj3EEiiiiiiiiiiiliiliiiiil.has_dyn_sized_stack, or(0, .L_ZL14no_device_codePKciS0_iS0_.has_dyn_sized_stack)
	.set _ZL15flash_attn_tileILi64ELi64ELi4ELi2ELb1EEvPKcS1_S1_S1_S1_PKiPfP15HIP_vector_typeIfLj2EEffffjfiS5_IjLj3EEiiiiiiiiiiiliiliiiiil.has_recursion, or(0, .L_ZL14no_device_codePKciS0_iS0_.has_recursion)
	.set _ZL15flash_attn_tileILi64ELi64ELi4ELi2ELb1EEvPKcS1_S1_S1_S1_PKiPfP15HIP_vector_typeIfLj2EEffffjfiS5_IjLj3EEiiiiiiiiiiiliiliiiiil.has_indirect_call, or(0, .L_ZL14no_device_codePKciS0_iS0_.has_indirect_call)
	.section	.AMDGPU.csdata,"",@progbits
; Kernel info:
; codeLenInByte = 48
; TotalNumSgprs: 38
; NumVgprs: 41
; ScratchSize: 16
; MemoryBound: 0
; FloatMode: 240
; IeeeMode: 1
; LDSByteSize: 0 bytes/workgroup (compile time only)
; SGPRBlocks: 4
; VGPRBlocks: 10
; NumSGPRsForWavesPerEU: 38
; NumVGPRsForWavesPerEU: 41
; Occupancy: 5
; WaveLimiterHint : 1
; COMPUTE_PGM_RSRC2:SCRATCH_EN: 1
; COMPUTE_PGM_RSRC2:USER_SGPR: 6
; COMPUTE_PGM_RSRC2:TRAP_HANDLER: 0
; COMPUTE_PGM_RSRC2:TGID_X_EN: 1
; COMPUTE_PGM_RSRC2:TGID_Y_EN: 0
; COMPUTE_PGM_RSRC2:TGID_Z_EN: 0
; COMPUTE_PGM_RSRC2:TIDIG_COMP_CNT: 0
	.section	.text._ZL15flash_attn_tileILi64ELi64ELi2ELi2ELb1EEvPKcS1_S1_S1_S1_PKiPfP15HIP_vector_typeIfLj2EEffffjfiS5_IjLj3EEiiiiiiiiiiiliiliiiiil,"axG",@progbits,_ZL15flash_attn_tileILi64ELi64ELi2ELi2ELb1EEvPKcS1_S1_S1_S1_PKiPfP15HIP_vector_typeIfLj2EEffffjfiS5_IjLj3EEiiiiiiiiiiiliiliiiiil,comdat
	.globl	_ZL15flash_attn_tileILi64ELi64ELi2ELi2ELb1EEvPKcS1_S1_S1_S1_PKiPfP15HIP_vector_typeIfLj2EEffffjfiS5_IjLj3EEiiiiiiiiiiiliiliiiiil ; -- Begin function _ZL15flash_attn_tileILi64ELi64ELi2ELi2ELb1EEvPKcS1_S1_S1_S1_PKiPfP15HIP_vector_typeIfLj2EEffffjfiS5_IjLj3EEiiiiiiiiiiiliiliiiiil
	.p2align	8
	.type	_ZL15flash_attn_tileILi64ELi64ELi2ELi2ELb1EEvPKcS1_S1_S1_S1_PKiPfP15HIP_vector_typeIfLj2EEffffjfiS5_IjLj3EEiiiiiiiiiiiliiliiiiil,@function
_ZL15flash_attn_tileILi64ELi64ELi2ELi2ELb1EEvPKcS1_S1_S1_S1_PKiPfP15HIP_vector_typeIfLj2EEffffjfiS5_IjLj3EEiiiiiiiiiiiliiliiiiil: ; @_ZL15flash_attn_tileILi64ELi64ELi2ELi2ELb1EEvPKcS1_S1_S1_S1_PKiPfP15HIP_vector_typeIfLj2EEffffjfiS5_IjLj3EEiiiiiiiiiiiliiliiiiil
; %bb.0:
	s_add_u32 s0, s0, s7
	s_addc_u32 s1, s1, 0
	s_add_u32 s8, s4, 0xd0
	s_addc_u32 s9, s5, 0
	s_getpc_b64 s[4:5]
	s_add_u32 s4, s4, _ZL14no_device_codePKciS0_iS0_@rel32@lo+4
	s_addc_u32 s5, s5, _ZL14no_device_codePKciS0_iS0_@rel32@hi+12
	s_mov_b32 s32, 0
	s_swappc_b64 s[30:31], s[4:5]
	.section	.rodata,"a",@progbits
	.p2align	6, 0x0
	.amdhsa_kernel _ZL15flash_attn_tileILi64ELi64ELi2ELi2ELb1EEvPKcS1_S1_S1_S1_PKiPfP15HIP_vector_typeIfLj2EEffffjfiS5_IjLj3EEiiiiiiiiiiiliiliiiiil
		.amdhsa_group_segment_fixed_size 0
		.amdhsa_private_segment_fixed_size 16
		.amdhsa_kernarg_size 464
		.amdhsa_user_sgpr_count 6
		.amdhsa_user_sgpr_private_segment_buffer 1
		.amdhsa_user_sgpr_dispatch_ptr 0
		.amdhsa_user_sgpr_queue_ptr 0
		.amdhsa_user_sgpr_kernarg_segment_ptr 1
		.amdhsa_user_sgpr_dispatch_id 0
		.amdhsa_user_sgpr_flat_scratch_init 0
		.amdhsa_user_sgpr_private_segment_size 0
		.amdhsa_uses_dynamic_stack 0
		.amdhsa_system_sgpr_private_segment_wavefront_offset 1
		.amdhsa_system_sgpr_workgroup_id_x 1
		.amdhsa_system_sgpr_workgroup_id_y 0
		.amdhsa_system_sgpr_workgroup_id_z 0
		.amdhsa_system_sgpr_workgroup_info 0
		.amdhsa_system_vgpr_workitem_id 0
		.amdhsa_next_free_vgpr 41
		.amdhsa_next_free_sgpr 34
		.amdhsa_reserve_vcc 1
		.amdhsa_reserve_flat_scratch 0
		.amdhsa_float_round_mode_32 0
		.amdhsa_float_round_mode_16_64 0
		.amdhsa_float_denorm_mode_32 3
		.amdhsa_float_denorm_mode_16_64 3
		.amdhsa_dx10_clamp 1
		.amdhsa_ieee_mode 1
		.amdhsa_fp16_overflow 0
		.amdhsa_exception_fp_ieee_invalid_op 0
		.amdhsa_exception_fp_denorm_src 0
		.amdhsa_exception_fp_ieee_div_zero 0
		.amdhsa_exception_fp_ieee_overflow 0
		.amdhsa_exception_fp_ieee_underflow 0
		.amdhsa_exception_fp_ieee_inexact 0
		.amdhsa_exception_int_div_zero 0
	.end_amdhsa_kernel
	.section	.text._ZL15flash_attn_tileILi64ELi64ELi2ELi2ELb1EEvPKcS1_S1_S1_S1_PKiPfP15HIP_vector_typeIfLj2EEffffjfiS5_IjLj3EEiiiiiiiiiiiliiliiiiil,"axG",@progbits,_ZL15flash_attn_tileILi64ELi64ELi2ELi2ELb1EEvPKcS1_S1_S1_S1_PKiPfP15HIP_vector_typeIfLj2EEffffjfiS5_IjLj3EEiiiiiiiiiiiliiliiiiil,comdat
.Lfunc_end87:
	.size	_ZL15flash_attn_tileILi64ELi64ELi2ELi2ELb1EEvPKcS1_S1_S1_S1_PKiPfP15HIP_vector_typeIfLj2EEffffjfiS5_IjLj3EEiiiiiiiiiiiliiliiiiil, .Lfunc_end87-_ZL15flash_attn_tileILi64ELi64ELi2ELi2ELb1EEvPKcS1_S1_S1_S1_PKiPfP15HIP_vector_typeIfLj2EEffffjfiS5_IjLj3EEiiiiiiiiiiiliiliiiiil
                                        ; -- End function
	.set _ZL15flash_attn_tileILi64ELi64ELi2ELi2ELb1EEvPKcS1_S1_S1_S1_PKiPfP15HIP_vector_typeIfLj2EEffffjfiS5_IjLj3EEiiiiiiiiiiiliiliiiiil.num_vgpr, max(0, .L_ZL14no_device_codePKciS0_iS0_.num_vgpr)
	.set _ZL15flash_attn_tileILi64ELi64ELi2ELi2ELb1EEvPKcS1_S1_S1_S1_PKiPfP15HIP_vector_typeIfLj2EEffffjfiS5_IjLj3EEiiiiiiiiiiiliiliiiiil.num_agpr, max(0, .L_ZL14no_device_codePKciS0_iS0_.num_agpr)
	.set _ZL15flash_attn_tileILi64ELi64ELi2ELi2ELb1EEvPKcS1_S1_S1_S1_PKiPfP15HIP_vector_typeIfLj2EEffffjfiS5_IjLj3EEiiiiiiiiiiiliiliiiiil.numbered_sgpr, max(33, .L_ZL14no_device_codePKciS0_iS0_.numbered_sgpr)
	.set _ZL15flash_attn_tileILi64ELi64ELi2ELi2ELb1EEvPKcS1_S1_S1_S1_PKiPfP15HIP_vector_typeIfLj2EEffffjfiS5_IjLj3EEiiiiiiiiiiiliiliiiiil.num_named_barrier, max(0, .L_ZL14no_device_codePKciS0_iS0_.num_named_barrier)
	.set _ZL15flash_attn_tileILi64ELi64ELi2ELi2ELb1EEvPKcS1_S1_S1_S1_PKiPfP15HIP_vector_typeIfLj2EEffffjfiS5_IjLj3EEiiiiiiiiiiiliiliiiiil.private_seg_size, 0+max(.L_ZL14no_device_codePKciS0_iS0_.private_seg_size)
	.set _ZL15flash_attn_tileILi64ELi64ELi2ELi2ELb1EEvPKcS1_S1_S1_S1_PKiPfP15HIP_vector_typeIfLj2EEffffjfiS5_IjLj3EEiiiiiiiiiiiliiliiiiil.uses_vcc, or(1, .L_ZL14no_device_codePKciS0_iS0_.uses_vcc)
	.set _ZL15flash_attn_tileILi64ELi64ELi2ELi2ELb1EEvPKcS1_S1_S1_S1_PKiPfP15HIP_vector_typeIfLj2EEffffjfiS5_IjLj3EEiiiiiiiiiiiliiliiiiil.uses_flat_scratch, or(0, .L_ZL14no_device_codePKciS0_iS0_.uses_flat_scratch)
	.set _ZL15flash_attn_tileILi64ELi64ELi2ELi2ELb1EEvPKcS1_S1_S1_S1_PKiPfP15HIP_vector_typeIfLj2EEffffjfiS5_IjLj3EEiiiiiiiiiiiliiliiiiil.has_dyn_sized_stack, or(0, .L_ZL14no_device_codePKciS0_iS0_.has_dyn_sized_stack)
	.set _ZL15flash_attn_tileILi64ELi64ELi2ELi2ELb1EEvPKcS1_S1_S1_S1_PKiPfP15HIP_vector_typeIfLj2EEffffjfiS5_IjLj3EEiiiiiiiiiiiliiliiiiil.has_recursion, or(0, .L_ZL14no_device_codePKciS0_iS0_.has_recursion)
	.set _ZL15flash_attn_tileILi64ELi64ELi2ELi2ELb1EEvPKcS1_S1_S1_S1_PKiPfP15HIP_vector_typeIfLj2EEffffjfiS5_IjLj3EEiiiiiiiiiiiliiliiiiil.has_indirect_call, or(0, .L_ZL14no_device_codePKciS0_iS0_.has_indirect_call)
	.section	.AMDGPU.csdata,"",@progbits
; Kernel info:
; codeLenInByte = 48
; TotalNumSgprs: 38
; NumVgprs: 41
; ScratchSize: 16
; MemoryBound: 0
; FloatMode: 240
; IeeeMode: 1
; LDSByteSize: 0 bytes/workgroup (compile time only)
; SGPRBlocks: 4
; VGPRBlocks: 10
; NumSGPRsForWavesPerEU: 38
; NumVGPRsForWavesPerEU: 41
; Occupancy: 5
; WaveLimiterHint : 1
; COMPUTE_PGM_RSRC2:SCRATCH_EN: 1
; COMPUTE_PGM_RSRC2:USER_SGPR: 6
; COMPUTE_PGM_RSRC2:TRAP_HANDLER: 0
; COMPUTE_PGM_RSRC2:TGID_X_EN: 1
; COMPUTE_PGM_RSRC2:TGID_Y_EN: 0
; COMPUTE_PGM_RSRC2:TGID_Z_EN: 0
; COMPUTE_PGM_RSRC2:TIDIG_COMP_CNT: 0
	.section	.text._ZL15flash_attn_tileILi64ELi64ELi1ELi2ELb1EEvPKcS1_S1_S1_S1_PKiPfP15HIP_vector_typeIfLj2EEffffjfiS5_IjLj3EEiiiiiiiiiiiliiliiiiil,"axG",@progbits,_ZL15flash_attn_tileILi64ELi64ELi1ELi2ELb1EEvPKcS1_S1_S1_S1_PKiPfP15HIP_vector_typeIfLj2EEffffjfiS5_IjLj3EEiiiiiiiiiiiliiliiiiil,comdat
	.globl	_ZL15flash_attn_tileILi64ELi64ELi1ELi2ELb1EEvPKcS1_S1_S1_S1_PKiPfP15HIP_vector_typeIfLj2EEffffjfiS5_IjLj3EEiiiiiiiiiiiliiliiiiil ; -- Begin function _ZL15flash_attn_tileILi64ELi64ELi1ELi2ELb1EEvPKcS1_S1_S1_S1_PKiPfP15HIP_vector_typeIfLj2EEffffjfiS5_IjLj3EEiiiiiiiiiiiliiliiiiil
	.p2align	8
	.type	_ZL15flash_attn_tileILi64ELi64ELi1ELi2ELb1EEvPKcS1_S1_S1_S1_PKiPfP15HIP_vector_typeIfLj2EEffffjfiS5_IjLj3EEiiiiiiiiiiiliiliiiiil,@function
_ZL15flash_attn_tileILi64ELi64ELi1ELi2ELb1EEvPKcS1_S1_S1_S1_PKiPfP15HIP_vector_typeIfLj2EEffffjfiS5_IjLj3EEiiiiiiiiiiiliiliiiiil: ; @_ZL15flash_attn_tileILi64ELi64ELi1ELi2ELb1EEvPKcS1_S1_S1_S1_PKiPfP15HIP_vector_typeIfLj2EEffffjfiS5_IjLj3EEiiiiiiiiiiiliiliiiiil
; %bb.0:
	s_add_u32 s0, s0, s7
	s_addc_u32 s1, s1, 0
	s_add_u32 s8, s4, 0xd0
	s_addc_u32 s9, s5, 0
	s_getpc_b64 s[4:5]
	s_add_u32 s4, s4, _ZL14no_device_codePKciS0_iS0_@rel32@lo+4
	s_addc_u32 s5, s5, _ZL14no_device_codePKciS0_iS0_@rel32@hi+12
	s_mov_b32 s32, 0
	s_swappc_b64 s[30:31], s[4:5]
	.section	.rodata,"a",@progbits
	.p2align	6, 0x0
	.amdhsa_kernel _ZL15flash_attn_tileILi64ELi64ELi1ELi2ELb1EEvPKcS1_S1_S1_S1_PKiPfP15HIP_vector_typeIfLj2EEffffjfiS5_IjLj3EEiiiiiiiiiiiliiliiiiil
		.amdhsa_group_segment_fixed_size 0
		.amdhsa_private_segment_fixed_size 16
		.amdhsa_kernarg_size 464
		.amdhsa_user_sgpr_count 6
		.amdhsa_user_sgpr_private_segment_buffer 1
		.amdhsa_user_sgpr_dispatch_ptr 0
		.amdhsa_user_sgpr_queue_ptr 0
		.amdhsa_user_sgpr_kernarg_segment_ptr 1
		.amdhsa_user_sgpr_dispatch_id 0
		.amdhsa_user_sgpr_flat_scratch_init 0
		.amdhsa_user_sgpr_private_segment_size 0
		.amdhsa_uses_dynamic_stack 0
		.amdhsa_system_sgpr_private_segment_wavefront_offset 1
		.amdhsa_system_sgpr_workgroup_id_x 1
		.amdhsa_system_sgpr_workgroup_id_y 0
		.amdhsa_system_sgpr_workgroup_id_z 0
		.amdhsa_system_sgpr_workgroup_info 0
		.amdhsa_system_vgpr_workitem_id 0
		.amdhsa_next_free_vgpr 41
		.amdhsa_next_free_sgpr 34
		.amdhsa_reserve_vcc 1
		.amdhsa_reserve_flat_scratch 0
		.amdhsa_float_round_mode_32 0
		.amdhsa_float_round_mode_16_64 0
		.amdhsa_float_denorm_mode_32 3
		.amdhsa_float_denorm_mode_16_64 3
		.amdhsa_dx10_clamp 1
		.amdhsa_ieee_mode 1
		.amdhsa_fp16_overflow 0
		.amdhsa_exception_fp_ieee_invalid_op 0
		.amdhsa_exception_fp_denorm_src 0
		.amdhsa_exception_fp_ieee_div_zero 0
		.amdhsa_exception_fp_ieee_overflow 0
		.amdhsa_exception_fp_ieee_underflow 0
		.amdhsa_exception_fp_ieee_inexact 0
		.amdhsa_exception_int_div_zero 0
	.end_amdhsa_kernel
	.section	.text._ZL15flash_attn_tileILi64ELi64ELi1ELi2ELb1EEvPKcS1_S1_S1_S1_PKiPfP15HIP_vector_typeIfLj2EEffffjfiS5_IjLj3EEiiiiiiiiiiiliiliiiiil,"axG",@progbits,_ZL15flash_attn_tileILi64ELi64ELi1ELi2ELb1EEvPKcS1_S1_S1_S1_PKiPfP15HIP_vector_typeIfLj2EEffffjfiS5_IjLj3EEiiiiiiiiiiiliiliiiiil,comdat
.Lfunc_end88:
	.size	_ZL15flash_attn_tileILi64ELi64ELi1ELi2ELb1EEvPKcS1_S1_S1_S1_PKiPfP15HIP_vector_typeIfLj2EEffffjfiS5_IjLj3EEiiiiiiiiiiiliiliiiiil, .Lfunc_end88-_ZL15flash_attn_tileILi64ELi64ELi1ELi2ELb1EEvPKcS1_S1_S1_S1_PKiPfP15HIP_vector_typeIfLj2EEffffjfiS5_IjLj3EEiiiiiiiiiiiliiliiiiil
                                        ; -- End function
	.set _ZL15flash_attn_tileILi64ELi64ELi1ELi2ELb1EEvPKcS1_S1_S1_S1_PKiPfP15HIP_vector_typeIfLj2EEffffjfiS5_IjLj3EEiiiiiiiiiiiliiliiiiil.num_vgpr, max(0, .L_ZL14no_device_codePKciS0_iS0_.num_vgpr)
	.set _ZL15flash_attn_tileILi64ELi64ELi1ELi2ELb1EEvPKcS1_S1_S1_S1_PKiPfP15HIP_vector_typeIfLj2EEffffjfiS5_IjLj3EEiiiiiiiiiiiliiliiiiil.num_agpr, max(0, .L_ZL14no_device_codePKciS0_iS0_.num_agpr)
	.set _ZL15flash_attn_tileILi64ELi64ELi1ELi2ELb1EEvPKcS1_S1_S1_S1_PKiPfP15HIP_vector_typeIfLj2EEffffjfiS5_IjLj3EEiiiiiiiiiiiliiliiiiil.numbered_sgpr, max(33, .L_ZL14no_device_codePKciS0_iS0_.numbered_sgpr)
	.set _ZL15flash_attn_tileILi64ELi64ELi1ELi2ELb1EEvPKcS1_S1_S1_S1_PKiPfP15HIP_vector_typeIfLj2EEffffjfiS5_IjLj3EEiiiiiiiiiiiliiliiiiil.num_named_barrier, max(0, .L_ZL14no_device_codePKciS0_iS0_.num_named_barrier)
	.set _ZL15flash_attn_tileILi64ELi64ELi1ELi2ELb1EEvPKcS1_S1_S1_S1_PKiPfP15HIP_vector_typeIfLj2EEffffjfiS5_IjLj3EEiiiiiiiiiiiliiliiiiil.private_seg_size, 0+max(.L_ZL14no_device_codePKciS0_iS0_.private_seg_size)
	.set _ZL15flash_attn_tileILi64ELi64ELi1ELi2ELb1EEvPKcS1_S1_S1_S1_PKiPfP15HIP_vector_typeIfLj2EEffffjfiS5_IjLj3EEiiiiiiiiiiiliiliiiiil.uses_vcc, or(1, .L_ZL14no_device_codePKciS0_iS0_.uses_vcc)
	.set _ZL15flash_attn_tileILi64ELi64ELi1ELi2ELb1EEvPKcS1_S1_S1_S1_PKiPfP15HIP_vector_typeIfLj2EEffffjfiS5_IjLj3EEiiiiiiiiiiiliiliiiiil.uses_flat_scratch, or(0, .L_ZL14no_device_codePKciS0_iS0_.uses_flat_scratch)
	.set _ZL15flash_attn_tileILi64ELi64ELi1ELi2ELb1EEvPKcS1_S1_S1_S1_PKiPfP15HIP_vector_typeIfLj2EEffffjfiS5_IjLj3EEiiiiiiiiiiiliiliiiiil.has_dyn_sized_stack, or(0, .L_ZL14no_device_codePKciS0_iS0_.has_dyn_sized_stack)
	.set _ZL15flash_attn_tileILi64ELi64ELi1ELi2ELb1EEvPKcS1_S1_S1_S1_PKiPfP15HIP_vector_typeIfLj2EEffffjfiS5_IjLj3EEiiiiiiiiiiiliiliiiiil.has_recursion, or(0, .L_ZL14no_device_codePKciS0_iS0_.has_recursion)
	.set _ZL15flash_attn_tileILi64ELi64ELi1ELi2ELb1EEvPKcS1_S1_S1_S1_PKiPfP15HIP_vector_typeIfLj2EEffffjfiS5_IjLj3EEiiiiiiiiiiiliiliiiiil.has_indirect_call, or(0, .L_ZL14no_device_codePKciS0_iS0_.has_indirect_call)
	.section	.AMDGPU.csdata,"",@progbits
; Kernel info:
; codeLenInByte = 48
; TotalNumSgprs: 38
; NumVgprs: 41
; ScratchSize: 16
; MemoryBound: 0
; FloatMode: 240
; IeeeMode: 1
; LDSByteSize: 0 bytes/workgroup (compile time only)
; SGPRBlocks: 4
; VGPRBlocks: 10
; NumSGPRsForWavesPerEU: 38
; NumVGPRsForWavesPerEU: 41
; Occupancy: 5
; WaveLimiterHint : 1
; COMPUTE_PGM_RSRC2:SCRATCH_EN: 1
; COMPUTE_PGM_RSRC2:USER_SGPR: 6
; COMPUTE_PGM_RSRC2:TRAP_HANDLER: 0
; COMPUTE_PGM_RSRC2:TGID_X_EN: 1
; COMPUTE_PGM_RSRC2:TGID_Y_EN: 0
; COMPUTE_PGM_RSRC2:TGID_Z_EN: 0
; COMPUTE_PGM_RSRC2:TIDIG_COMP_CNT: 0
	.section	.text._ZL15flash_attn_tileILi64ELi64ELi64ELi1ELb1EEvPKcS1_S1_S1_S1_PKiPfP15HIP_vector_typeIfLj2EEffffjfiS5_IjLj3EEiiiiiiiiiiiliiliiiiil,"axG",@progbits,_ZL15flash_attn_tileILi64ELi64ELi64ELi1ELb1EEvPKcS1_S1_S1_S1_PKiPfP15HIP_vector_typeIfLj2EEffffjfiS5_IjLj3EEiiiiiiiiiiiliiliiiiil,comdat
	.globl	_ZL15flash_attn_tileILi64ELi64ELi64ELi1ELb1EEvPKcS1_S1_S1_S1_PKiPfP15HIP_vector_typeIfLj2EEffffjfiS5_IjLj3EEiiiiiiiiiiiliiliiiiil ; -- Begin function _ZL15flash_attn_tileILi64ELi64ELi64ELi1ELb1EEvPKcS1_S1_S1_S1_PKiPfP15HIP_vector_typeIfLj2EEffffjfiS5_IjLj3EEiiiiiiiiiiiliiliiiiil
	.p2align	8
	.type	_ZL15flash_attn_tileILi64ELi64ELi64ELi1ELb1EEvPKcS1_S1_S1_S1_PKiPfP15HIP_vector_typeIfLj2EEffffjfiS5_IjLj3EEiiiiiiiiiiiliiliiiiil,@function
_ZL15flash_attn_tileILi64ELi64ELi64ELi1ELb1EEvPKcS1_S1_S1_S1_PKiPfP15HIP_vector_typeIfLj2EEffffjfiS5_IjLj3EEiiiiiiiiiiiliiliiiiil: ; @_ZL15flash_attn_tileILi64ELi64ELi64ELi1ELb1EEvPKcS1_S1_S1_S1_PKiPfP15HIP_vector_typeIfLj2EEffffjfiS5_IjLj3EEiiiiiiiiiiiliiliiiiil
; %bb.0:
	s_add_u32 s0, s0, s7
	s_addc_u32 s1, s1, 0
	s_add_u32 s8, s4, 0xd0
	s_addc_u32 s9, s5, 0
	s_getpc_b64 s[4:5]
	s_add_u32 s4, s4, _ZL14no_device_codePKciS0_iS0_@rel32@lo+4
	s_addc_u32 s5, s5, _ZL14no_device_codePKciS0_iS0_@rel32@hi+12
	s_mov_b32 s32, 0
	s_swappc_b64 s[30:31], s[4:5]
	.section	.rodata,"a",@progbits
	.p2align	6, 0x0
	.amdhsa_kernel _ZL15flash_attn_tileILi64ELi64ELi64ELi1ELb1EEvPKcS1_S1_S1_S1_PKiPfP15HIP_vector_typeIfLj2EEffffjfiS5_IjLj3EEiiiiiiiiiiiliiliiiiil
		.amdhsa_group_segment_fixed_size 0
		.amdhsa_private_segment_fixed_size 16
		.amdhsa_kernarg_size 464
		.amdhsa_user_sgpr_count 6
		.amdhsa_user_sgpr_private_segment_buffer 1
		.amdhsa_user_sgpr_dispatch_ptr 0
		.amdhsa_user_sgpr_queue_ptr 0
		.amdhsa_user_sgpr_kernarg_segment_ptr 1
		.amdhsa_user_sgpr_dispatch_id 0
		.amdhsa_user_sgpr_flat_scratch_init 0
		.amdhsa_user_sgpr_private_segment_size 0
		.amdhsa_uses_dynamic_stack 0
		.amdhsa_system_sgpr_private_segment_wavefront_offset 1
		.amdhsa_system_sgpr_workgroup_id_x 1
		.amdhsa_system_sgpr_workgroup_id_y 0
		.amdhsa_system_sgpr_workgroup_id_z 0
		.amdhsa_system_sgpr_workgroup_info 0
		.amdhsa_system_vgpr_workitem_id 0
		.amdhsa_next_free_vgpr 41
		.amdhsa_next_free_sgpr 34
		.amdhsa_reserve_vcc 1
		.amdhsa_reserve_flat_scratch 0
		.amdhsa_float_round_mode_32 0
		.amdhsa_float_round_mode_16_64 0
		.amdhsa_float_denorm_mode_32 3
		.amdhsa_float_denorm_mode_16_64 3
		.amdhsa_dx10_clamp 1
		.amdhsa_ieee_mode 1
		.amdhsa_fp16_overflow 0
		.amdhsa_exception_fp_ieee_invalid_op 0
		.amdhsa_exception_fp_denorm_src 0
		.amdhsa_exception_fp_ieee_div_zero 0
		.amdhsa_exception_fp_ieee_overflow 0
		.amdhsa_exception_fp_ieee_underflow 0
		.amdhsa_exception_fp_ieee_inexact 0
		.amdhsa_exception_int_div_zero 0
	.end_amdhsa_kernel
	.section	.text._ZL15flash_attn_tileILi64ELi64ELi64ELi1ELb1EEvPKcS1_S1_S1_S1_PKiPfP15HIP_vector_typeIfLj2EEffffjfiS5_IjLj3EEiiiiiiiiiiiliiliiiiil,"axG",@progbits,_ZL15flash_attn_tileILi64ELi64ELi64ELi1ELb1EEvPKcS1_S1_S1_S1_PKiPfP15HIP_vector_typeIfLj2EEffffjfiS5_IjLj3EEiiiiiiiiiiiliiliiiiil,comdat
.Lfunc_end89:
	.size	_ZL15flash_attn_tileILi64ELi64ELi64ELi1ELb1EEvPKcS1_S1_S1_S1_PKiPfP15HIP_vector_typeIfLj2EEffffjfiS5_IjLj3EEiiiiiiiiiiiliiliiiiil, .Lfunc_end89-_ZL15flash_attn_tileILi64ELi64ELi64ELi1ELb1EEvPKcS1_S1_S1_S1_PKiPfP15HIP_vector_typeIfLj2EEffffjfiS5_IjLj3EEiiiiiiiiiiiliiliiiiil
                                        ; -- End function
	.set _ZL15flash_attn_tileILi64ELi64ELi64ELi1ELb1EEvPKcS1_S1_S1_S1_PKiPfP15HIP_vector_typeIfLj2EEffffjfiS5_IjLj3EEiiiiiiiiiiiliiliiiiil.num_vgpr, max(0, .L_ZL14no_device_codePKciS0_iS0_.num_vgpr)
	.set _ZL15flash_attn_tileILi64ELi64ELi64ELi1ELb1EEvPKcS1_S1_S1_S1_PKiPfP15HIP_vector_typeIfLj2EEffffjfiS5_IjLj3EEiiiiiiiiiiiliiliiiiil.num_agpr, max(0, .L_ZL14no_device_codePKciS0_iS0_.num_agpr)
	.set _ZL15flash_attn_tileILi64ELi64ELi64ELi1ELb1EEvPKcS1_S1_S1_S1_PKiPfP15HIP_vector_typeIfLj2EEffffjfiS5_IjLj3EEiiiiiiiiiiiliiliiiiil.numbered_sgpr, max(33, .L_ZL14no_device_codePKciS0_iS0_.numbered_sgpr)
	.set _ZL15flash_attn_tileILi64ELi64ELi64ELi1ELb1EEvPKcS1_S1_S1_S1_PKiPfP15HIP_vector_typeIfLj2EEffffjfiS5_IjLj3EEiiiiiiiiiiiliiliiiiil.num_named_barrier, max(0, .L_ZL14no_device_codePKciS0_iS0_.num_named_barrier)
	.set _ZL15flash_attn_tileILi64ELi64ELi64ELi1ELb1EEvPKcS1_S1_S1_S1_PKiPfP15HIP_vector_typeIfLj2EEffffjfiS5_IjLj3EEiiiiiiiiiiiliiliiiiil.private_seg_size, 0+max(.L_ZL14no_device_codePKciS0_iS0_.private_seg_size)
	.set _ZL15flash_attn_tileILi64ELi64ELi64ELi1ELb1EEvPKcS1_S1_S1_S1_PKiPfP15HIP_vector_typeIfLj2EEffffjfiS5_IjLj3EEiiiiiiiiiiiliiliiiiil.uses_vcc, or(1, .L_ZL14no_device_codePKciS0_iS0_.uses_vcc)
	.set _ZL15flash_attn_tileILi64ELi64ELi64ELi1ELb1EEvPKcS1_S1_S1_S1_PKiPfP15HIP_vector_typeIfLj2EEffffjfiS5_IjLj3EEiiiiiiiiiiiliiliiiiil.uses_flat_scratch, or(0, .L_ZL14no_device_codePKciS0_iS0_.uses_flat_scratch)
	.set _ZL15flash_attn_tileILi64ELi64ELi64ELi1ELb1EEvPKcS1_S1_S1_S1_PKiPfP15HIP_vector_typeIfLj2EEffffjfiS5_IjLj3EEiiiiiiiiiiiliiliiiiil.has_dyn_sized_stack, or(0, .L_ZL14no_device_codePKciS0_iS0_.has_dyn_sized_stack)
	.set _ZL15flash_attn_tileILi64ELi64ELi64ELi1ELb1EEvPKcS1_S1_S1_S1_PKiPfP15HIP_vector_typeIfLj2EEffffjfiS5_IjLj3EEiiiiiiiiiiiliiliiiiil.has_recursion, or(0, .L_ZL14no_device_codePKciS0_iS0_.has_recursion)
	.set _ZL15flash_attn_tileILi64ELi64ELi64ELi1ELb1EEvPKcS1_S1_S1_S1_PKiPfP15HIP_vector_typeIfLj2EEffffjfiS5_IjLj3EEiiiiiiiiiiiliiliiiiil.has_indirect_call, or(0, .L_ZL14no_device_codePKciS0_iS0_.has_indirect_call)
	.section	.AMDGPU.csdata,"",@progbits
; Kernel info:
; codeLenInByte = 48
; TotalNumSgprs: 38
; NumVgprs: 41
; ScratchSize: 16
; MemoryBound: 0
; FloatMode: 240
; IeeeMode: 1
; LDSByteSize: 0 bytes/workgroup (compile time only)
; SGPRBlocks: 4
; VGPRBlocks: 10
; NumSGPRsForWavesPerEU: 38
; NumVGPRsForWavesPerEU: 41
; Occupancy: 5
; WaveLimiterHint : 1
; COMPUTE_PGM_RSRC2:SCRATCH_EN: 1
; COMPUTE_PGM_RSRC2:USER_SGPR: 6
; COMPUTE_PGM_RSRC2:TRAP_HANDLER: 0
; COMPUTE_PGM_RSRC2:TGID_X_EN: 1
; COMPUTE_PGM_RSRC2:TGID_Y_EN: 0
; COMPUTE_PGM_RSRC2:TGID_Z_EN: 0
; COMPUTE_PGM_RSRC2:TIDIG_COMP_CNT: 0
	.section	.text._ZL15flash_attn_tileILi64ELi64ELi32ELi1ELb1EEvPKcS1_S1_S1_S1_PKiPfP15HIP_vector_typeIfLj2EEffffjfiS5_IjLj3EEiiiiiiiiiiiliiliiiiil,"axG",@progbits,_ZL15flash_attn_tileILi64ELi64ELi32ELi1ELb1EEvPKcS1_S1_S1_S1_PKiPfP15HIP_vector_typeIfLj2EEffffjfiS5_IjLj3EEiiiiiiiiiiiliiliiiiil,comdat
	.globl	_ZL15flash_attn_tileILi64ELi64ELi32ELi1ELb1EEvPKcS1_S1_S1_S1_PKiPfP15HIP_vector_typeIfLj2EEffffjfiS5_IjLj3EEiiiiiiiiiiiliiliiiiil ; -- Begin function _ZL15flash_attn_tileILi64ELi64ELi32ELi1ELb1EEvPKcS1_S1_S1_S1_PKiPfP15HIP_vector_typeIfLj2EEffffjfiS5_IjLj3EEiiiiiiiiiiiliiliiiiil
	.p2align	8
	.type	_ZL15flash_attn_tileILi64ELi64ELi32ELi1ELb1EEvPKcS1_S1_S1_S1_PKiPfP15HIP_vector_typeIfLj2EEffffjfiS5_IjLj3EEiiiiiiiiiiiliiliiiiil,@function
_ZL15flash_attn_tileILi64ELi64ELi32ELi1ELb1EEvPKcS1_S1_S1_S1_PKiPfP15HIP_vector_typeIfLj2EEffffjfiS5_IjLj3EEiiiiiiiiiiiliiliiiiil: ; @_ZL15flash_attn_tileILi64ELi64ELi32ELi1ELb1EEvPKcS1_S1_S1_S1_PKiPfP15HIP_vector_typeIfLj2EEffffjfiS5_IjLj3EEiiiiiiiiiiiliiliiiiil
; %bb.0:
	s_add_u32 s0, s0, s7
	s_addc_u32 s1, s1, 0
	s_add_u32 s8, s4, 0xd0
	s_addc_u32 s9, s5, 0
	s_getpc_b64 s[4:5]
	s_add_u32 s4, s4, _ZL14no_device_codePKciS0_iS0_@rel32@lo+4
	s_addc_u32 s5, s5, _ZL14no_device_codePKciS0_iS0_@rel32@hi+12
	s_mov_b32 s32, 0
	s_swappc_b64 s[30:31], s[4:5]
	.section	.rodata,"a",@progbits
	.p2align	6, 0x0
	.amdhsa_kernel _ZL15flash_attn_tileILi64ELi64ELi32ELi1ELb1EEvPKcS1_S1_S1_S1_PKiPfP15HIP_vector_typeIfLj2EEffffjfiS5_IjLj3EEiiiiiiiiiiiliiliiiiil
		.amdhsa_group_segment_fixed_size 0
		.amdhsa_private_segment_fixed_size 16
		.amdhsa_kernarg_size 464
		.amdhsa_user_sgpr_count 6
		.amdhsa_user_sgpr_private_segment_buffer 1
		.amdhsa_user_sgpr_dispatch_ptr 0
		.amdhsa_user_sgpr_queue_ptr 0
		.amdhsa_user_sgpr_kernarg_segment_ptr 1
		.amdhsa_user_sgpr_dispatch_id 0
		.amdhsa_user_sgpr_flat_scratch_init 0
		.amdhsa_user_sgpr_private_segment_size 0
		.amdhsa_uses_dynamic_stack 0
		.amdhsa_system_sgpr_private_segment_wavefront_offset 1
		.amdhsa_system_sgpr_workgroup_id_x 1
		.amdhsa_system_sgpr_workgroup_id_y 0
		.amdhsa_system_sgpr_workgroup_id_z 0
		.amdhsa_system_sgpr_workgroup_info 0
		.amdhsa_system_vgpr_workitem_id 0
		.amdhsa_next_free_vgpr 41
		.amdhsa_next_free_sgpr 34
		.amdhsa_reserve_vcc 1
		.amdhsa_reserve_flat_scratch 0
		.amdhsa_float_round_mode_32 0
		.amdhsa_float_round_mode_16_64 0
		.amdhsa_float_denorm_mode_32 3
		.amdhsa_float_denorm_mode_16_64 3
		.amdhsa_dx10_clamp 1
		.amdhsa_ieee_mode 1
		.amdhsa_fp16_overflow 0
		.amdhsa_exception_fp_ieee_invalid_op 0
		.amdhsa_exception_fp_denorm_src 0
		.amdhsa_exception_fp_ieee_div_zero 0
		.amdhsa_exception_fp_ieee_overflow 0
		.amdhsa_exception_fp_ieee_underflow 0
		.amdhsa_exception_fp_ieee_inexact 0
		.amdhsa_exception_int_div_zero 0
	.end_amdhsa_kernel
	.section	.text._ZL15flash_attn_tileILi64ELi64ELi32ELi1ELb1EEvPKcS1_S1_S1_S1_PKiPfP15HIP_vector_typeIfLj2EEffffjfiS5_IjLj3EEiiiiiiiiiiiliiliiiiil,"axG",@progbits,_ZL15flash_attn_tileILi64ELi64ELi32ELi1ELb1EEvPKcS1_S1_S1_S1_PKiPfP15HIP_vector_typeIfLj2EEffffjfiS5_IjLj3EEiiiiiiiiiiiliiliiiiil,comdat
.Lfunc_end90:
	.size	_ZL15flash_attn_tileILi64ELi64ELi32ELi1ELb1EEvPKcS1_S1_S1_S1_PKiPfP15HIP_vector_typeIfLj2EEffffjfiS5_IjLj3EEiiiiiiiiiiiliiliiiiil, .Lfunc_end90-_ZL15flash_attn_tileILi64ELi64ELi32ELi1ELb1EEvPKcS1_S1_S1_S1_PKiPfP15HIP_vector_typeIfLj2EEffffjfiS5_IjLj3EEiiiiiiiiiiiliiliiiiil
                                        ; -- End function
	.set _ZL15flash_attn_tileILi64ELi64ELi32ELi1ELb1EEvPKcS1_S1_S1_S1_PKiPfP15HIP_vector_typeIfLj2EEffffjfiS5_IjLj3EEiiiiiiiiiiiliiliiiiil.num_vgpr, max(0, .L_ZL14no_device_codePKciS0_iS0_.num_vgpr)
	.set _ZL15flash_attn_tileILi64ELi64ELi32ELi1ELb1EEvPKcS1_S1_S1_S1_PKiPfP15HIP_vector_typeIfLj2EEffffjfiS5_IjLj3EEiiiiiiiiiiiliiliiiiil.num_agpr, max(0, .L_ZL14no_device_codePKciS0_iS0_.num_agpr)
	.set _ZL15flash_attn_tileILi64ELi64ELi32ELi1ELb1EEvPKcS1_S1_S1_S1_PKiPfP15HIP_vector_typeIfLj2EEffffjfiS5_IjLj3EEiiiiiiiiiiiliiliiiiil.numbered_sgpr, max(33, .L_ZL14no_device_codePKciS0_iS0_.numbered_sgpr)
	.set _ZL15flash_attn_tileILi64ELi64ELi32ELi1ELb1EEvPKcS1_S1_S1_S1_PKiPfP15HIP_vector_typeIfLj2EEffffjfiS5_IjLj3EEiiiiiiiiiiiliiliiiiil.num_named_barrier, max(0, .L_ZL14no_device_codePKciS0_iS0_.num_named_barrier)
	.set _ZL15flash_attn_tileILi64ELi64ELi32ELi1ELb1EEvPKcS1_S1_S1_S1_PKiPfP15HIP_vector_typeIfLj2EEffffjfiS5_IjLj3EEiiiiiiiiiiiliiliiiiil.private_seg_size, 0+max(.L_ZL14no_device_codePKciS0_iS0_.private_seg_size)
	.set _ZL15flash_attn_tileILi64ELi64ELi32ELi1ELb1EEvPKcS1_S1_S1_S1_PKiPfP15HIP_vector_typeIfLj2EEffffjfiS5_IjLj3EEiiiiiiiiiiiliiliiiiil.uses_vcc, or(1, .L_ZL14no_device_codePKciS0_iS0_.uses_vcc)
	.set _ZL15flash_attn_tileILi64ELi64ELi32ELi1ELb1EEvPKcS1_S1_S1_S1_PKiPfP15HIP_vector_typeIfLj2EEffffjfiS5_IjLj3EEiiiiiiiiiiiliiliiiiil.uses_flat_scratch, or(0, .L_ZL14no_device_codePKciS0_iS0_.uses_flat_scratch)
	.set _ZL15flash_attn_tileILi64ELi64ELi32ELi1ELb1EEvPKcS1_S1_S1_S1_PKiPfP15HIP_vector_typeIfLj2EEffffjfiS5_IjLj3EEiiiiiiiiiiiliiliiiiil.has_dyn_sized_stack, or(0, .L_ZL14no_device_codePKciS0_iS0_.has_dyn_sized_stack)
	.set _ZL15flash_attn_tileILi64ELi64ELi32ELi1ELb1EEvPKcS1_S1_S1_S1_PKiPfP15HIP_vector_typeIfLj2EEffffjfiS5_IjLj3EEiiiiiiiiiiiliiliiiiil.has_recursion, or(0, .L_ZL14no_device_codePKciS0_iS0_.has_recursion)
	.set _ZL15flash_attn_tileILi64ELi64ELi32ELi1ELb1EEvPKcS1_S1_S1_S1_PKiPfP15HIP_vector_typeIfLj2EEffffjfiS5_IjLj3EEiiiiiiiiiiiliiliiiiil.has_indirect_call, or(0, .L_ZL14no_device_codePKciS0_iS0_.has_indirect_call)
	.section	.AMDGPU.csdata,"",@progbits
; Kernel info:
; codeLenInByte = 48
; TotalNumSgprs: 38
; NumVgprs: 41
; ScratchSize: 16
; MemoryBound: 0
; FloatMode: 240
; IeeeMode: 1
; LDSByteSize: 0 bytes/workgroup (compile time only)
; SGPRBlocks: 4
; VGPRBlocks: 10
; NumSGPRsForWavesPerEU: 38
; NumVGPRsForWavesPerEU: 41
; Occupancy: 5
; WaveLimiterHint : 1
; COMPUTE_PGM_RSRC2:SCRATCH_EN: 1
; COMPUTE_PGM_RSRC2:USER_SGPR: 6
; COMPUTE_PGM_RSRC2:TRAP_HANDLER: 0
; COMPUTE_PGM_RSRC2:TGID_X_EN: 1
; COMPUTE_PGM_RSRC2:TGID_Y_EN: 0
; COMPUTE_PGM_RSRC2:TGID_Z_EN: 0
; COMPUTE_PGM_RSRC2:TIDIG_COMP_CNT: 0
	.section	.text._ZL15flash_attn_tileILi64ELi64ELi16ELi1ELb1EEvPKcS1_S1_S1_S1_PKiPfP15HIP_vector_typeIfLj2EEffffjfiS5_IjLj3EEiiiiiiiiiiiliiliiiiil,"axG",@progbits,_ZL15flash_attn_tileILi64ELi64ELi16ELi1ELb1EEvPKcS1_S1_S1_S1_PKiPfP15HIP_vector_typeIfLj2EEffffjfiS5_IjLj3EEiiiiiiiiiiiliiliiiiil,comdat
	.globl	_ZL15flash_attn_tileILi64ELi64ELi16ELi1ELb1EEvPKcS1_S1_S1_S1_PKiPfP15HIP_vector_typeIfLj2EEffffjfiS5_IjLj3EEiiiiiiiiiiiliiliiiiil ; -- Begin function _ZL15flash_attn_tileILi64ELi64ELi16ELi1ELb1EEvPKcS1_S1_S1_S1_PKiPfP15HIP_vector_typeIfLj2EEffffjfiS5_IjLj3EEiiiiiiiiiiiliiliiiiil
	.p2align	8
	.type	_ZL15flash_attn_tileILi64ELi64ELi16ELi1ELb1EEvPKcS1_S1_S1_S1_PKiPfP15HIP_vector_typeIfLj2EEffffjfiS5_IjLj3EEiiiiiiiiiiiliiliiiiil,@function
_ZL15flash_attn_tileILi64ELi64ELi16ELi1ELb1EEvPKcS1_S1_S1_S1_PKiPfP15HIP_vector_typeIfLj2EEffffjfiS5_IjLj3EEiiiiiiiiiiiliiliiiiil: ; @_ZL15flash_attn_tileILi64ELi64ELi16ELi1ELb1EEvPKcS1_S1_S1_S1_PKiPfP15HIP_vector_typeIfLj2EEffffjfiS5_IjLj3EEiiiiiiiiiiiliiliiiiil
; %bb.0:
	s_add_u32 s0, s0, s7
	s_addc_u32 s1, s1, 0
	s_add_u32 s8, s4, 0xd0
	s_addc_u32 s9, s5, 0
	s_getpc_b64 s[4:5]
	s_add_u32 s4, s4, _ZL14no_device_codePKciS0_iS0_@rel32@lo+4
	s_addc_u32 s5, s5, _ZL14no_device_codePKciS0_iS0_@rel32@hi+12
	s_mov_b32 s32, 0
	s_swappc_b64 s[30:31], s[4:5]
	.section	.rodata,"a",@progbits
	.p2align	6, 0x0
	.amdhsa_kernel _ZL15flash_attn_tileILi64ELi64ELi16ELi1ELb1EEvPKcS1_S1_S1_S1_PKiPfP15HIP_vector_typeIfLj2EEffffjfiS5_IjLj3EEiiiiiiiiiiiliiliiiiil
		.amdhsa_group_segment_fixed_size 0
		.amdhsa_private_segment_fixed_size 16
		.amdhsa_kernarg_size 464
		.amdhsa_user_sgpr_count 6
		.amdhsa_user_sgpr_private_segment_buffer 1
		.amdhsa_user_sgpr_dispatch_ptr 0
		.amdhsa_user_sgpr_queue_ptr 0
		.amdhsa_user_sgpr_kernarg_segment_ptr 1
		.amdhsa_user_sgpr_dispatch_id 0
		.amdhsa_user_sgpr_flat_scratch_init 0
		.amdhsa_user_sgpr_private_segment_size 0
		.amdhsa_uses_dynamic_stack 0
		.amdhsa_system_sgpr_private_segment_wavefront_offset 1
		.amdhsa_system_sgpr_workgroup_id_x 1
		.amdhsa_system_sgpr_workgroup_id_y 0
		.amdhsa_system_sgpr_workgroup_id_z 0
		.amdhsa_system_sgpr_workgroup_info 0
		.amdhsa_system_vgpr_workitem_id 0
		.amdhsa_next_free_vgpr 41
		.amdhsa_next_free_sgpr 34
		.amdhsa_reserve_vcc 1
		.amdhsa_reserve_flat_scratch 0
		.amdhsa_float_round_mode_32 0
		.amdhsa_float_round_mode_16_64 0
		.amdhsa_float_denorm_mode_32 3
		.amdhsa_float_denorm_mode_16_64 3
		.amdhsa_dx10_clamp 1
		.amdhsa_ieee_mode 1
		.amdhsa_fp16_overflow 0
		.amdhsa_exception_fp_ieee_invalid_op 0
		.amdhsa_exception_fp_denorm_src 0
		.amdhsa_exception_fp_ieee_div_zero 0
		.amdhsa_exception_fp_ieee_overflow 0
		.amdhsa_exception_fp_ieee_underflow 0
		.amdhsa_exception_fp_ieee_inexact 0
		.amdhsa_exception_int_div_zero 0
	.end_amdhsa_kernel
	.section	.text._ZL15flash_attn_tileILi64ELi64ELi16ELi1ELb1EEvPKcS1_S1_S1_S1_PKiPfP15HIP_vector_typeIfLj2EEffffjfiS5_IjLj3EEiiiiiiiiiiiliiliiiiil,"axG",@progbits,_ZL15flash_attn_tileILi64ELi64ELi16ELi1ELb1EEvPKcS1_S1_S1_S1_PKiPfP15HIP_vector_typeIfLj2EEffffjfiS5_IjLj3EEiiiiiiiiiiiliiliiiiil,comdat
.Lfunc_end91:
	.size	_ZL15flash_attn_tileILi64ELi64ELi16ELi1ELb1EEvPKcS1_S1_S1_S1_PKiPfP15HIP_vector_typeIfLj2EEffffjfiS5_IjLj3EEiiiiiiiiiiiliiliiiiil, .Lfunc_end91-_ZL15flash_attn_tileILi64ELi64ELi16ELi1ELb1EEvPKcS1_S1_S1_S1_PKiPfP15HIP_vector_typeIfLj2EEffffjfiS5_IjLj3EEiiiiiiiiiiiliiliiiiil
                                        ; -- End function
	.set _ZL15flash_attn_tileILi64ELi64ELi16ELi1ELb1EEvPKcS1_S1_S1_S1_PKiPfP15HIP_vector_typeIfLj2EEffffjfiS5_IjLj3EEiiiiiiiiiiiliiliiiiil.num_vgpr, max(0, .L_ZL14no_device_codePKciS0_iS0_.num_vgpr)
	.set _ZL15flash_attn_tileILi64ELi64ELi16ELi1ELb1EEvPKcS1_S1_S1_S1_PKiPfP15HIP_vector_typeIfLj2EEffffjfiS5_IjLj3EEiiiiiiiiiiiliiliiiiil.num_agpr, max(0, .L_ZL14no_device_codePKciS0_iS0_.num_agpr)
	.set _ZL15flash_attn_tileILi64ELi64ELi16ELi1ELb1EEvPKcS1_S1_S1_S1_PKiPfP15HIP_vector_typeIfLj2EEffffjfiS5_IjLj3EEiiiiiiiiiiiliiliiiiil.numbered_sgpr, max(33, .L_ZL14no_device_codePKciS0_iS0_.numbered_sgpr)
	.set _ZL15flash_attn_tileILi64ELi64ELi16ELi1ELb1EEvPKcS1_S1_S1_S1_PKiPfP15HIP_vector_typeIfLj2EEffffjfiS5_IjLj3EEiiiiiiiiiiiliiliiiiil.num_named_barrier, max(0, .L_ZL14no_device_codePKciS0_iS0_.num_named_barrier)
	.set _ZL15flash_attn_tileILi64ELi64ELi16ELi1ELb1EEvPKcS1_S1_S1_S1_PKiPfP15HIP_vector_typeIfLj2EEffffjfiS5_IjLj3EEiiiiiiiiiiiliiliiiiil.private_seg_size, 0+max(.L_ZL14no_device_codePKciS0_iS0_.private_seg_size)
	.set _ZL15flash_attn_tileILi64ELi64ELi16ELi1ELb1EEvPKcS1_S1_S1_S1_PKiPfP15HIP_vector_typeIfLj2EEffffjfiS5_IjLj3EEiiiiiiiiiiiliiliiiiil.uses_vcc, or(1, .L_ZL14no_device_codePKciS0_iS0_.uses_vcc)
	.set _ZL15flash_attn_tileILi64ELi64ELi16ELi1ELb1EEvPKcS1_S1_S1_S1_PKiPfP15HIP_vector_typeIfLj2EEffffjfiS5_IjLj3EEiiiiiiiiiiiliiliiiiil.uses_flat_scratch, or(0, .L_ZL14no_device_codePKciS0_iS0_.uses_flat_scratch)
	.set _ZL15flash_attn_tileILi64ELi64ELi16ELi1ELb1EEvPKcS1_S1_S1_S1_PKiPfP15HIP_vector_typeIfLj2EEffffjfiS5_IjLj3EEiiiiiiiiiiiliiliiiiil.has_dyn_sized_stack, or(0, .L_ZL14no_device_codePKciS0_iS0_.has_dyn_sized_stack)
	.set _ZL15flash_attn_tileILi64ELi64ELi16ELi1ELb1EEvPKcS1_S1_S1_S1_PKiPfP15HIP_vector_typeIfLj2EEffffjfiS5_IjLj3EEiiiiiiiiiiiliiliiiiil.has_recursion, or(0, .L_ZL14no_device_codePKciS0_iS0_.has_recursion)
	.set _ZL15flash_attn_tileILi64ELi64ELi16ELi1ELb1EEvPKcS1_S1_S1_S1_PKiPfP15HIP_vector_typeIfLj2EEffffjfiS5_IjLj3EEiiiiiiiiiiiliiliiiiil.has_indirect_call, or(0, .L_ZL14no_device_codePKciS0_iS0_.has_indirect_call)
	.section	.AMDGPU.csdata,"",@progbits
; Kernel info:
; codeLenInByte = 48
; TotalNumSgprs: 38
; NumVgprs: 41
; ScratchSize: 16
; MemoryBound: 0
; FloatMode: 240
; IeeeMode: 1
; LDSByteSize: 0 bytes/workgroup (compile time only)
; SGPRBlocks: 4
; VGPRBlocks: 10
; NumSGPRsForWavesPerEU: 38
; NumVGPRsForWavesPerEU: 41
; Occupancy: 5
; WaveLimiterHint : 1
; COMPUTE_PGM_RSRC2:SCRATCH_EN: 1
; COMPUTE_PGM_RSRC2:USER_SGPR: 6
; COMPUTE_PGM_RSRC2:TRAP_HANDLER: 0
; COMPUTE_PGM_RSRC2:TGID_X_EN: 1
; COMPUTE_PGM_RSRC2:TGID_Y_EN: 0
; COMPUTE_PGM_RSRC2:TGID_Z_EN: 0
; COMPUTE_PGM_RSRC2:TIDIG_COMP_CNT: 0
	.section	.text._ZL15flash_attn_tileILi64ELi64ELi8ELi1ELb1EEvPKcS1_S1_S1_S1_PKiPfP15HIP_vector_typeIfLj2EEffffjfiS5_IjLj3EEiiiiiiiiiiiliiliiiiil,"axG",@progbits,_ZL15flash_attn_tileILi64ELi64ELi8ELi1ELb1EEvPKcS1_S1_S1_S1_PKiPfP15HIP_vector_typeIfLj2EEffffjfiS5_IjLj3EEiiiiiiiiiiiliiliiiiil,comdat
	.globl	_ZL15flash_attn_tileILi64ELi64ELi8ELi1ELb1EEvPKcS1_S1_S1_S1_PKiPfP15HIP_vector_typeIfLj2EEffffjfiS5_IjLj3EEiiiiiiiiiiiliiliiiiil ; -- Begin function _ZL15flash_attn_tileILi64ELi64ELi8ELi1ELb1EEvPKcS1_S1_S1_S1_PKiPfP15HIP_vector_typeIfLj2EEffffjfiS5_IjLj3EEiiiiiiiiiiiliiliiiiil
	.p2align	8
	.type	_ZL15flash_attn_tileILi64ELi64ELi8ELi1ELb1EEvPKcS1_S1_S1_S1_PKiPfP15HIP_vector_typeIfLj2EEffffjfiS5_IjLj3EEiiiiiiiiiiiliiliiiiil,@function
_ZL15flash_attn_tileILi64ELi64ELi8ELi1ELb1EEvPKcS1_S1_S1_S1_PKiPfP15HIP_vector_typeIfLj2EEffffjfiS5_IjLj3EEiiiiiiiiiiiliiliiiiil: ; @_ZL15flash_attn_tileILi64ELi64ELi8ELi1ELb1EEvPKcS1_S1_S1_S1_PKiPfP15HIP_vector_typeIfLj2EEffffjfiS5_IjLj3EEiiiiiiiiiiiliiliiiiil
; %bb.0:
	s_add_u32 s0, s0, s7
	s_addc_u32 s1, s1, 0
	s_add_u32 s8, s4, 0xd0
	s_addc_u32 s9, s5, 0
	s_getpc_b64 s[4:5]
	s_add_u32 s4, s4, _ZL14no_device_codePKciS0_iS0_@rel32@lo+4
	s_addc_u32 s5, s5, _ZL14no_device_codePKciS0_iS0_@rel32@hi+12
	s_mov_b32 s32, 0
	s_swappc_b64 s[30:31], s[4:5]
	.section	.rodata,"a",@progbits
	.p2align	6, 0x0
	.amdhsa_kernel _ZL15flash_attn_tileILi64ELi64ELi8ELi1ELb1EEvPKcS1_S1_S1_S1_PKiPfP15HIP_vector_typeIfLj2EEffffjfiS5_IjLj3EEiiiiiiiiiiiliiliiiiil
		.amdhsa_group_segment_fixed_size 0
		.amdhsa_private_segment_fixed_size 16
		.amdhsa_kernarg_size 464
		.amdhsa_user_sgpr_count 6
		.amdhsa_user_sgpr_private_segment_buffer 1
		.amdhsa_user_sgpr_dispatch_ptr 0
		.amdhsa_user_sgpr_queue_ptr 0
		.amdhsa_user_sgpr_kernarg_segment_ptr 1
		.amdhsa_user_sgpr_dispatch_id 0
		.amdhsa_user_sgpr_flat_scratch_init 0
		.amdhsa_user_sgpr_private_segment_size 0
		.amdhsa_uses_dynamic_stack 0
		.amdhsa_system_sgpr_private_segment_wavefront_offset 1
		.amdhsa_system_sgpr_workgroup_id_x 1
		.amdhsa_system_sgpr_workgroup_id_y 0
		.amdhsa_system_sgpr_workgroup_id_z 0
		.amdhsa_system_sgpr_workgroup_info 0
		.amdhsa_system_vgpr_workitem_id 0
		.amdhsa_next_free_vgpr 41
		.amdhsa_next_free_sgpr 34
		.amdhsa_reserve_vcc 1
		.amdhsa_reserve_flat_scratch 0
		.amdhsa_float_round_mode_32 0
		.amdhsa_float_round_mode_16_64 0
		.amdhsa_float_denorm_mode_32 3
		.amdhsa_float_denorm_mode_16_64 3
		.amdhsa_dx10_clamp 1
		.amdhsa_ieee_mode 1
		.amdhsa_fp16_overflow 0
		.amdhsa_exception_fp_ieee_invalid_op 0
		.amdhsa_exception_fp_denorm_src 0
		.amdhsa_exception_fp_ieee_div_zero 0
		.amdhsa_exception_fp_ieee_overflow 0
		.amdhsa_exception_fp_ieee_underflow 0
		.amdhsa_exception_fp_ieee_inexact 0
		.amdhsa_exception_int_div_zero 0
	.end_amdhsa_kernel
	.section	.text._ZL15flash_attn_tileILi64ELi64ELi8ELi1ELb1EEvPKcS1_S1_S1_S1_PKiPfP15HIP_vector_typeIfLj2EEffffjfiS5_IjLj3EEiiiiiiiiiiiliiliiiiil,"axG",@progbits,_ZL15flash_attn_tileILi64ELi64ELi8ELi1ELb1EEvPKcS1_S1_S1_S1_PKiPfP15HIP_vector_typeIfLj2EEffffjfiS5_IjLj3EEiiiiiiiiiiiliiliiiiil,comdat
.Lfunc_end92:
	.size	_ZL15flash_attn_tileILi64ELi64ELi8ELi1ELb1EEvPKcS1_S1_S1_S1_PKiPfP15HIP_vector_typeIfLj2EEffffjfiS5_IjLj3EEiiiiiiiiiiiliiliiiiil, .Lfunc_end92-_ZL15flash_attn_tileILi64ELi64ELi8ELi1ELb1EEvPKcS1_S1_S1_S1_PKiPfP15HIP_vector_typeIfLj2EEffffjfiS5_IjLj3EEiiiiiiiiiiiliiliiiiil
                                        ; -- End function
	.set _ZL15flash_attn_tileILi64ELi64ELi8ELi1ELb1EEvPKcS1_S1_S1_S1_PKiPfP15HIP_vector_typeIfLj2EEffffjfiS5_IjLj3EEiiiiiiiiiiiliiliiiiil.num_vgpr, max(0, .L_ZL14no_device_codePKciS0_iS0_.num_vgpr)
	.set _ZL15flash_attn_tileILi64ELi64ELi8ELi1ELb1EEvPKcS1_S1_S1_S1_PKiPfP15HIP_vector_typeIfLj2EEffffjfiS5_IjLj3EEiiiiiiiiiiiliiliiiiil.num_agpr, max(0, .L_ZL14no_device_codePKciS0_iS0_.num_agpr)
	.set _ZL15flash_attn_tileILi64ELi64ELi8ELi1ELb1EEvPKcS1_S1_S1_S1_PKiPfP15HIP_vector_typeIfLj2EEffffjfiS5_IjLj3EEiiiiiiiiiiiliiliiiiil.numbered_sgpr, max(33, .L_ZL14no_device_codePKciS0_iS0_.numbered_sgpr)
	.set _ZL15flash_attn_tileILi64ELi64ELi8ELi1ELb1EEvPKcS1_S1_S1_S1_PKiPfP15HIP_vector_typeIfLj2EEffffjfiS5_IjLj3EEiiiiiiiiiiiliiliiiiil.num_named_barrier, max(0, .L_ZL14no_device_codePKciS0_iS0_.num_named_barrier)
	.set _ZL15flash_attn_tileILi64ELi64ELi8ELi1ELb1EEvPKcS1_S1_S1_S1_PKiPfP15HIP_vector_typeIfLj2EEffffjfiS5_IjLj3EEiiiiiiiiiiiliiliiiiil.private_seg_size, 0+max(.L_ZL14no_device_codePKciS0_iS0_.private_seg_size)
	.set _ZL15flash_attn_tileILi64ELi64ELi8ELi1ELb1EEvPKcS1_S1_S1_S1_PKiPfP15HIP_vector_typeIfLj2EEffffjfiS5_IjLj3EEiiiiiiiiiiiliiliiiiil.uses_vcc, or(1, .L_ZL14no_device_codePKciS0_iS0_.uses_vcc)
	.set _ZL15flash_attn_tileILi64ELi64ELi8ELi1ELb1EEvPKcS1_S1_S1_S1_PKiPfP15HIP_vector_typeIfLj2EEffffjfiS5_IjLj3EEiiiiiiiiiiiliiliiiiil.uses_flat_scratch, or(0, .L_ZL14no_device_codePKciS0_iS0_.uses_flat_scratch)
	.set _ZL15flash_attn_tileILi64ELi64ELi8ELi1ELb1EEvPKcS1_S1_S1_S1_PKiPfP15HIP_vector_typeIfLj2EEffffjfiS5_IjLj3EEiiiiiiiiiiiliiliiiiil.has_dyn_sized_stack, or(0, .L_ZL14no_device_codePKciS0_iS0_.has_dyn_sized_stack)
	.set _ZL15flash_attn_tileILi64ELi64ELi8ELi1ELb1EEvPKcS1_S1_S1_S1_PKiPfP15HIP_vector_typeIfLj2EEffffjfiS5_IjLj3EEiiiiiiiiiiiliiliiiiil.has_recursion, or(0, .L_ZL14no_device_codePKciS0_iS0_.has_recursion)
	.set _ZL15flash_attn_tileILi64ELi64ELi8ELi1ELb1EEvPKcS1_S1_S1_S1_PKiPfP15HIP_vector_typeIfLj2EEffffjfiS5_IjLj3EEiiiiiiiiiiiliiliiiiil.has_indirect_call, or(0, .L_ZL14no_device_codePKciS0_iS0_.has_indirect_call)
	.section	.AMDGPU.csdata,"",@progbits
; Kernel info:
; codeLenInByte = 48
; TotalNumSgprs: 38
; NumVgprs: 41
; ScratchSize: 16
; MemoryBound: 0
; FloatMode: 240
; IeeeMode: 1
; LDSByteSize: 0 bytes/workgroup (compile time only)
; SGPRBlocks: 4
; VGPRBlocks: 10
; NumSGPRsForWavesPerEU: 38
; NumVGPRsForWavesPerEU: 41
; Occupancy: 5
; WaveLimiterHint : 1
; COMPUTE_PGM_RSRC2:SCRATCH_EN: 1
; COMPUTE_PGM_RSRC2:USER_SGPR: 6
; COMPUTE_PGM_RSRC2:TRAP_HANDLER: 0
; COMPUTE_PGM_RSRC2:TGID_X_EN: 1
; COMPUTE_PGM_RSRC2:TGID_Y_EN: 0
; COMPUTE_PGM_RSRC2:TGID_Z_EN: 0
; COMPUTE_PGM_RSRC2:TIDIG_COMP_CNT: 0
	.section	.text._ZL15flash_attn_tileILi64ELi64ELi4ELi1ELb1EEvPKcS1_S1_S1_S1_PKiPfP15HIP_vector_typeIfLj2EEffffjfiS5_IjLj3EEiiiiiiiiiiiliiliiiiil,"axG",@progbits,_ZL15flash_attn_tileILi64ELi64ELi4ELi1ELb1EEvPKcS1_S1_S1_S1_PKiPfP15HIP_vector_typeIfLj2EEffffjfiS5_IjLj3EEiiiiiiiiiiiliiliiiiil,comdat
	.globl	_ZL15flash_attn_tileILi64ELi64ELi4ELi1ELb1EEvPKcS1_S1_S1_S1_PKiPfP15HIP_vector_typeIfLj2EEffffjfiS5_IjLj3EEiiiiiiiiiiiliiliiiiil ; -- Begin function _ZL15flash_attn_tileILi64ELi64ELi4ELi1ELb1EEvPKcS1_S1_S1_S1_PKiPfP15HIP_vector_typeIfLj2EEffffjfiS5_IjLj3EEiiiiiiiiiiiliiliiiiil
	.p2align	8
	.type	_ZL15flash_attn_tileILi64ELi64ELi4ELi1ELb1EEvPKcS1_S1_S1_S1_PKiPfP15HIP_vector_typeIfLj2EEffffjfiS5_IjLj3EEiiiiiiiiiiiliiliiiiil,@function
_ZL15flash_attn_tileILi64ELi64ELi4ELi1ELb1EEvPKcS1_S1_S1_S1_PKiPfP15HIP_vector_typeIfLj2EEffffjfiS5_IjLj3EEiiiiiiiiiiiliiliiiiil: ; @_ZL15flash_attn_tileILi64ELi64ELi4ELi1ELb1EEvPKcS1_S1_S1_S1_PKiPfP15HIP_vector_typeIfLj2EEffffjfiS5_IjLj3EEiiiiiiiiiiiliiliiiiil
; %bb.0:
	s_add_u32 s0, s0, s7
	s_addc_u32 s1, s1, 0
	s_add_u32 s8, s4, 0xd0
	s_addc_u32 s9, s5, 0
	s_getpc_b64 s[4:5]
	s_add_u32 s4, s4, _ZL14no_device_codePKciS0_iS0_@rel32@lo+4
	s_addc_u32 s5, s5, _ZL14no_device_codePKciS0_iS0_@rel32@hi+12
	s_mov_b32 s32, 0
	s_swappc_b64 s[30:31], s[4:5]
	.section	.rodata,"a",@progbits
	.p2align	6, 0x0
	.amdhsa_kernel _ZL15flash_attn_tileILi64ELi64ELi4ELi1ELb1EEvPKcS1_S1_S1_S1_PKiPfP15HIP_vector_typeIfLj2EEffffjfiS5_IjLj3EEiiiiiiiiiiiliiliiiiil
		.amdhsa_group_segment_fixed_size 0
		.amdhsa_private_segment_fixed_size 16
		.amdhsa_kernarg_size 464
		.amdhsa_user_sgpr_count 6
		.amdhsa_user_sgpr_private_segment_buffer 1
		.amdhsa_user_sgpr_dispatch_ptr 0
		.amdhsa_user_sgpr_queue_ptr 0
		.amdhsa_user_sgpr_kernarg_segment_ptr 1
		.amdhsa_user_sgpr_dispatch_id 0
		.amdhsa_user_sgpr_flat_scratch_init 0
		.amdhsa_user_sgpr_private_segment_size 0
		.amdhsa_uses_dynamic_stack 0
		.amdhsa_system_sgpr_private_segment_wavefront_offset 1
		.amdhsa_system_sgpr_workgroup_id_x 1
		.amdhsa_system_sgpr_workgroup_id_y 0
		.amdhsa_system_sgpr_workgroup_id_z 0
		.amdhsa_system_sgpr_workgroup_info 0
		.amdhsa_system_vgpr_workitem_id 0
		.amdhsa_next_free_vgpr 41
		.amdhsa_next_free_sgpr 34
		.amdhsa_reserve_vcc 1
		.amdhsa_reserve_flat_scratch 0
		.amdhsa_float_round_mode_32 0
		.amdhsa_float_round_mode_16_64 0
		.amdhsa_float_denorm_mode_32 3
		.amdhsa_float_denorm_mode_16_64 3
		.amdhsa_dx10_clamp 1
		.amdhsa_ieee_mode 1
		.amdhsa_fp16_overflow 0
		.amdhsa_exception_fp_ieee_invalid_op 0
		.amdhsa_exception_fp_denorm_src 0
		.amdhsa_exception_fp_ieee_div_zero 0
		.amdhsa_exception_fp_ieee_overflow 0
		.amdhsa_exception_fp_ieee_underflow 0
		.amdhsa_exception_fp_ieee_inexact 0
		.amdhsa_exception_int_div_zero 0
	.end_amdhsa_kernel
	.section	.text._ZL15flash_attn_tileILi64ELi64ELi4ELi1ELb1EEvPKcS1_S1_S1_S1_PKiPfP15HIP_vector_typeIfLj2EEffffjfiS5_IjLj3EEiiiiiiiiiiiliiliiiiil,"axG",@progbits,_ZL15flash_attn_tileILi64ELi64ELi4ELi1ELb1EEvPKcS1_S1_S1_S1_PKiPfP15HIP_vector_typeIfLj2EEffffjfiS5_IjLj3EEiiiiiiiiiiiliiliiiiil,comdat
.Lfunc_end93:
	.size	_ZL15flash_attn_tileILi64ELi64ELi4ELi1ELb1EEvPKcS1_S1_S1_S1_PKiPfP15HIP_vector_typeIfLj2EEffffjfiS5_IjLj3EEiiiiiiiiiiiliiliiiiil, .Lfunc_end93-_ZL15flash_attn_tileILi64ELi64ELi4ELi1ELb1EEvPKcS1_S1_S1_S1_PKiPfP15HIP_vector_typeIfLj2EEffffjfiS5_IjLj3EEiiiiiiiiiiiliiliiiiil
                                        ; -- End function
	.set _ZL15flash_attn_tileILi64ELi64ELi4ELi1ELb1EEvPKcS1_S1_S1_S1_PKiPfP15HIP_vector_typeIfLj2EEffffjfiS5_IjLj3EEiiiiiiiiiiiliiliiiiil.num_vgpr, max(0, .L_ZL14no_device_codePKciS0_iS0_.num_vgpr)
	.set _ZL15flash_attn_tileILi64ELi64ELi4ELi1ELb1EEvPKcS1_S1_S1_S1_PKiPfP15HIP_vector_typeIfLj2EEffffjfiS5_IjLj3EEiiiiiiiiiiiliiliiiiil.num_agpr, max(0, .L_ZL14no_device_codePKciS0_iS0_.num_agpr)
	.set _ZL15flash_attn_tileILi64ELi64ELi4ELi1ELb1EEvPKcS1_S1_S1_S1_PKiPfP15HIP_vector_typeIfLj2EEffffjfiS5_IjLj3EEiiiiiiiiiiiliiliiiiil.numbered_sgpr, max(33, .L_ZL14no_device_codePKciS0_iS0_.numbered_sgpr)
	.set _ZL15flash_attn_tileILi64ELi64ELi4ELi1ELb1EEvPKcS1_S1_S1_S1_PKiPfP15HIP_vector_typeIfLj2EEffffjfiS5_IjLj3EEiiiiiiiiiiiliiliiiiil.num_named_barrier, max(0, .L_ZL14no_device_codePKciS0_iS0_.num_named_barrier)
	.set _ZL15flash_attn_tileILi64ELi64ELi4ELi1ELb1EEvPKcS1_S1_S1_S1_PKiPfP15HIP_vector_typeIfLj2EEffffjfiS5_IjLj3EEiiiiiiiiiiiliiliiiiil.private_seg_size, 0+max(.L_ZL14no_device_codePKciS0_iS0_.private_seg_size)
	.set _ZL15flash_attn_tileILi64ELi64ELi4ELi1ELb1EEvPKcS1_S1_S1_S1_PKiPfP15HIP_vector_typeIfLj2EEffffjfiS5_IjLj3EEiiiiiiiiiiiliiliiiiil.uses_vcc, or(1, .L_ZL14no_device_codePKciS0_iS0_.uses_vcc)
	.set _ZL15flash_attn_tileILi64ELi64ELi4ELi1ELb1EEvPKcS1_S1_S1_S1_PKiPfP15HIP_vector_typeIfLj2EEffffjfiS5_IjLj3EEiiiiiiiiiiiliiliiiiil.uses_flat_scratch, or(0, .L_ZL14no_device_codePKciS0_iS0_.uses_flat_scratch)
	.set _ZL15flash_attn_tileILi64ELi64ELi4ELi1ELb1EEvPKcS1_S1_S1_S1_PKiPfP15HIP_vector_typeIfLj2EEffffjfiS5_IjLj3EEiiiiiiiiiiiliiliiiiil.has_dyn_sized_stack, or(0, .L_ZL14no_device_codePKciS0_iS0_.has_dyn_sized_stack)
	.set _ZL15flash_attn_tileILi64ELi64ELi4ELi1ELb1EEvPKcS1_S1_S1_S1_PKiPfP15HIP_vector_typeIfLj2EEffffjfiS5_IjLj3EEiiiiiiiiiiiliiliiiiil.has_recursion, or(0, .L_ZL14no_device_codePKciS0_iS0_.has_recursion)
	.set _ZL15flash_attn_tileILi64ELi64ELi4ELi1ELb1EEvPKcS1_S1_S1_S1_PKiPfP15HIP_vector_typeIfLj2EEffffjfiS5_IjLj3EEiiiiiiiiiiiliiliiiiil.has_indirect_call, or(0, .L_ZL14no_device_codePKciS0_iS0_.has_indirect_call)
	.section	.AMDGPU.csdata,"",@progbits
; Kernel info:
; codeLenInByte = 48
; TotalNumSgprs: 38
; NumVgprs: 41
; ScratchSize: 16
; MemoryBound: 0
; FloatMode: 240
; IeeeMode: 1
; LDSByteSize: 0 bytes/workgroup (compile time only)
; SGPRBlocks: 4
; VGPRBlocks: 10
; NumSGPRsForWavesPerEU: 38
; NumVGPRsForWavesPerEU: 41
; Occupancy: 5
; WaveLimiterHint : 1
; COMPUTE_PGM_RSRC2:SCRATCH_EN: 1
; COMPUTE_PGM_RSRC2:USER_SGPR: 6
; COMPUTE_PGM_RSRC2:TRAP_HANDLER: 0
; COMPUTE_PGM_RSRC2:TGID_X_EN: 1
; COMPUTE_PGM_RSRC2:TGID_Y_EN: 0
; COMPUTE_PGM_RSRC2:TGID_Z_EN: 0
; COMPUTE_PGM_RSRC2:TIDIG_COMP_CNT: 0
	.section	.text._ZL15flash_attn_tileILi64ELi64ELi2ELi1ELb1EEvPKcS1_S1_S1_S1_PKiPfP15HIP_vector_typeIfLj2EEffffjfiS5_IjLj3EEiiiiiiiiiiiliiliiiiil,"axG",@progbits,_ZL15flash_attn_tileILi64ELi64ELi2ELi1ELb1EEvPKcS1_S1_S1_S1_PKiPfP15HIP_vector_typeIfLj2EEffffjfiS5_IjLj3EEiiiiiiiiiiiliiliiiiil,comdat
	.globl	_ZL15flash_attn_tileILi64ELi64ELi2ELi1ELb1EEvPKcS1_S1_S1_S1_PKiPfP15HIP_vector_typeIfLj2EEffffjfiS5_IjLj3EEiiiiiiiiiiiliiliiiiil ; -- Begin function _ZL15flash_attn_tileILi64ELi64ELi2ELi1ELb1EEvPKcS1_S1_S1_S1_PKiPfP15HIP_vector_typeIfLj2EEffffjfiS5_IjLj3EEiiiiiiiiiiiliiliiiiil
	.p2align	8
	.type	_ZL15flash_attn_tileILi64ELi64ELi2ELi1ELb1EEvPKcS1_S1_S1_S1_PKiPfP15HIP_vector_typeIfLj2EEffffjfiS5_IjLj3EEiiiiiiiiiiiliiliiiiil,@function
_ZL15flash_attn_tileILi64ELi64ELi2ELi1ELb1EEvPKcS1_S1_S1_S1_PKiPfP15HIP_vector_typeIfLj2EEffffjfiS5_IjLj3EEiiiiiiiiiiiliiliiiiil: ; @_ZL15flash_attn_tileILi64ELi64ELi2ELi1ELb1EEvPKcS1_S1_S1_S1_PKiPfP15HIP_vector_typeIfLj2EEffffjfiS5_IjLj3EEiiiiiiiiiiiliiliiiiil
; %bb.0:
	s_add_u32 s0, s0, s7
	s_addc_u32 s1, s1, 0
	s_add_u32 s8, s4, 0xd0
	s_addc_u32 s9, s5, 0
	s_getpc_b64 s[4:5]
	s_add_u32 s4, s4, _ZL14no_device_codePKciS0_iS0_@rel32@lo+4
	s_addc_u32 s5, s5, _ZL14no_device_codePKciS0_iS0_@rel32@hi+12
	s_mov_b32 s32, 0
	s_swappc_b64 s[30:31], s[4:5]
	.section	.rodata,"a",@progbits
	.p2align	6, 0x0
	.amdhsa_kernel _ZL15flash_attn_tileILi64ELi64ELi2ELi1ELb1EEvPKcS1_S1_S1_S1_PKiPfP15HIP_vector_typeIfLj2EEffffjfiS5_IjLj3EEiiiiiiiiiiiliiliiiiil
		.amdhsa_group_segment_fixed_size 0
		.amdhsa_private_segment_fixed_size 16
		.amdhsa_kernarg_size 464
		.amdhsa_user_sgpr_count 6
		.amdhsa_user_sgpr_private_segment_buffer 1
		.amdhsa_user_sgpr_dispatch_ptr 0
		.amdhsa_user_sgpr_queue_ptr 0
		.amdhsa_user_sgpr_kernarg_segment_ptr 1
		.amdhsa_user_sgpr_dispatch_id 0
		.amdhsa_user_sgpr_flat_scratch_init 0
		.amdhsa_user_sgpr_private_segment_size 0
		.amdhsa_uses_dynamic_stack 0
		.amdhsa_system_sgpr_private_segment_wavefront_offset 1
		.amdhsa_system_sgpr_workgroup_id_x 1
		.amdhsa_system_sgpr_workgroup_id_y 0
		.amdhsa_system_sgpr_workgroup_id_z 0
		.amdhsa_system_sgpr_workgroup_info 0
		.amdhsa_system_vgpr_workitem_id 0
		.amdhsa_next_free_vgpr 41
		.amdhsa_next_free_sgpr 34
		.amdhsa_reserve_vcc 1
		.amdhsa_reserve_flat_scratch 0
		.amdhsa_float_round_mode_32 0
		.amdhsa_float_round_mode_16_64 0
		.amdhsa_float_denorm_mode_32 3
		.amdhsa_float_denorm_mode_16_64 3
		.amdhsa_dx10_clamp 1
		.amdhsa_ieee_mode 1
		.amdhsa_fp16_overflow 0
		.amdhsa_exception_fp_ieee_invalid_op 0
		.amdhsa_exception_fp_denorm_src 0
		.amdhsa_exception_fp_ieee_div_zero 0
		.amdhsa_exception_fp_ieee_overflow 0
		.amdhsa_exception_fp_ieee_underflow 0
		.amdhsa_exception_fp_ieee_inexact 0
		.amdhsa_exception_int_div_zero 0
	.end_amdhsa_kernel
	.section	.text._ZL15flash_attn_tileILi64ELi64ELi2ELi1ELb1EEvPKcS1_S1_S1_S1_PKiPfP15HIP_vector_typeIfLj2EEffffjfiS5_IjLj3EEiiiiiiiiiiiliiliiiiil,"axG",@progbits,_ZL15flash_attn_tileILi64ELi64ELi2ELi1ELb1EEvPKcS1_S1_S1_S1_PKiPfP15HIP_vector_typeIfLj2EEffffjfiS5_IjLj3EEiiiiiiiiiiiliiliiiiil,comdat
.Lfunc_end94:
	.size	_ZL15flash_attn_tileILi64ELi64ELi2ELi1ELb1EEvPKcS1_S1_S1_S1_PKiPfP15HIP_vector_typeIfLj2EEffffjfiS5_IjLj3EEiiiiiiiiiiiliiliiiiil, .Lfunc_end94-_ZL15flash_attn_tileILi64ELi64ELi2ELi1ELb1EEvPKcS1_S1_S1_S1_PKiPfP15HIP_vector_typeIfLj2EEffffjfiS5_IjLj3EEiiiiiiiiiiiliiliiiiil
                                        ; -- End function
	.set _ZL15flash_attn_tileILi64ELi64ELi2ELi1ELb1EEvPKcS1_S1_S1_S1_PKiPfP15HIP_vector_typeIfLj2EEffffjfiS5_IjLj3EEiiiiiiiiiiiliiliiiiil.num_vgpr, max(0, .L_ZL14no_device_codePKciS0_iS0_.num_vgpr)
	.set _ZL15flash_attn_tileILi64ELi64ELi2ELi1ELb1EEvPKcS1_S1_S1_S1_PKiPfP15HIP_vector_typeIfLj2EEffffjfiS5_IjLj3EEiiiiiiiiiiiliiliiiiil.num_agpr, max(0, .L_ZL14no_device_codePKciS0_iS0_.num_agpr)
	.set _ZL15flash_attn_tileILi64ELi64ELi2ELi1ELb1EEvPKcS1_S1_S1_S1_PKiPfP15HIP_vector_typeIfLj2EEffffjfiS5_IjLj3EEiiiiiiiiiiiliiliiiiil.numbered_sgpr, max(33, .L_ZL14no_device_codePKciS0_iS0_.numbered_sgpr)
	.set _ZL15flash_attn_tileILi64ELi64ELi2ELi1ELb1EEvPKcS1_S1_S1_S1_PKiPfP15HIP_vector_typeIfLj2EEffffjfiS5_IjLj3EEiiiiiiiiiiiliiliiiiil.num_named_barrier, max(0, .L_ZL14no_device_codePKciS0_iS0_.num_named_barrier)
	.set _ZL15flash_attn_tileILi64ELi64ELi2ELi1ELb1EEvPKcS1_S1_S1_S1_PKiPfP15HIP_vector_typeIfLj2EEffffjfiS5_IjLj3EEiiiiiiiiiiiliiliiiiil.private_seg_size, 0+max(.L_ZL14no_device_codePKciS0_iS0_.private_seg_size)
	.set _ZL15flash_attn_tileILi64ELi64ELi2ELi1ELb1EEvPKcS1_S1_S1_S1_PKiPfP15HIP_vector_typeIfLj2EEffffjfiS5_IjLj3EEiiiiiiiiiiiliiliiiiil.uses_vcc, or(1, .L_ZL14no_device_codePKciS0_iS0_.uses_vcc)
	.set _ZL15flash_attn_tileILi64ELi64ELi2ELi1ELb1EEvPKcS1_S1_S1_S1_PKiPfP15HIP_vector_typeIfLj2EEffffjfiS5_IjLj3EEiiiiiiiiiiiliiliiiiil.uses_flat_scratch, or(0, .L_ZL14no_device_codePKciS0_iS0_.uses_flat_scratch)
	.set _ZL15flash_attn_tileILi64ELi64ELi2ELi1ELb1EEvPKcS1_S1_S1_S1_PKiPfP15HIP_vector_typeIfLj2EEffffjfiS5_IjLj3EEiiiiiiiiiiiliiliiiiil.has_dyn_sized_stack, or(0, .L_ZL14no_device_codePKciS0_iS0_.has_dyn_sized_stack)
	.set _ZL15flash_attn_tileILi64ELi64ELi2ELi1ELb1EEvPKcS1_S1_S1_S1_PKiPfP15HIP_vector_typeIfLj2EEffffjfiS5_IjLj3EEiiiiiiiiiiiliiliiiiil.has_recursion, or(0, .L_ZL14no_device_codePKciS0_iS0_.has_recursion)
	.set _ZL15flash_attn_tileILi64ELi64ELi2ELi1ELb1EEvPKcS1_S1_S1_S1_PKiPfP15HIP_vector_typeIfLj2EEffffjfiS5_IjLj3EEiiiiiiiiiiiliiliiiiil.has_indirect_call, or(0, .L_ZL14no_device_codePKciS0_iS0_.has_indirect_call)
	.section	.AMDGPU.csdata,"",@progbits
; Kernel info:
; codeLenInByte = 48
; TotalNumSgprs: 38
; NumVgprs: 41
; ScratchSize: 16
; MemoryBound: 0
; FloatMode: 240
; IeeeMode: 1
; LDSByteSize: 0 bytes/workgroup (compile time only)
; SGPRBlocks: 4
; VGPRBlocks: 10
; NumSGPRsForWavesPerEU: 38
; NumVGPRsForWavesPerEU: 41
; Occupancy: 5
; WaveLimiterHint : 1
; COMPUTE_PGM_RSRC2:SCRATCH_EN: 1
; COMPUTE_PGM_RSRC2:USER_SGPR: 6
; COMPUTE_PGM_RSRC2:TRAP_HANDLER: 0
; COMPUTE_PGM_RSRC2:TGID_X_EN: 1
; COMPUTE_PGM_RSRC2:TGID_Y_EN: 0
; COMPUTE_PGM_RSRC2:TGID_Z_EN: 0
; COMPUTE_PGM_RSRC2:TIDIG_COMP_CNT: 0
	.section	.AMDGPU.gpr_maximums,"",@progbits
	.set amdgpu.max_num_vgpr, 41
	.set amdgpu.max_num_agpr, 0
	.set amdgpu.max_num_sgpr, 34
	.section	.AMDGPU.csdata,"",@progbits
	.type	.str.3,@object                  ; @.str.3
	.section	.rodata.str1.1,"aMS",@progbits,1
.str.3:
	.asciz	"/root/src/amdgpu-assembly/repos/ggml-org__llama.cpp/ggml/src/ggml-cuda/template-instances/../fattn-tile.cuh"
	.size	.str.3, 108

	.type	__FUNCTION__._ZL15flash_attn_tileILi64ELi64ELi8ELi8ELb1EEvPKcS1_S1_S1_S1_PKiPfP15HIP_vector_typeIfLj2EEffffjfiS5_IjLj3EEiiiiiiiiiiiliiliiiiil,@object ; @__FUNCTION__._ZL15flash_attn_tileILi64ELi64ELi8ELi8ELb1EEvPKcS1_S1_S1_S1_PKiPfP15HIP_vector_typeIfLj2EEffffjfiS5_IjLj3EEiiiiiiiiiiiliiliiiiil
__FUNCTION__._ZL15flash_attn_tileILi64ELi64ELi8ELi8ELb1EEvPKcS1_S1_S1_S1_PKiPfP15HIP_vector_typeIfLj2EEffffjfiS5_IjLj3EEiiiiiiiiiiiliiliiiiil:
	.asciz	"flash_attn_tile"
	.size	__FUNCTION__._ZL15flash_attn_tileILi64ELi64ELi8ELi8ELb1EEvPKcS1_S1_S1_S1_PKiPfP15HIP_vector_typeIfLj2EEffffjfiS5_IjLj3EEiiiiiiiiiiiliiliiiiil, 16

	.type	.str.5,@object                  ; @.str.5
.str.5:
	.asciz	"%s:%d: ERROR: HIP kernel %s has no device code compatible with HIP arch %d.\n"
	.size	.str.5, 77

	.type	__hip_cuid_66c749eba18e0aa5,@object ; @__hip_cuid_66c749eba18e0aa5
	.section	.bss,"aw",@nobits
	.globl	__hip_cuid_66c749eba18e0aa5
__hip_cuid_66c749eba18e0aa5:
	.byte	0                               ; 0x0
	.size	__hip_cuid_66c749eba18e0aa5, 1

	.ident	"AMD clang version 22.0.0git (https://github.com/RadeonOpenCompute/llvm-project roc-7.2.4 26084 f58b06dce1f9c15707c5f808fd002e18c2accf7e)"
	.section	".note.GNU-stack","",@progbits
	.addrsig
	.addrsig_sym __hip_cuid_66c749eba18e0aa5
	.amdgpu_metadata
---
amdhsa.kernels:
  - .args:
      - .address_space:  global
        .offset:         0
        .size:           8
        .value_kind:     global_buffer
      - .address_space:  global
        .offset:         8
        .size:           8
        .value_kind:     global_buffer
      - .address_space:  global
        .offset:         16
        .size:           8
        .value_kind:     global_buffer
      - .address_space:  global
        .offset:         24
        .size:           8
        .value_kind:     global_buffer
      - .address_space:  global
        .offset:         32
        .size:           8
        .value_kind:     global_buffer
      - .address_space:  global
        .offset:         40
        .size:           8
        .value_kind:     global_buffer
      - .address_space:  global
        .offset:         48
        .size:           8
        .value_kind:     global_buffer
      - .address_space:  global
        .offset:         56
        .size:           8
        .value_kind:     global_buffer
      - .offset:         64
        .size:           4
        .value_kind:     by_value
      - .offset:         68
        .size:           4
        .value_kind:     by_value
      - .offset:         72
        .size:           4
        .value_kind:     by_value
      - .offset:         76
        .size:           4
        .value_kind:     by_value
      - .offset:         80
        .size:           4
        .value_kind:     by_value
      - .offset:         84
        .size:           4
        .value_kind:     by_value
      - .offset:         88
        .size:           4
        .value_kind:     by_value
      - .offset:         92
        .size:           12
        .value_kind:     by_value
      - .offset:         104
        .size:           4
        .value_kind:     by_value
      - .offset:         108
        .size:           4
        .value_kind:     by_value
      - .offset:         112
        .size:           4
        .value_kind:     by_value
      - .offset:         116
        .size:           4
        .value_kind:     by_value
      - .offset:         120
        .size:           4
        .value_kind:     by_value
      - .offset:         124
        .size:           4
        .value_kind:     by_value
      - .offset:         128
        .size:           4
        .value_kind:     by_value
      - .offset:         132
        .size:           4
        .value_kind:     by_value
      - .offset:         136
        .size:           4
        .value_kind:     by_value
      - .offset:         140
        .size:           4
        .value_kind:     by_value
      - .offset:         144
        .size:           4
        .value_kind:     by_value
      - .offset:         152
        .size:           8
        .value_kind:     by_value
      - .offset:         160
        .size:           4
        .value_kind:     by_value
      - .offset:         164
        .size:           4
        .value_kind:     by_value
      - .offset:         168
        .size:           8
        .value_kind:     by_value
      - .offset:         176
        .size:           4
        .value_kind:     by_value
      - .offset:         180
        .size:           4
        .value_kind:     by_value
      - .offset:         184
        .size:           4
        .value_kind:     by_value
      - .offset:         188
        .size:           4
        .value_kind:     by_value
      - .offset:         192
        .size:           4
        .value_kind:     by_value
      - .offset:         200
        .size:           8
        .value_kind:     by_value
      - .offset:         208
        .size:           4
        .value_kind:     hidden_block_count_x
      - .offset:         212
        .size:           4
        .value_kind:     hidden_block_count_y
      - .offset:         216
        .size:           4
        .value_kind:     hidden_block_count_z
      - .offset:         220
        .size:           2
        .value_kind:     hidden_group_size_x
      - .offset:         222
        .size:           2
        .value_kind:     hidden_group_size_y
      - .offset:         224
        .size:           2
        .value_kind:     hidden_group_size_z
      - .offset:         226
        .size:           2
        .value_kind:     hidden_remainder_x
      - .offset:         228
        .size:           2
        .value_kind:     hidden_remainder_y
      - .offset:         230
        .size:           2
        .value_kind:     hidden_remainder_z
      - .offset:         248
        .size:           8
        .value_kind:     hidden_global_offset_x
      - .offset:         256
        .size:           8
        .value_kind:     hidden_global_offset_y
      - .offset:         264
        .size:           8
        .value_kind:     hidden_global_offset_z
      - .offset:         272
        .size:           2
        .value_kind:     hidden_grid_dims
    .group_segment_fixed_size: 25600
    .kernarg_segment_align: 8
    .kernarg_segment_size: 464
    .language:       OpenCL C
    .language_version:
      - 2
      - 0
    .max_flat_workgroup_size: 256
    .name:           _ZL15flash_attn_tileILi64ELi64ELi8ELi8ELb0EEvPKcS1_S1_S1_S1_PKiPfP15HIP_vector_typeIfLj2EEffffjfiS5_IjLj3EEiiiiiiiiiiiliiliiiiil
    .private_segment_fixed_size: 44
    .sgpr_count:     48
    .sgpr_spill_count: 0
    .symbol:         _ZL15flash_attn_tileILi64ELi64ELi8ELi8ELb0EEvPKcS1_S1_S1_S1_PKiPfP15HIP_vector_typeIfLj2EEffffjfiS5_IjLj3EEiiiiiiiiiiiliiliiiiil.kd
    .uniform_work_group_size: 1
    .uses_dynamic_stack: false
    .vgpr_count:     128
    .vgpr_spill_count: 10
    .wavefront_size: 64
  - .args:
      - .actual_access:  read_only
        .address_space:  global
        .offset:         0
        .size:           8
        .value_kind:     global_buffer
      - .actual_access:  write_only
        .address_space:  global
        .offset:         8
        .size:           8
        .value_kind:     global_buffer
      - .offset:         16
        .size:           4
        .value_kind:     by_value
      - .offset:         20
        .size:           4
        .value_kind:     by_value
      - .offset:         24
        .size:           4
        .value_kind:     by_value
      - .offset:         32
        .size:           4
        .value_kind:     hidden_block_count_x
      - .offset:         36
        .size:           4
        .value_kind:     hidden_block_count_y
      - .offset:         40
        .size:           4
        .value_kind:     hidden_block_count_z
      - .offset:         44
        .size:           2
        .value_kind:     hidden_group_size_x
      - .offset:         46
        .size:           2
        .value_kind:     hidden_group_size_y
      - .offset:         48
        .size:           2
        .value_kind:     hidden_group_size_z
      - .offset:         50
        .size:           2
        .value_kind:     hidden_remainder_x
      - .offset:         52
        .size:           2
        .value_kind:     hidden_remainder_y
      - .offset:         54
        .size:           2
        .value_kind:     hidden_remainder_z
      - .offset:         72
        .size:           8
        .value_kind:     hidden_global_offset_x
      - .offset:         80
        .size:           8
        .value_kind:     hidden_global_offset_y
      - .offset:         88
        .size:           8
        .value_kind:     hidden_global_offset_z
      - .offset:         96
        .size:           2
        .value_kind:     hidden_grid_dims
    .group_segment_fixed_size: 128
    .kernarg_segment_align: 8
    .kernarg_segment_size: 288
    .language:       OpenCL C
    .language_version:
      - 2
      - 0
    .max_flat_workgroup_size: 128
    .name:           _ZL25flash_attn_mask_to_KV_maxILi8EEvPK7__half2Piiii
    .private_segment_fixed_size: 0
    .sgpr_count:     50
    .sgpr_spill_count: 0
    .symbol:         _ZL25flash_attn_mask_to_KV_maxILi8EEvPK7__half2Piiii.kd
    .uniform_work_group_size: 1
    .uses_dynamic_stack: false
    .vgpr_count:     12
    .vgpr_spill_count: 0
    .wavefront_size: 64
  - .args:
      - .address_space:  global
        .offset:         0
        .size:           8
        .value_kind:     global_buffer
      - .address_space:  global
        .offset:         8
        .size:           8
        .value_kind:     global_buffer
      - .offset:         16
        .size:           4
        .value_kind:     by_value
      - .offset:         20
        .size:           4
        .value_kind:     by_value
      - .offset:         24
        .size:           4
        .value_kind:     by_value
      - .offset:         28
        .size:           4
        .value_kind:     by_value
      - .offset:         32
        .size:           4
        .value_kind:     by_value
      - .offset:         36
        .size:           4
        .value_kind:     by_value
      - .offset:         40
        .size:           12
        .value_kind:     by_value
      - .offset:         52
        .size:           12
        .value_kind:     by_value
      - .offset:         64
        .size:           12
        .value_kind:     by_value
    .group_segment_fixed_size: 0
    .kernarg_segment_align: 8
    .kernarg_segment_size: 76
    .language:       OpenCL C
    .language_version:
      - 2
      - 0
    .max_flat_workgroup_size: 64
    .name:           _ZL33flash_attn_stream_k_fixup_uniformILi64ELi8ELi8EEvPfPK15HIP_vector_typeIfLj2EEiiiiiiS1_IjLj3EES5_S5_
    .private_segment_fixed_size: 0
    .sgpr_count:     24
    .sgpr_spill_count: 0
    .symbol:         _ZL33flash_attn_stream_k_fixup_uniformILi64ELi8ELi8EEvPfPK15HIP_vector_typeIfLj2EEiiiiiiS1_IjLj3EES5_S5_.kd
    .uniform_work_group_size: 1
    .uses_dynamic_stack: false
    .vgpr_count:     17
    .vgpr_spill_count: 0
    .wavefront_size: 64
  - .args:
      - .address_space:  global
        .offset:         0
        .size:           8
        .value_kind:     global_buffer
      - .address_space:  global
        .offset:         8
        .size:           8
        .value_kind:     global_buffer
      - .offset:         16
        .size:           4
        .value_kind:     by_value
      - .offset:         20
        .size:           4
        .value_kind:     by_value
      - .offset:         24
        .size:           4
        .value_kind:     by_value
      - .offset:         28
        .size:           4
        .value_kind:     by_value
      - .offset:         32
        .size:           12
        .value_kind:     by_value
      - .offset:         44
        .size:           12
        .value_kind:     by_value
      - .offset:         56
        .size:           12
        .value_kind:     by_value
      - .offset:         68
        .size:           12
        .value_kind:     by_value
      - .offset:         80
        .size:           4
        .value_kind:     hidden_block_count_x
      - .offset:         84
        .size:           4
        .value_kind:     hidden_block_count_y
      - .offset:         88
        .size:           4
        .value_kind:     hidden_block_count_z
      - .offset:         92
        .size:           2
        .value_kind:     hidden_group_size_x
      - .offset:         94
        .size:           2
        .value_kind:     hidden_group_size_y
      - .offset:         96
        .size:           2
        .value_kind:     hidden_group_size_z
      - .offset:         98
        .size:           2
        .value_kind:     hidden_remainder_x
      - .offset:         100
        .size:           2
        .value_kind:     hidden_remainder_y
      - .offset:         102
        .size:           2
        .value_kind:     hidden_remainder_z
      - .offset:         120
        .size:           8
        .value_kind:     hidden_global_offset_x
      - .offset:         128
        .size:           8
        .value_kind:     hidden_global_offset_y
      - .offset:         136
        .size:           8
        .value_kind:     hidden_global_offset_z
      - .offset:         144
        .size:           2
        .value_kind:     hidden_grid_dims
    .group_segment_fixed_size: 0
    .kernarg_segment_align: 8
    .kernarg_segment_size: 336
    .language:       OpenCL C
    .language_version:
      - 2
      - 0
    .max_flat_workgroup_size: 64
    .name:           _ZL33flash_attn_stream_k_fixup_generalILi64ELi8ELi8EEvPfPK15HIP_vector_typeIfLj2EEiiiiS1_IjLj3EES5_S5_S5_
    .private_segment_fixed_size: 0
    .sgpr_count:     40
    .sgpr_spill_count: 0
    .symbol:         _ZL33flash_attn_stream_k_fixup_generalILi64ELi8ELi8EEvPfPK15HIP_vector_typeIfLj2EEiiiiS1_IjLj3EES5_S5_S5_.kd
    .uniform_work_group_size: 1
    .uses_dynamic_stack: false
    .vgpr_count:     18
    .vgpr_spill_count: 0
    .wavefront_size: 64
  - .args:
      - .address_space:  global
        .offset:         0
        .size:           8
        .value_kind:     global_buffer
      - .address_space:  global
        .offset:         8
        .size:           8
        .value_kind:     global_buffer
      - .address_space:  global
        .offset:         16
        .size:           8
        .value_kind:     global_buffer
      - .offset:         24
        .size:           4
        .value_kind:     by_value
      - .offset:         32
        .size:           4
        .value_kind:     hidden_block_count_x
      - .offset:         36
        .size:           4
        .value_kind:     hidden_block_count_y
      - .offset:         40
        .size:           4
        .value_kind:     hidden_block_count_z
      - .offset:         44
        .size:           2
        .value_kind:     hidden_group_size_x
      - .offset:         46
        .size:           2
        .value_kind:     hidden_group_size_y
      - .offset:         48
        .size:           2
        .value_kind:     hidden_group_size_z
      - .offset:         50
        .size:           2
        .value_kind:     hidden_remainder_x
      - .offset:         52
        .size:           2
        .value_kind:     hidden_remainder_y
      - .offset:         54
        .size:           2
        .value_kind:     hidden_remainder_z
      - .offset:         72
        .size:           8
        .value_kind:     hidden_global_offset_x
      - .offset:         80
        .size:           8
        .value_kind:     hidden_global_offset_y
      - .offset:         88
        .size:           8
        .value_kind:     hidden_global_offset_z
      - .offset:         96
        .size:           2
        .value_kind:     hidden_grid_dims
      - .offset:         152
        .size:           4
        .value_kind:     hidden_dynamic_lds_size
    .group_segment_fixed_size: 0
    .kernarg_segment_align: 8
    .kernarg_segment_size: 288
    .language:       OpenCL C
    .language_version:
      - 2
      - 0
    .max_flat_workgroup_size: 64
    .name:           _ZL26flash_attn_combine_resultsILi64EEvPKfPK15HIP_vector_typeIfLj2EEPfi
    .private_segment_fixed_size: 0
    .sgpr_count:     20
    .sgpr_spill_count: 0
    .symbol:         _ZL26flash_attn_combine_resultsILi64EEvPKfPK15HIP_vector_typeIfLj2EEPfi.kd
    .uniform_work_group_size: 1
    .uses_dynamic_stack: false
    .vgpr_count:     17
    .vgpr_spill_count: 0
    .wavefront_size: 64
  - .args:
      - .address_space:  global
        .offset:         0
        .size:           8
        .value_kind:     global_buffer
      - .address_space:  global
        .offset:         8
        .size:           8
        .value_kind:     global_buffer
      - .address_space:  global
        .offset:         16
        .size:           8
        .value_kind:     global_buffer
      - .address_space:  global
        .offset:         24
        .size:           8
        .value_kind:     global_buffer
      - .address_space:  global
        .offset:         32
        .size:           8
        .value_kind:     global_buffer
      - .address_space:  global
        .offset:         40
        .size:           8
        .value_kind:     global_buffer
      - .address_space:  global
        .offset:         48
        .size:           8
        .value_kind:     global_buffer
      - .address_space:  global
        .offset:         56
        .size:           8
        .value_kind:     global_buffer
      - .offset:         64
        .size:           4
        .value_kind:     by_value
      - .offset:         68
        .size:           4
        .value_kind:     by_value
      - .offset:         72
        .size:           4
        .value_kind:     by_value
      - .offset:         76
        .size:           4
        .value_kind:     by_value
      - .offset:         80
        .size:           4
        .value_kind:     by_value
      - .offset:         84
        .size:           4
        .value_kind:     by_value
      - .offset:         88
        .size:           4
        .value_kind:     by_value
      - .offset:         92
        .size:           12
        .value_kind:     by_value
      - .offset:         104
        .size:           4
        .value_kind:     by_value
      - .offset:         108
        .size:           4
        .value_kind:     by_value
      - .offset:         112
        .size:           4
        .value_kind:     by_value
      - .offset:         116
        .size:           4
        .value_kind:     by_value
      - .offset:         120
        .size:           4
        .value_kind:     by_value
      - .offset:         124
        .size:           4
        .value_kind:     by_value
      - .offset:         128
        .size:           4
        .value_kind:     by_value
      - .offset:         132
        .size:           4
        .value_kind:     by_value
      - .offset:         136
        .size:           4
        .value_kind:     by_value
      - .offset:         140
        .size:           4
        .value_kind:     by_value
      - .offset:         144
        .size:           4
        .value_kind:     by_value
      - .offset:         152
        .size:           8
        .value_kind:     by_value
      - .offset:         160
        .size:           4
        .value_kind:     by_value
      - .offset:         164
        .size:           4
        .value_kind:     by_value
      - .offset:         168
        .size:           8
        .value_kind:     by_value
      - .offset:         176
        .size:           4
        .value_kind:     by_value
      - .offset:         180
        .size:           4
        .value_kind:     by_value
      - .offset:         184
        .size:           4
        .value_kind:     by_value
      - .offset:         188
        .size:           4
        .value_kind:     by_value
      - .offset:         192
        .size:           4
        .value_kind:     by_value
      - .offset:         200
        .size:           8
        .value_kind:     by_value
      - .offset:         208
        .size:           4
        .value_kind:     hidden_block_count_x
      - .offset:         212
        .size:           4
        .value_kind:     hidden_block_count_y
      - .offset:         216
        .size:           4
        .value_kind:     hidden_block_count_z
      - .offset:         220
        .size:           2
        .value_kind:     hidden_group_size_x
      - .offset:         222
        .size:           2
        .value_kind:     hidden_group_size_y
      - .offset:         224
        .size:           2
        .value_kind:     hidden_group_size_z
      - .offset:         226
        .size:           2
        .value_kind:     hidden_remainder_x
      - .offset:         228
        .size:           2
        .value_kind:     hidden_remainder_y
      - .offset:         230
        .size:           2
        .value_kind:     hidden_remainder_z
      - .offset:         248
        .size:           8
        .value_kind:     hidden_global_offset_x
      - .offset:         256
        .size:           8
        .value_kind:     hidden_global_offset_y
      - .offset:         264
        .size:           8
        .value_kind:     hidden_global_offset_z
      - .offset:         272
        .size:           2
        .value_kind:     hidden_grid_dims
    .group_segment_fixed_size: 17408
    .kernarg_segment_align: 8
    .kernarg_segment_size: 464
    .language:       OpenCL C
    .language_version:
      - 2
      - 0
    .max_flat_workgroup_size: 256
    .name:           _ZL15flash_attn_tileILi64ELi64ELi4ELi8ELb0EEvPKcS1_S1_S1_S1_PKiPfP15HIP_vector_typeIfLj2EEffffjfiS5_IjLj3EEiiiiiiiiiiiliiliiiiil
    .private_segment_fixed_size: 0
    .sgpr_count:     44
    .sgpr_spill_count: 0
    .symbol:         _ZL15flash_attn_tileILi64ELi64ELi4ELi8ELb0EEvPKcS1_S1_S1_S1_PKiPfP15HIP_vector_typeIfLj2EEffffjfiS5_IjLj3EEiiiiiiiiiiiliiliiiiil.kd
    .uniform_work_group_size: 1
    .uses_dynamic_stack: false
    .vgpr_count:     82
    .vgpr_spill_count: 0
    .wavefront_size: 64
  - .args:
      - .actual_access:  read_only
        .address_space:  global
        .offset:         0
        .size:           8
        .value_kind:     global_buffer
      - .actual_access:  write_only
        .address_space:  global
        .offset:         8
        .size:           8
        .value_kind:     global_buffer
      - .offset:         16
        .size:           4
        .value_kind:     by_value
      - .offset:         20
        .size:           4
        .value_kind:     by_value
      - .offset:         24
        .size:           4
        .value_kind:     by_value
      - .offset:         32
        .size:           4
        .value_kind:     hidden_block_count_x
      - .offset:         36
        .size:           4
        .value_kind:     hidden_block_count_y
      - .offset:         40
        .size:           4
        .value_kind:     hidden_block_count_z
      - .offset:         44
        .size:           2
        .value_kind:     hidden_group_size_x
      - .offset:         46
        .size:           2
        .value_kind:     hidden_group_size_y
      - .offset:         48
        .size:           2
        .value_kind:     hidden_group_size_z
      - .offset:         50
        .size:           2
        .value_kind:     hidden_remainder_x
      - .offset:         52
        .size:           2
        .value_kind:     hidden_remainder_y
      - .offset:         54
        .size:           2
        .value_kind:     hidden_remainder_z
      - .offset:         72
        .size:           8
        .value_kind:     hidden_global_offset_x
      - .offset:         80
        .size:           8
        .value_kind:     hidden_global_offset_y
      - .offset:         88
        .size:           8
        .value_kind:     hidden_global_offset_z
      - .offset:         96
        .size:           2
        .value_kind:     hidden_grid_dims
    .group_segment_fixed_size: 128
    .kernarg_segment_align: 8
    .kernarg_segment_size: 288
    .language:       OpenCL C
    .language_version:
      - 2
      - 0
    .max_flat_workgroup_size: 128
    .name:           _ZL25flash_attn_mask_to_KV_maxILi4EEvPK7__half2Piiii
    .private_segment_fixed_size: 0
    .sgpr_count:     34
    .sgpr_spill_count: 0
    .symbol:         _ZL25flash_attn_mask_to_KV_maxILi4EEvPK7__half2Piiii.kd
    .uniform_work_group_size: 1
    .uses_dynamic_stack: false
    .vgpr_count:     12
    .vgpr_spill_count: 0
    .wavefront_size: 64
  - .args:
      - .address_space:  global
        .offset:         0
        .size:           8
        .value_kind:     global_buffer
      - .address_space:  global
        .offset:         8
        .size:           8
        .value_kind:     global_buffer
      - .offset:         16
        .size:           4
        .value_kind:     by_value
      - .offset:         20
        .size:           4
        .value_kind:     by_value
      - .offset:         24
        .size:           4
        .value_kind:     by_value
      - .offset:         28
        .size:           4
        .value_kind:     by_value
      - .offset:         32
        .size:           4
        .value_kind:     by_value
      - .offset:         36
        .size:           4
        .value_kind:     by_value
      - .offset:         40
        .size:           12
        .value_kind:     by_value
      - .offset:         52
        .size:           12
        .value_kind:     by_value
      - .offset:         64
        .size:           12
        .value_kind:     by_value
    .group_segment_fixed_size: 0
    .kernarg_segment_align: 8
    .kernarg_segment_size: 76
    .language:       OpenCL C
    .language_version:
      - 2
      - 0
    .max_flat_workgroup_size: 64
    .name:           _ZL33flash_attn_stream_k_fixup_uniformILi64ELi4ELi8EEvPfPK15HIP_vector_typeIfLj2EEiiiiiiS1_IjLj3EES5_S5_
    .private_segment_fixed_size: 0
    .sgpr_count:     24
    .sgpr_spill_count: 0
    .symbol:         _ZL33flash_attn_stream_k_fixup_uniformILi64ELi4ELi8EEvPfPK15HIP_vector_typeIfLj2EEiiiiiiS1_IjLj3EES5_S5_.kd
    .uniform_work_group_size: 1
    .uses_dynamic_stack: false
    .vgpr_count:     17
    .vgpr_spill_count: 0
    .wavefront_size: 64
  - .args:
      - .address_space:  global
        .offset:         0
        .size:           8
        .value_kind:     global_buffer
      - .address_space:  global
        .offset:         8
        .size:           8
        .value_kind:     global_buffer
      - .offset:         16
        .size:           4
        .value_kind:     by_value
      - .offset:         20
        .size:           4
        .value_kind:     by_value
      - .offset:         24
        .size:           4
        .value_kind:     by_value
      - .offset:         28
        .size:           4
        .value_kind:     by_value
      - .offset:         32
        .size:           12
        .value_kind:     by_value
      - .offset:         44
        .size:           12
        .value_kind:     by_value
      - .offset:         56
        .size:           12
        .value_kind:     by_value
      - .offset:         68
        .size:           12
        .value_kind:     by_value
      - .offset:         80
        .size:           4
        .value_kind:     hidden_block_count_x
      - .offset:         84
        .size:           4
        .value_kind:     hidden_block_count_y
      - .offset:         88
        .size:           4
        .value_kind:     hidden_block_count_z
      - .offset:         92
        .size:           2
        .value_kind:     hidden_group_size_x
      - .offset:         94
        .size:           2
        .value_kind:     hidden_group_size_y
      - .offset:         96
        .size:           2
        .value_kind:     hidden_group_size_z
      - .offset:         98
        .size:           2
        .value_kind:     hidden_remainder_x
      - .offset:         100
        .size:           2
        .value_kind:     hidden_remainder_y
      - .offset:         102
        .size:           2
        .value_kind:     hidden_remainder_z
      - .offset:         120
        .size:           8
        .value_kind:     hidden_global_offset_x
      - .offset:         128
        .size:           8
        .value_kind:     hidden_global_offset_y
      - .offset:         136
        .size:           8
        .value_kind:     hidden_global_offset_z
      - .offset:         144
        .size:           2
        .value_kind:     hidden_grid_dims
    .group_segment_fixed_size: 0
    .kernarg_segment_align: 8
    .kernarg_segment_size: 336
    .language:       OpenCL C
    .language_version:
      - 2
      - 0
    .max_flat_workgroup_size: 64
    .name:           _ZL33flash_attn_stream_k_fixup_generalILi64ELi4ELi8EEvPfPK15HIP_vector_typeIfLj2EEiiiiS1_IjLj3EES5_S5_S5_
    .private_segment_fixed_size: 0
    .sgpr_count:     40
    .sgpr_spill_count: 0
    .symbol:         _ZL33flash_attn_stream_k_fixup_generalILi64ELi4ELi8EEvPfPK15HIP_vector_typeIfLj2EEiiiiS1_IjLj3EES5_S5_S5_.kd
    .uniform_work_group_size: 1
    .uses_dynamic_stack: false
    .vgpr_count:     18
    .vgpr_spill_count: 0
    .wavefront_size: 64
  - .args:
      - .address_space:  global
        .offset:         0
        .size:           8
        .value_kind:     global_buffer
      - .address_space:  global
        .offset:         8
        .size:           8
        .value_kind:     global_buffer
      - .address_space:  global
        .offset:         16
        .size:           8
        .value_kind:     global_buffer
      - .address_space:  global
        .offset:         24
        .size:           8
        .value_kind:     global_buffer
      - .address_space:  global
        .offset:         32
        .size:           8
        .value_kind:     global_buffer
      - .address_space:  global
        .offset:         40
        .size:           8
        .value_kind:     global_buffer
      - .address_space:  global
        .offset:         48
        .size:           8
        .value_kind:     global_buffer
      - .address_space:  global
        .offset:         56
        .size:           8
        .value_kind:     global_buffer
      - .offset:         64
        .size:           4
        .value_kind:     by_value
      - .offset:         68
        .size:           4
        .value_kind:     by_value
      - .offset:         72
        .size:           4
        .value_kind:     by_value
      - .offset:         76
        .size:           4
        .value_kind:     by_value
      - .offset:         80
        .size:           4
        .value_kind:     by_value
      - .offset:         84
        .size:           4
        .value_kind:     by_value
      - .offset:         88
        .size:           4
        .value_kind:     by_value
      - .offset:         92
        .size:           12
        .value_kind:     by_value
      - .offset:         104
        .size:           4
        .value_kind:     by_value
      - .offset:         108
        .size:           4
        .value_kind:     by_value
      - .offset:         112
        .size:           4
        .value_kind:     by_value
      - .offset:         116
        .size:           4
        .value_kind:     by_value
      - .offset:         120
        .size:           4
        .value_kind:     by_value
      - .offset:         124
        .size:           4
        .value_kind:     by_value
      - .offset:         128
        .size:           4
        .value_kind:     by_value
      - .offset:         132
        .size:           4
        .value_kind:     by_value
      - .offset:         136
        .size:           4
        .value_kind:     by_value
      - .offset:         140
        .size:           4
        .value_kind:     by_value
      - .offset:         144
        .size:           4
        .value_kind:     by_value
      - .offset:         152
        .size:           8
        .value_kind:     by_value
      - .offset:         160
        .size:           4
        .value_kind:     by_value
      - .offset:         164
        .size:           4
        .value_kind:     by_value
      - .offset:         168
        .size:           8
        .value_kind:     by_value
      - .offset:         176
        .size:           4
        .value_kind:     by_value
      - .offset:         180
        .size:           4
        .value_kind:     by_value
      - .offset:         184
        .size:           4
        .value_kind:     by_value
      - .offset:         188
        .size:           4
        .value_kind:     by_value
      - .offset:         192
        .size:           4
        .value_kind:     by_value
      - .offset:         200
        .size:           8
        .value_kind:     by_value
      - .offset:         208
        .size:           4
        .value_kind:     hidden_block_count_x
      - .offset:         212
        .size:           4
        .value_kind:     hidden_block_count_y
      - .offset:         216
        .size:           4
        .value_kind:     hidden_block_count_z
      - .offset:         220
        .size:           2
        .value_kind:     hidden_group_size_x
      - .offset:         222
        .size:           2
        .value_kind:     hidden_group_size_y
      - .offset:         224
        .size:           2
        .value_kind:     hidden_group_size_z
      - .offset:         226
        .size:           2
        .value_kind:     hidden_remainder_x
      - .offset:         228
        .size:           2
        .value_kind:     hidden_remainder_y
      - .offset:         230
        .size:           2
        .value_kind:     hidden_remainder_z
      - .offset:         248
        .size:           8
        .value_kind:     hidden_global_offset_x
      - .offset:         256
        .size:           8
        .value_kind:     hidden_global_offset_y
      - .offset:         264
        .size:           8
        .value_kind:     hidden_global_offset_z
      - .offset:         272
        .size:           2
        .value_kind:     hidden_grid_dims
    .group_segment_fixed_size: 24576
    .kernarg_segment_align: 8
    .kernarg_segment_size: 464
    .language:       OpenCL C
    .language_version:
      - 2
      - 0
    .max_flat_workgroup_size: 256
    .name:           _ZL15flash_attn_tileILi64ELi64ELi2ELi8ELb0EEvPKcS1_S1_S1_S1_PKiPfP15HIP_vector_typeIfLj2EEffffjfiS5_IjLj3EEiiiiiiiiiiiliiliiiiil
    .private_segment_fixed_size: 0
    .sgpr_count:     44
    .sgpr_spill_count: 0
    .symbol:         _ZL15flash_attn_tileILi64ELi64ELi2ELi8ELb0EEvPKcS1_S1_S1_S1_PKiPfP15HIP_vector_typeIfLj2EEffffjfiS5_IjLj3EEiiiiiiiiiiiliiliiiiil.kd
    .uniform_work_group_size: 1
    .uses_dynamic_stack: false
    .vgpr_count:     99
    .vgpr_spill_count: 0
    .wavefront_size: 64
  - .args:
      - .actual_access:  read_only
        .address_space:  global
        .offset:         0
        .size:           8
        .value_kind:     global_buffer
      - .actual_access:  write_only
        .address_space:  global
        .offset:         8
        .size:           8
        .value_kind:     global_buffer
      - .offset:         16
        .size:           4
        .value_kind:     by_value
      - .offset:         20
        .size:           4
        .value_kind:     by_value
      - .offset:         24
        .size:           4
        .value_kind:     by_value
      - .offset:         32
        .size:           4
        .value_kind:     hidden_block_count_x
      - .offset:         36
        .size:           4
        .value_kind:     hidden_block_count_y
      - .offset:         40
        .size:           4
        .value_kind:     hidden_block_count_z
      - .offset:         44
        .size:           2
        .value_kind:     hidden_group_size_x
      - .offset:         46
        .size:           2
        .value_kind:     hidden_group_size_y
      - .offset:         48
        .size:           2
        .value_kind:     hidden_group_size_z
      - .offset:         50
        .size:           2
        .value_kind:     hidden_remainder_x
      - .offset:         52
        .size:           2
        .value_kind:     hidden_remainder_y
      - .offset:         54
        .size:           2
        .value_kind:     hidden_remainder_z
      - .offset:         72
        .size:           8
        .value_kind:     hidden_global_offset_x
      - .offset:         80
        .size:           8
        .value_kind:     hidden_global_offset_y
      - .offset:         88
        .size:           8
        .value_kind:     hidden_global_offset_z
      - .offset:         96
        .size:           2
        .value_kind:     hidden_grid_dims
    .group_segment_fixed_size: 128
    .kernarg_segment_align: 8
    .kernarg_segment_size: 288
    .language:       OpenCL C
    .language_version:
      - 2
      - 0
    .max_flat_workgroup_size: 128
    .name:           _ZL25flash_attn_mask_to_KV_maxILi2EEvPK7__half2Piiii
    .private_segment_fixed_size: 0
    .sgpr_count:     26
    .sgpr_spill_count: 0
    .symbol:         _ZL25flash_attn_mask_to_KV_maxILi2EEvPK7__half2Piiii.kd
    .uniform_work_group_size: 1
    .uses_dynamic_stack: false
    .vgpr_count:     17
    .vgpr_spill_count: 0
    .wavefront_size: 64
  - .args:
      - .address_space:  global
        .offset:         0
        .size:           8
        .value_kind:     global_buffer
      - .address_space:  global
        .offset:         8
        .size:           8
        .value_kind:     global_buffer
      - .offset:         16
        .size:           4
        .value_kind:     by_value
      - .offset:         20
        .size:           4
        .value_kind:     by_value
      - .offset:         24
        .size:           4
        .value_kind:     by_value
      - .offset:         28
        .size:           4
        .value_kind:     by_value
      - .offset:         32
        .size:           4
        .value_kind:     by_value
      - .offset:         36
        .size:           4
        .value_kind:     by_value
      - .offset:         40
        .size:           12
        .value_kind:     by_value
      - .offset:         52
        .size:           12
        .value_kind:     by_value
      - .offset:         64
        .size:           12
        .value_kind:     by_value
    .group_segment_fixed_size: 0
    .kernarg_segment_align: 8
    .kernarg_segment_size: 76
    .language:       OpenCL C
    .language_version:
      - 2
      - 0
    .max_flat_workgroup_size: 64
    .name:           _ZL33flash_attn_stream_k_fixup_uniformILi64ELi2ELi8EEvPfPK15HIP_vector_typeIfLj2EEiiiiiiS1_IjLj3EES5_S5_
    .private_segment_fixed_size: 0
    .sgpr_count:     24
    .sgpr_spill_count: 0
    .symbol:         _ZL33flash_attn_stream_k_fixup_uniformILi64ELi2ELi8EEvPfPK15HIP_vector_typeIfLj2EEiiiiiiS1_IjLj3EES5_S5_.kd
    .uniform_work_group_size: 1
    .uses_dynamic_stack: false
    .vgpr_count:     17
    .vgpr_spill_count: 0
    .wavefront_size: 64
  - .args:
      - .address_space:  global
        .offset:         0
        .size:           8
        .value_kind:     global_buffer
      - .address_space:  global
        .offset:         8
        .size:           8
        .value_kind:     global_buffer
      - .offset:         16
        .size:           4
        .value_kind:     by_value
      - .offset:         20
        .size:           4
        .value_kind:     by_value
      - .offset:         24
        .size:           4
        .value_kind:     by_value
      - .offset:         28
        .size:           4
        .value_kind:     by_value
      - .offset:         32
        .size:           12
        .value_kind:     by_value
      - .offset:         44
        .size:           12
        .value_kind:     by_value
      - .offset:         56
        .size:           12
        .value_kind:     by_value
      - .offset:         68
        .size:           12
        .value_kind:     by_value
      - .offset:         80
        .size:           4
        .value_kind:     hidden_block_count_x
      - .offset:         84
        .size:           4
        .value_kind:     hidden_block_count_y
      - .offset:         88
        .size:           4
        .value_kind:     hidden_block_count_z
      - .offset:         92
        .size:           2
        .value_kind:     hidden_group_size_x
      - .offset:         94
        .size:           2
        .value_kind:     hidden_group_size_y
      - .offset:         96
        .size:           2
        .value_kind:     hidden_group_size_z
      - .offset:         98
        .size:           2
        .value_kind:     hidden_remainder_x
      - .offset:         100
        .size:           2
        .value_kind:     hidden_remainder_y
      - .offset:         102
        .size:           2
        .value_kind:     hidden_remainder_z
      - .offset:         120
        .size:           8
        .value_kind:     hidden_global_offset_x
      - .offset:         128
        .size:           8
        .value_kind:     hidden_global_offset_y
      - .offset:         136
        .size:           8
        .value_kind:     hidden_global_offset_z
      - .offset:         144
        .size:           2
        .value_kind:     hidden_grid_dims
    .group_segment_fixed_size: 0
    .kernarg_segment_align: 8
    .kernarg_segment_size: 336
    .language:       OpenCL C
    .language_version:
      - 2
      - 0
    .max_flat_workgroup_size: 64
    .name:           _ZL33flash_attn_stream_k_fixup_generalILi64ELi2ELi8EEvPfPK15HIP_vector_typeIfLj2EEiiiiS1_IjLj3EES5_S5_S5_
    .private_segment_fixed_size: 0
    .sgpr_count:     40
    .sgpr_spill_count: 0
    .symbol:         _ZL33flash_attn_stream_k_fixup_generalILi64ELi2ELi8EEvPfPK15HIP_vector_typeIfLj2EEiiiiS1_IjLj3EES5_S5_S5_.kd
    .uniform_work_group_size: 1
    .uses_dynamic_stack: false
    .vgpr_count:     18
    .vgpr_spill_count: 0
    .wavefront_size: 64
  - .args:
      - .address_space:  global
        .offset:         0
        .size:           8
        .value_kind:     global_buffer
      - .address_space:  global
        .offset:         8
        .size:           8
        .value_kind:     global_buffer
      - .address_space:  global
        .offset:         16
        .size:           8
        .value_kind:     global_buffer
      - .address_space:  global
        .offset:         24
        .size:           8
        .value_kind:     global_buffer
      - .address_space:  global
        .offset:         32
        .size:           8
        .value_kind:     global_buffer
      - .address_space:  global
        .offset:         40
        .size:           8
        .value_kind:     global_buffer
      - .address_space:  global
        .offset:         48
        .size:           8
        .value_kind:     global_buffer
      - .address_space:  global
        .offset:         56
        .size:           8
        .value_kind:     global_buffer
      - .offset:         64
        .size:           4
        .value_kind:     by_value
      - .offset:         68
        .size:           4
        .value_kind:     by_value
      - .offset:         72
        .size:           4
        .value_kind:     by_value
      - .offset:         76
        .size:           4
        .value_kind:     by_value
      - .offset:         80
        .size:           4
        .value_kind:     by_value
      - .offset:         84
        .size:           4
        .value_kind:     by_value
      - .offset:         88
        .size:           4
        .value_kind:     by_value
      - .offset:         92
        .size:           12
        .value_kind:     by_value
      - .offset:         104
        .size:           4
        .value_kind:     by_value
      - .offset:         108
        .size:           4
        .value_kind:     by_value
      - .offset:         112
        .size:           4
        .value_kind:     by_value
      - .offset:         116
        .size:           4
        .value_kind:     by_value
      - .offset:         120
        .size:           4
        .value_kind:     by_value
      - .offset:         124
        .size:           4
        .value_kind:     by_value
      - .offset:         128
        .size:           4
        .value_kind:     by_value
      - .offset:         132
        .size:           4
        .value_kind:     by_value
      - .offset:         136
        .size:           4
        .value_kind:     by_value
      - .offset:         140
        .size:           4
        .value_kind:     by_value
      - .offset:         144
        .size:           4
        .value_kind:     by_value
      - .offset:         152
        .size:           8
        .value_kind:     by_value
      - .offset:         160
        .size:           4
        .value_kind:     by_value
      - .offset:         164
        .size:           4
        .value_kind:     by_value
      - .offset:         168
        .size:           8
        .value_kind:     by_value
      - .offset:         176
        .size:           4
        .value_kind:     by_value
      - .offset:         180
        .size:           4
        .value_kind:     by_value
      - .offset:         184
        .size:           4
        .value_kind:     by_value
      - .offset:         188
        .size:           4
        .value_kind:     by_value
      - .offset:         192
        .size:           4
        .value_kind:     by_value
      - .offset:         200
        .size:           8
        .value_kind:     by_value
      - .offset:         208
        .size:           4
        .value_kind:     hidden_block_count_x
      - .offset:         212
        .size:           4
        .value_kind:     hidden_block_count_y
      - .offset:         216
        .size:           4
        .value_kind:     hidden_block_count_z
      - .offset:         220
        .size:           2
        .value_kind:     hidden_group_size_x
      - .offset:         222
        .size:           2
        .value_kind:     hidden_group_size_y
      - .offset:         224
        .size:           2
        .value_kind:     hidden_group_size_z
      - .offset:         226
        .size:           2
        .value_kind:     hidden_remainder_x
      - .offset:         228
        .size:           2
        .value_kind:     hidden_remainder_y
      - .offset:         230
        .size:           2
        .value_kind:     hidden_remainder_z
      - .offset:         248
        .size:           8
        .value_kind:     hidden_global_offset_x
      - .offset:         256
        .size:           8
        .value_kind:     hidden_global_offset_y
      - .offset:         264
        .size:           8
        .value_kind:     hidden_global_offset_z
      - .offset:         272
        .size:           2
        .value_kind:     hidden_grid_dims
    .group_segment_fixed_size: 6144
    .kernarg_segment_align: 8
    .kernarg_segment_size: 464
    .language:       OpenCL C
    .language_version:
      - 2
      - 0
    .max_flat_workgroup_size: 128
    .name:           _ZL15flash_attn_tileILi64ELi64ELi1ELi8ELb0EEvPKcS1_S1_S1_S1_PKiPfP15HIP_vector_typeIfLj2EEffffjfiS5_IjLj3EEiiiiiiiiiiiliiliiiiil
    .private_segment_fixed_size: 0
    .sgpr_count:     44
    .sgpr_spill_count: 0
    .symbol:         _ZL15flash_attn_tileILi64ELi64ELi1ELi8ELb0EEvPKcS1_S1_S1_S1_PKiPfP15HIP_vector_typeIfLj2EEffffjfiS5_IjLj3EEiiiiiiiiiiiliiliiiiil.kd
    .uniform_work_group_size: 1
    .uses_dynamic_stack: false
    .vgpr_count:     61
    .vgpr_spill_count: 0
    .wavefront_size: 64
  - .args:
      - .actual_access:  read_only
        .address_space:  global
        .offset:         0
        .size:           8
        .value_kind:     global_buffer
      - .actual_access:  write_only
        .address_space:  global
        .offset:         8
        .size:           8
        .value_kind:     global_buffer
      - .offset:         16
        .size:           4
        .value_kind:     by_value
      - .offset:         20
        .size:           4
        .value_kind:     by_value
      - .offset:         24
        .size:           4
        .value_kind:     by_value
      - .offset:         32
        .size:           4
        .value_kind:     hidden_block_count_x
      - .offset:         36
        .size:           4
        .value_kind:     hidden_block_count_y
      - .offset:         40
        .size:           4
        .value_kind:     hidden_block_count_z
      - .offset:         44
        .size:           2
        .value_kind:     hidden_group_size_x
      - .offset:         46
        .size:           2
        .value_kind:     hidden_group_size_y
      - .offset:         48
        .size:           2
        .value_kind:     hidden_group_size_z
      - .offset:         50
        .size:           2
        .value_kind:     hidden_remainder_x
      - .offset:         52
        .size:           2
        .value_kind:     hidden_remainder_y
      - .offset:         54
        .size:           2
        .value_kind:     hidden_remainder_z
      - .offset:         72
        .size:           8
        .value_kind:     hidden_global_offset_x
      - .offset:         80
        .size:           8
        .value_kind:     hidden_global_offset_y
      - .offset:         88
        .size:           8
        .value_kind:     hidden_global_offset_z
      - .offset:         96
        .size:           2
        .value_kind:     hidden_grid_dims
    .group_segment_fixed_size: 128
    .kernarg_segment_align: 8
    .kernarg_segment_size: 288
    .language:       OpenCL C
    .language_version:
      - 2
      - 0
    .max_flat_workgroup_size: 128
    .name:           _ZL25flash_attn_mask_to_KV_maxILi1EEvPK7__half2Piiii
    .private_segment_fixed_size: 0
    .sgpr_count:     22
    .sgpr_spill_count: 0
    .symbol:         _ZL25flash_attn_mask_to_KV_maxILi1EEvPK7__half2Piiii.kd
    .uniform_work_group_size: 1
    .uses_dynamic_stack: false
    .vgpr_count:     17
    .vgpr_spill_count: 0
    .wavefront_size: 64
  - .args:
      - .address_space:  global
        .offset:         0
        .size:           8
        .value_kind:     global_buffer
      - .address_space:  global
        .offset:         8
        .size:           8
        .value_kind:     global_buffer
      - .offset:         16
        .size:           4
        .value_kind:     by_value
      - .offset:         20
        .size:           4
        .value_kind:     by_value
      - .offset:         24
        .size:           4
        .value_kind:     by_value
      - .offset:         28
        .size:           4
        .value_kind:     by_value
      - .offset:         32
        .size:           4
        .value_kind:     by_value
      - .offset:         36
        .size:           4
        .value_kind:     by_value
      - .offset:         40
        .size:           12
        .value_kind:     by_value
      - .offset:         52
        .size:           12
        .value_kind:     by_value
      - .offset:         64
        .size:           12
        .value_kind:     by_value
    .group_segment_fixed_size: 0
    .kernarg_segment_align: 8
    .kernarg_segment_size: 76
    .language:       OpenCL C
    .language_version:
      - 2
      - 0
    .max_flat_workgroup_size: 64
    .name:           _ZL33flash_attn_stream_k_fixup_uniformILi64ELi1ELi8EEvPfPK15HIP_vector_typeIfLj2EEiiiiiiS1_IjLj3EES5_S5_
    .private_segment_fixed_size: 0
    .sgpr_count:     24
    .sgpr_spill_count: 0
    .symbol:         _ZL33flash_attn_stream_k_fixup_uniformILi64ELi1ELi8EEvPfPK15HIP_vector_typeIfLj2EEiiiiiiS1_IjLj3EES5_S5_.kd
    .uniform_work_group_size: 1
    .uses_dynamic_stack: false
    .vgpr_count:     17
    .vgpr_spill_count: 0
    .wavefront_size: 64
  - .args:
      - .address_space:  global
        .offset:         0
        .size:           8
        .value_kind:     global_buffer
      - .address_space:  global
        .offset:         8
        .size:           8
        .value_kind:     global_buffer
      - .offset:         16
        .size:           4
        .value_kind:     by_value
      - .offset:         20
        .size:           4
        .value_kind:     by_value
      - .offset:         24
        .size:           4
        .value_kind:     by_value
      - .offset:         28
        .size:           4
        .value_kind:     by_value
      - .offset:         32
        .size:           12
        .value_kind:     by_value
      - .offset:         44
        .size:           12
        .value_kind:     by_value
      - .offset:         56
        .size:           12
        .value_kind:     by_value
      - .offset:         68
        .size:           12
        .value_kind:     by_value
      - .offset:         80
        .size:           4
        .value_kind:     hidden_block_count_x
      - .offset:         84
        .size:           4
        .value_kind:     hidden_block_count_y
      - .offset:         88
        .size:           4
        .value_kind:     hidden_block_count_z
      - .offset:         92
        .size:           2
        .value_kind:     hidden_group_size_x
      - .offset:         94
        .size:           2
        .value_kind:     hidden_group_size_y
      - .offset:         96
        .size:           2
        .value_kind:     hidden_group_size_z
      - .offset:         98
        .size:           2
        .value_kind:     hidden_remainder_x
      - .offset:         100
        .size:           2
        .value_kind:     hidden_remainder_y
      - .offset:         102
        .size:           2
        .value_kind:     hidden_remainder_z
      - .offset:         120
        .size:           8
        .value_kind:     hidden_global_offset_x
      - .offset:         128
        .size:           8
        .value_kind:     hidden_global_offset_y
      - .offset:         136
        .size:           8
        .value_kind:     hidden_global_offset_z
      - .offset:         144
        .size:           2
        .value_kind:     hidden_grid_dims
    .group_segment_fixed_size: 0
    .kernarg_segment_align: 8
    .kernarg_segment_size: 336
    .language:       OpenCL C
    .language_version:
      - 2
      - 0
    .max_flat_workgroup_size: 64
    .name:           _ZL33flash_attn_stream_k_fixup_generalILi64ELi1ELi8EEvPfPK15HIP_vector_typeIfLj2EEiiiiS1_IjLj3EES5_S5_S5_
    .private_segment_fixed_size: 0
    .sgpr_count:     41
    .sgpr_spill_count: 0
    .symbol:         _ZL33flash_attn_stream_k_fixup_generalILi64ELi1ELi8EEvPfPK15HIP_vector_typeIfLj2EEiiiiS1_IjLj3EES5_S5_S5_.kd
    .uniform_work_group_size: 1
    .uses_dynamic_stack: false
    .vgpr_count:     18
    .vgpr_spill_count: 0
    .wavefront_size: 64
  - .args:
      - .address_space:  global
        .offset:         0
        .size:           8
        .value_kind:     global_buffer
      - .address_space:  global
        .offset:         8
        .size:           8
        .value_kind:     global_buffer
      - .address_space:  global
        .offset:         16
        .size:           8
        .value_kind:     global_buffer
      - .address_space:  global
        .offset:         24
        .size:           8
        .value_kind:     global_buffer
      - .address_space:  global
        .offset:         32
        .size:           8
        .value_kind:     global_buffer
      - .address_space:  global
        .offset:         40
        .size:           8
        .value_kind:     global_buffer
      - .address_space:  global
        .offset:         48
        .size:           8
        .value_kind:     global_buffer
      - .address_space:  global
        .offset:         56
        .size:           8
        .value_kind:     global_buffer
      - .offset:         64
        .size:           4
        .value_kind:     by_value
      - .offset:         68
        .size:           4
        .value_kind:     by_value
      - .offset:         72
        .size:           4
        .value_kind:     by_value
      - .offset:         76
        .size:           4
        .value_kind:     by_value
      - .offset:         80
        .size:           4
        .value_kind:     by_value
      - .offset:         84
        .size:           4
        .value_kind:     by_value
      - .offset:         88
        .size:           4
        .value_kind:     by_value
      - .offset:         92
        .size:           12
        .value_kind:     by_value
      - .offset:         104
        .size:           4
        .value_kind:     by_value
      - .offset:         108
        .size:           4
        .value_kind:     by_value
      - .offset:         112
        .size:           4
        .value_kind:     by_value
      - .offset:         116
        .size:           4
        .value_kind:     by_value
      - .offset:         120
        .size:           4
        .value_kind:     by_value
      - .offset:         124
        .size:           4
        .value_kind:     by_value
      - .offset:         128
        .size:           4
        .value_kind:     by_value
      - .offset:         132
        .size:           4
        .value_kind:     by_value
      - .offset:         136
        .size:           4
        .value_kind:     by_value
      - .offset:         140
        .size:           4
        .value_kind:     by_value
      - .offset:         144
        .size:           4
        .value_kind:     by_value
      - .offset:         152
        .size:           8
        .value_kind:     by_value
      - .offset:         160
        .size:           4
        .value_kind:     by_value
      - .offset:         164
        .size:           4
        .value_kind:     by_value
      - .offset:         168
        .size:           8
        .value_kind:     by_value
      - .offset:         176
        .size:           4
        .value_kind:     by_value
      - .offset:         180
        .size:           4
        .value_kind:     by_value
      - .offset:         184
        .size:           4
        .value_kind:     by_value
      - .offset:         188
        .size:           4
        .value_kind:     by_value
      - .offset:         192
        .size:           4
        .value_kind:     by_value
      - .offset:         200
        .size:           8
        .value_kind:     by_value
      - .offset:         208
        .size:           4
        .value_kind:     hidden_block_count_x
      - .offset:         212
        .size:           4
        .value_kind:     hidden_block_count_y
      - .offset:         216
        .size:           4
        .value_kind:     hidden_block_count_z
      - .offset:         220
        .size:           2
        .value_kind:     hidden_group_size_x
      - .offset:         222
        .size:           2
        .value_kind:     hidden_group_size_y
      - .offset:         224
        .size:           2
        .value_kind:     hidden_group_size_z
      - .offset:         226
        .size:           2
        .value_kind:     hidden_remainder_x
      - .offset:         228
        .size:           2
        .value_kind:     hidden_remainder_y
      - .offset:         230
        .size:           2
        .value_kind:     hidden_remainder_z
      - .offset:         248
        .size:           8
        .value_kind:     hidden_global_offset_x
      - .offset:         256
        .size:           8
        .value_kind:     hidden_global_offset_y
      - .offset:         264
        .size:           8
        .value_kind:     hidden_global_offset_z
      - .offset:         272
        .size:           2
        .value_kind:     hidden_grid_dims
    .group_segment_fixed_size: 25600
    .kernarg_segment_align: 8
    .kernarg_segment_size: 464
    .language:       OpenCL C
    .language_version:
      - 2
      - 0
    .max_flat_workgroup_size: 256
    .name:           _ZL15flash_attn_tileILi64ELi64ELi16ELi4ELb0EEvPKcS1_S1_S1_S1_PKiPfP15HIP_vector_typeIfLj2EEffffjfiS5_IjLj3EEiiiiiiiiiiiliiliiiiil
    .private_segment_fixed_size: 68
    .sgpr_count:     52
    .sgpr_spill_count: 0
    .symbol:         _ZL15flash_attn_tileILi64ELi64ELi16ELi4ELb0EEvPKcS1_S1_S1_S1_PKiPfP15HIP_vector_typeIfLj2EEffffjfiS5_IjLj3EEiiiiiiiiiiiliiliiiiil.kd
    .uniform_work_group_size: 1
    .uses_dynamic_stack: false
    .vgpr_count:     128
    .vgpr_spill_count: 16
    .wavefront_size: 64
  - .args:
      - .actual_access:  read_only
        .address_space:  global
        .offset:         0
        .size:           8
        .value_kind:     global_buffer
      - .actual_access:  write_only
        .address_space:  global
        .offset:         8
        .size:           8
        .value_kind:     global_buffer
      - .offset:         16
        .size:           4
        .value_kind:     by_value
      - .offset:         20
        .size:           4
        .value_kind:     by_value
      - .offset:         24
        .size:           4
        .value_kind:     by_value
      - .offset:         32
        .size:           4
        .value_kind:     hidden_block_count_x
      - .offset:         36
        .size:           4
        .value_kind:     hidden_block_count_y
      - .offset:         40
        .size:           4
        .value_kind:     hidden_block_count_z
      - .offset:         44
        .size:           2
        .value_kind:     hidden_group_size_x
      - .offset:         46
        .size:           2
        .value_kind:     hidden_group_size_y
      - .offset:         48
        .size:           2
        .value_kind:     hidden_group_size_z
      - .offset:         50
        .size:           2
        .value_kind:     hidden_remainder_x
      - .offset:         52
        .size:           2
        .value_kind:     hidden_remainder_y
      - .offset:         54
        .size:           2
        .value_kind:     hidden_remainder_z
      - .offset:         72
        .size:           8
        .value_kind:     hidden_global_offset_x
      - .offset:         80
        .size:           8
        .value_kind:     hidden_global_offset_y
      - .offset:         88
        .size:           8
        .value_kind:     hidden_global_offset_z
      - .offset:         96
        .size:           2
        .value_kind:     hidden_grid_dims
    .group_segment_fixed_size: 128
    .kernarg_segment_align: 8
    .kernarg_segment_size: 288
    .language:       OpenCL C
    .language_version:
      - 2
      - 0
    .max_flat_workgroup_size: 128
    .name:           _ZL25flash_attn_mask_to_KV_maxILi16EEvPK7__half2Piiii
    .private_segment_fixed_size: 0
    .sgpr_count:     82
    .sgpr_spill_count: 0
    .symbol:         _ZL25flash_attn_mask_to_KV_maxILi16EEvPK7__half2Piiii.kd
    .uniform_work_group_size: 1
    .uses_dynamic_stack: false
    .vgpr_count:     12
    .vgpr_spill_count: 0
    .wavefront_size: 64
  - .args:
      - .address_space:  global
        .offset:         0
        .size:           8
        .value_kind:     global_buffer
      - .address_space:  global
        .offset:         8
        .size:           8
        .value_kind:     global_buffer
      - .offset:         16
        .size:           4
        .value_kind:     by_value
      - .offset:         20
        .size:           4
        .value_kind:     by_value
      - .offset:         24
        .size:           4
        .value_kind:     by_value
      - .offset:         28
        .size:           4
        .value_kind:     by_value
      - .offset:         32
        .size:           4
        .value_kind:     by_value
      - .offset:         36
        .size:           4
        .value_kind:     by_value
      - .offset:         40
        .size:           12
        .value_kind:     by_value
      - .offset:         52
        .size:           12
        .value_kind:     by_value
      - .offset:         64
        .size:           12
        .value_kind:     by_value
    .group_segment_fixed_size: 0
    .kernarg_segment_align: 8
    .kernarg_segment_size: 76
    .language:       OpenCL C
    .language_version:
      - 2
      - 0
    .max_flat_workgroup_size: 64
    .name:           _ZL33flash_attn_stream_k_fixup_uniformILi64ELi16ELi4EEvPfPK15HIP_vector_typeIfLj2EEiiiiiiS1_IjLj3EES5_S5_
    .private_segment_fixed_size: 0
    .sgpr_count:     24
    .sgpr_spill_count: 0
    .symbol:         _ZL33flash_attn_stream_k_fixup_uniformILi64ELi16ELi4EEvPfPK15HIP_vector_typeIfLj2EEiiiiiiS1_IjLj3EES5_S5_.kd
    .uniform_work_group_size: 1
    .uses_dynamic_stack: false
    .vgpr_count:     17
    .vgpr_spill_count: 0
    .wavefront_size: 64
  - .args:
      - .address_space:  global
        .offset:         0
        .size:           8
        .value_kind:     global_buffer
      - .address_space:  global
        .offset:         8
        .size:           8
        .value_kind:     global_buffer
      - .offset:         16
        .size:           4
        .value_kind:     by_value
      - .offset:         20
        .size:           4
        .value_kind:     by_value
      - .offset:         24
        .size:           4
        .value_kind:     by_value
      - .offset:         28
        .size:           4
        .value_kind:     by_value
      - .offset:         32
        .size:           12
        .value_kind:     by_value
      - .offset:         44
        .size:           12
        .value_kind:     by_value
      - .offset:         56
        .size:           12
        .value_kind:     by_value
      - .offset:         68
        .size:           12
        .value_kind:     by_value
      - .offset:         80
        .size:           4
        .value_kind:     hidden_block_count_x
      - .offset:         84
        .size:           4
        .value_kind:     hidden_block_count_y
      - .offset:         88
        .size:           4
        .value_kind:     hidden_block_count_z
      - .offset:         92
        .size:           2
        .value_kind:     hidden_group_size_x
      - .offset:         94
        .size:           2
        .value_kind:     hidden_group_size_y
      - .offset:         96
        .size:           2
        .value_kind:     hidden_group_size_z
      - .offset:         98
        .size:           2
        .value_kind:     hidden_remainder_x
      - .offset:         100
        .size:           2
        .value_kind:     hidden_remainder_y
      - .offset:         102
        .size:           2
        .value_kind:     hidden_remainder_z
      - .offset:         120
        .size:           8
        .value_kind:     hidden_global_offset_x
      - .offset:         128
        .size:           8
        .value_kind:     hidden_global_offset_y
      - .offset:         136
        .size:           8
        .value_kind:     hidden_global_offset_z
      - .offset:         144
        .size:           2
        .value_kind:     hidden_grid_dims
    .group_segment_fixed_size: 0
    .kernarg_segment_align: 8
    .kernarg_segment_size: 336
    .language:       OpenCL C
    .language_version:
      - 2
      - 0
    .max_flat_workgroup_size: 64
    .name:           _ZL33flash_attn_stream_k_fixup_generalILi64ELi16ELi4EEvPfPK15HIP_vector_typeIfLj2EEiiiiS1_IjLj3EES5_S5_S5_
    .private_segment_fixed_size: 0
    .sgpr_count:     40
    .sgpr_spill_count: 0
    .symbol:         _ZL33flash_attn_stream_k_fixup_generalILi64ELi16ELi4EEvPfPK15HIP_vector_typeIfLj2EEiiiiS1_IjLj3EES5_S5_S5_.kd
    .uniform_work_group_size: 1
    .uses_dynamic_stack: false
    .vgpr_count:     18
    .vgpr_spill_count: 0
    .wavefront_size: 64
  - .args:
      - .address_space:  global
        .offset:         0
        .size:           8
        .value_kind:     global_buffer
      - .address_space:  global
        .offset:         8
        .size:           8
        .value_kind:     global_buffer
      - .address_space:  global
        .offset:         16
        .size:           8
        .value_kind:     global_buffer
      - .address_space:  global
        .offset:         24
        .size:           8
        .value_kind:     global_buffer
      - .address_space:  global
        .offset:         32
        .size:           8
        .value_kind:     global_buffer
      - .address_space:  global
        .offset:         40
        .size:           8
        .value_kind:     global_buffer
      - .address_space:  global
        .offset:         48
        .size:           8
        .value_kind:     global_buffer
      - .address_space:  global
        .offset:         56
        .size:           8
        .value_kind:     global_buffer
      - .offset:         64
        .size:           4
        .value_kind:     by_value
      - .offset:         68
        .size:           4
        .value_kind:     by_value
      - .offset:         72
        .size:           4
        .value_kind:     by_value
      - .offset:         76
        .size:           4
        .value_kind:     by_value
      - .offset:         80
        .size:           4
        .value_kind:     by_value
      - .offset:         84
        .size:           4
        .value_kind:     by_value
      - .offset:         88
        .size:           4
        .value_kind:     by_value
      - .offset:         92
        .size:           12
        .value_kind:     by_value
      - .offset:         104
        .size:           4
        .value_kind:     by_value
      - .offset:         108
        .size:           4
        .value_kind:     by_value
      - .offset:         112
        .size:           4
        .value_kind:     by_value
      - .offset:         116
        .size:           4
        .value_kind:     by_value
      - .offset:         120
        .size:           4
        .value_kind:     by_value
      - .offset:         124
        .size:           4
        .value_kind:     by_value
      - .offset:         128
        .size:           4
        .value_kind:     by_value
      - .offset:         132
        .size:           4
        .value_kind:     by_value
      - .offset:         136
        .size:           4
        .value_kind:     by_value
      - .offset:         140
        .size:           4
        .value_kind:     by_value
      - .offset:         144
        .size:           4
        .value_kind:     by_value
      - .offset:         152
        .size:           8
        .value_kind:     by_value
      - .offset:         160
        .size:           4
        .value_kind:     by_value
      - .offset:         164
        .size:           4
        .value_kind:     by_value
      - .offset:         168
        .size:           8
        .value_kind:     by_value
      - .offset:         176
        .size:           4
        .value_kind:     by_value
      - .offset:         180
        .size:           4
        .value_kind:     by_value
      - .offset:         184
        .size:           4
        .value_kind:     by_value
      - .offset:         188
        .size:           4
        .value_kind:     by_value
      - .offset:         192
        .size:           4
        .value_kind:     by_value
      - .offset:         200
        .size:           8
        .value_kind:     by_value
      - .offset:         208
        .size:           4
        .value_kind:     hidden_block_count_x
      - .offset:         212
        .size:           4
        .value_kind:     hidden_block_count_y
      - .offset:         216
        .size:           4
        .value_kind:     hidden_block_count_z
      - .offset:         220
        .size:           2
        .value_kind:     hidden_group_size_x
      - .offset:         222
        .size:           2
        .value_kind:     hidden_group_size_y
      - .offset:         224
        .size:           2
        .value_kind:     hidden_group_size_z
      - .offset:         226
        .size:           2
        .value_kind:     hidden_remainder_x
      - .offset:         228
        .size:           2
        .value_kind:     hidden_remainder_y
      - .offset:         230
        .size:           2
        .value_kind:     hidden_remainder_z
      - .offset:         248
        .size:           8
        .value_kind:     hidden_global_offset_x
      - .offset:         256
        .size:           8
        .value_kind:     hidden_global_offset_y
      - .offset:         264
        .size:           8
        .value_kind:     hidden_global_offset_z
      - .offset:         272
        .size:           2
        .value_kind:     hidden_grid_dims
    .group_segment_fixed_size: 17408
    .kernarg_segment_align: 8
    .kernarg_segment_size: 464
    .language:       OpenCL C
    .language_version:
      - 2
      - 0
    .max_flat_workgroup_size: 256
    .name:           _ZL15flash_attn_tileILi64ELi64ELi8ELi4ELb0EEvPKcS1_S1_S1_S1_PKiPfP15HIP_vector_typeIfLj2EEffffjfiS5_IjLj3EEiiiiiiiiiiiliiliiiiil
    .private_segment_fixed_size: 0
    .sgpr_count:     43
    .sgpr_spill_count: 0
    .symbol:         _ZL15flash_attn_tileILi64ELi64ELi8ELi4ELb0EEvPKcS1_S1_S1_S1_PKiPfP15HIP_vector_typeIfLj2EEffffjfiS5_IjLj3EEiiiiiiiiiiiliiliiiiil.kd
    .uniform_work_group_size: 1
    .uses_dynamic_stack: false
    .vgpr_count:     81
    .vgpr_spill_count: 0
    .wavefront_size: 64
  - .args:
      - .address_space:  global
        .offset:         0
        .size:           8
        .value_kind:     global_buffer
      - .address_space:  global
        .offset:         8
        .size:           8
        .value_kind:     global_buffer
      - .offset:         16
        .size:           4
        .value_kind:     by_value
      - .offset:         20
        .size:           4
        .value_kind:     by_value
      - .offset:         24
        .size:           4
        .value_kind:     by_value
      - .offset:         28
        .size:           4
        .value_kind:     by_value
      - .offset:         32
        .size:           4
        .value_kind:     by_value
      - .offset:         36
        .size:           4
        .value_kind:     by_value
      - .offset:         40
        .size:           12
        .value_kind:     by_value
      - .offset:         52
        .size:           12
        .value_kind:     by_value
      - .offset:         64
        .size:           12
        .value_kind:     by_value
    .group_segment_fixed_size: 0
    .kernarg_segment_align: 8
    .kernarg_segment_size: 76
    .language:       OpenCL C
    .language_version:
      - 2
      - 0
    .max_flat_workgroup_size: 64
    .name:           _ZL33flash_attn_stream_k_fixup_uniformILi64ELi8ELi4EEvPfPK15HIP_vector_typeIfLj2EEiiiiiiS1_IjLj3EES5_S5_
    .private_segment_fixed_size: 0
    .sgpr_count:     24
    .sgpr_spill_count: 0
    .symbol:         _ZL33flash_attn_stream_k_fixup_uniformILi64ELi8ELi4EEvPfPK15HIP_vector_typeIfLj2EEiiiiiiS1_IjLj3EES5_S5_.kd
    .uniform_work_group_size: 1
    .uses_dynamic_stack: false
    .vgpr_count:     17
    .vgpr_spill_count: 0
    .wavefront_size: 64
  - .args:
      - .address_space:  global
        .offset:         0
        .size:           8
        .value_kind:     global_buffer
      - .address_space:  global
        .offset:         8
        .size:           8
        .value_kind:     global_buffer
      - .offset:         16
        .size:           4
        .value_kind:     by_value
      - .offset:         20
        .size:           4
        .value_kind:     by_value
      - .offset:         24
        .size:           4
        .value_kind:     by_value
      - .offset:         28
        .size:           4
        .value_kind:     by_value
      - .offset:         32
        .size:           12
        .value_kind:     by_value
      - .offset:         44
        .size:           12
        .value_kind:     by_value
      - .offset:         56
        .size:           12
        .value_kind:     by_value
      - .offset:         68
        .size:           12
        .value_kind:     by_value
      - .offset:         80
        .size:           4
        .value_kind:     hidden_block_count_x
      - .offset:         84
        .size:           4
        .value_kind:     hidden_block_count_y
      - .offset:         88
        .size:           4
        .value_kind:     hidden_block_count_z
      - .offset:         92
        .size:           2
        .value_kind:     hidden_group_size_x
      - .offset:         94
        .size:           2
        .value_kind:     hidden_group_size_y
      - .offset:         96
        .size:           2
        .value_kind:     hidden_group_size_z
      - .offset:         98
        .size:           2
        .value_kind:     hidden_remainder_x
      - .offset:         100
        .size:           2
        .value_kind:     hidden_remainder_y
      - .offset:         102
        .size:           2
        .value_kind:     hidden_remainder_z
      - .offset:         120
        .size:           8
        .value_kind:     hidden_global_offset_x
      - .offset:         128
        .size:           8
        .value_kind:     hidden_global_offset_y
      - .offset:         136
        .size:           8
        .value_kind:     hidden_global_offset_z
      - .offset:         144
        .size:           2
        .value_kind:     hidden_grid_dims
    .group_segment_fixed_size: 0
    .kernarg_segment_align: 8
    .kernarg_segment_size: 336
    .language:       OpenCL C
    .language_version:
      - 2
      - 0
    .max_flat_workgroup_size: 64
    .name:           _ZL33flash_attn_stream_k_fixup_generalILi64ELi8ELi4EEvPfPK15HIP_vector_typeIfLj2EEiiiiS1_IjLj3EES5_S5_S5_
    .private_segment_fixed_size: 0
    .sgpr_count:     40
    .sgpr_spill_count: 0
    .symbol:         _ZL33flash_attn_stream_k_fixup_generalILi64ELi8ELi4EEvPfPK15HIP_vector_typeIfLj2EEiiiiS1_IjLj3EES5_S5_S5_.kd
    .uniform_work_group_size: 1
    .uses_dynamic_stack: false
    .vgpr_count:     18
    .vgpr_spill_count: 0
    .wavefront_size: 64
  - .args:
      - .address_space:  global
        .offset:         0
        .size:           8
        .value_kind:     global_buffer
      - .address_space:  global
        .offset:         8
        .size:           8
        .value_kind:     global_buffer
      - .address_space:  global
        .offset:         16
        .size:           8
        .value_kind:     global_buffer
      - .address_space:  global
        .offset:         24
        .size:           8
        .value_kind:     global_buffer
      - .address_space:  global
        .offset:         32
        .size:           8
        .value_kind:     global_buffer
      - .address_space:  global
        .offset:         40
        .size:           8
        .value_kind:     global_buffer
      - .address_space:  global
        .offset:         48
        .size:           8
        .value_kind:     global_buffer
      - .address_space:  global
        .offset:         56
        .size:           8
        .value_kind:     global_buffer
      - .offset:         64
        .size:           4
        .value_kind:     by_value
      - .offset:         68
        .size:           4
        .value_kind:     by_value
      - .offset:         72
        .size:           4
        .value_kind:     by_value
      - .offset:         76
        .size:           4
        .value_kind:     by_value
      - .offset:         80
        .size:           4
        .value_kind:     by_value
      - .offset:         84
        .size:           4
        .value_kind:     by_value
      - .offset:         88
        .size:           4
        .value_kind:     by_value
      - .offset:         92
        .size:           12
        .value_kind:     by_value
      - .offset:         104
        .size:           4
        .value_kind:     by_value
      - .offset:         108
        .size:           4
        .value_kind:     by_value
      - .offset:         112
        .size:           4
        .value_kind:     by_value
      - .offset:         116
        .size:           4
        .value_kind:     by_value
      - .offset:         120
        .size:           4
        .value_kind:     by_value
      - .offset:         124
        .size:           4
        .value_kind:     by_value
      - .offset:         128
        .size:           4
        .value_kind:     by_value
      - .offset:         132
        .size:           4
        .value_kind:     by_value
      - .offset:         136
        .size:           4
        .value_kind:     by_value
      - .offset:         140
        .size:           4
        .value_kind:     by_value
      - .offset:         144
        .size:           4
        .value_kind:     by_value
      - .offset:         152
        .size:           8
        .value_kind:     by_value
      - .offset:         160
        .size:           4
        .value_kind:     by_value
      - .offset:         164
        .size:           4
        .value_kind:     by_value
      - .offset:         168
        .size:           8
        .value_kind:     by_value
      - .offset:         176
        .size:           4
        .value_kind:     by_value
      - .offset:         180
        .size:           4
        .value_kind:     by_value
      - .offset:         184
        .size:           4
        .value_kind:     by_value
      - .offset:         188
        .size:           4
        .value_kind:     by_value
      - .offset:         192
        .size:           4
        .value_kind:     by_value
      - .offset:         200
        .size:           8
        .value_kind:     by_value
      - .offset:         208
        .size:           4
        .value_kind:     hidden_block_count_x
      - .offset:         212
        .size:           4
        .value_kind:     hidden_block_count_y
      - .offset:         216
        .size:           4
        .value_kind:     hidden_block_count_z
      - .offset:         220
        .size:           2
        .value_kind:     hidden_group_size_x
      - .offset:         222
        .size:           2
        .value_kind:     hidden_group_size_y
      - .offset:         224
        .size:           2
        .value_kind:     hidden_group_size_z
      - .offset:         226
        .size:           2
        .value_kind:     hidden_remainder_x
      - .offset:         228
        .size:           2
        .value_kind:     hidden_remainder_y
      - .offset:         230
        .size:           2
        .value_kind:     hidden_remainder_z
      - .offset:         248
        .size:           8
        .value_kind:     hidden_global_offset_x
      - .offset:         256
        .size:           8
        .value_kind:     hidden_global_offset_y
      - .offset:         264
        .size:           8
        .value_kind:     hidden_global_offset_z
      - .offset:         272
        .size:           2
        .value_kind:     hidden_grid_dims
    .group_segment_fixed_size: 24576
    .kernarg_segment_align: 8
    .kernarg_segment_size: 464
    .language:       OpenCL C
    .language_version:
      - 2
      - 0
    .max_flat_workgroup_size: 256
    .name:           _ZL15flash_attn_tileILi64ELi64ELi4ELi4ELb0EEvPKcS1_S1_S1_S1_PKiPfP15HIP_vector_typeIfLj2EEffffjfiS5_IjLj3EEiiiiiiiiiiiliiliiiiil
    .private_segment_fixed_size: 0
    .sgpr_count:     44
    .sgpr_spill_count: 0
    .symbol:         _ZL15flash_attn_tileILi64ELi64ELi4ELi4ELb0EEvPKcS1_S1_S1_S1_PKiPfP15HIP_vector_typeIfLj2EEffffjfiS5_IjLj3EEiiiiiiiiiiiliiliiiiil.kd
    .uniform_work_group_size: 1
    .uses_dynamic_stack: false
    .vgpr_count:     99
    .vgpr_spill_count: 0
    .wavefront_size: 64
  - .args:
      - .address_space:  global
        .offset:         0
        .size:           8
        .value_kind:     global_buffer
      - .address_space:  global
        .offset:         8
        .size:           8
        .value_kind:     global_buffer
      - .offset:         16
        .size:           4
        .value_kind:     by_value
      - .offset:         20
        .size:           4
        .value_kind:     by_value
      - .offset:         24
        .size:           4
        .value_kind:     by_value
      - .offset:         28
        .size:           4
        .value_kind:     by_value
      - .offset:         32
        .size:           4
        .value_kind:     by_value
      - .offset:         36
        .size:           4
        .value_kind:     by_value
      - .offset:         40
        .size:           12
        .value_kind:     by_value
      - .offset:         52
        .size:           12
        .value_kind:     by_value
      - .offset:         64
        .size:           12
        .value_kind:     by_value
    .group_segment_fixed_size: 0
    .kernarg_segment_align: 8
    .kernarg_segment_size: 76
    .language:       OpenCL C
    .language_version:
      - 2
      - 0
    .max_flat_workgroup_size: 64
    .name:           _ZL33flash_attn_stream_k_fixup_uniformILi64ELi4ELi4EEvPfPK15HIP_vector_typeIfLj2EEiiiiiiS1_IjLj3EES5_S5_
    .private_segment_fixed_size: 0
    .sgpr_count:     24
    .sgpr_spill_count: 0
    .symbol:         _ZL33flash_attn_stream_k_fixup_uniformILi64ELi4ELi4EEvPfPK15HIP_vector_typeIfLj2EEiiiiiiS1_IjLj3EES5_S5_.kd
    .uniform_work_group_size: 1
    .uses_dynamic_stack: false
    .vgpr_count:     17
    .vgpr_spill_count: 0
    .wavefront_size: 64
  - .args:
      - .address_space:  global
        .offset:         0
        .size:           8
        .value_kind:     global_buffer
      - .address_space:  global
        .offset:         8
        .size:           8
        .value_kind:     global_buffer
      - .offset:         16
        .size:           4
        .value_kind:     by_value
      - .offset:         20
        .size:           4
        .value_kind:     by_value
      - .offset:         24
        .size:           4
        .value_kind:     by_value
      - .offset:         28
        .size:           4
        .value_kind:     by_value
      - .offset:         32
        .size:           12
        .value_kind:     by_value
      - .offset:         44
        .size:           12
        .value_kind:     by_value
      - .offset:         56
        .size:           12
        .value_kind:     by_value
      - .offset:         68
        .size:           12
        .value_kind:     by_value
      - .offset:         80
        .size:           4
        .value_kind:     hidden_block_count_x
      - .offset:         84
        .size:           4
        .value_kind:     hidden_block_count_y
      - .offset:         88
        .size:           4
        .value_kind:     hidden_block_count_z
      - .offset:         92
        .size:           2
        .value_kind:     hidden_group_size_x
      - .offset:         94
        .size:           2
        .value_kind:     hidden_group_size_y
      - .offset:         96
        .size:           2
        .value_kind:     hidden_group_size_z
      - .offset:         98
        .size:           2
        .value_kind:     hidden_remainder_x
      - .offset:         100
        .size:           2
        .value_kind:     hidden_remainder_y
      - .offset:         102
        .size:           2
        .value_kind:     hidden_remainder_z
      - .offset:         120
        .size:           8
        .value_kind:     hidden_global_offset_x
      - .offset:         128
        .size:           8
        .value_kind:     hidden_global_offset_y
      - .offset:         136
        .size:           8
        .value_kind:     hidden_global_offset_z
      - .offset:         144
        .size:           2
        .value_kind:     hidden_grid_dims
    .group_segment_fixed_size: 0
    .kernarg_segment_align: 8
    .kernarg_segment_size: 336
    .language:       OpenCL C
    .language_version:
      - 2
      - 0
    .max_flat_workgroup_size: 64
    .name:           _ZL33flash_attn_stream_k_fixup_generalILi64ELi4ELi4EEvPfPK15HIP_vector_typeIfLj2EEiiiiS1_IjLj3EES5_S5_S5_
    .private_segment_fixed_size: 0
    .sgpr_count:     40
    .sgpr_spill_count: 0
    .symbol:         _ZL33flash_attn_stream_k_fixup_generalILi64ELi4ELi4EEvPfPK15HIP_vector_typeIfLj2EEiiiiS1_IjLj3EES5_S5_S5_.kd
    .uniform_work_group_size: 1
    .uses_dynamic_stack: false
    .vgpr_count:     18
    .vgpr_spill_count: 0
    .wavefront_size: 64
  - .args:
      - .address_space:  global
        .offset:         0
        .size:           8
        .value_kind:     global_buffer
      - .address_space:  global
        .offset:         8
        .size:           8
        .value_kind:     global_buffer
      - .address_space:  global
        .offset:         16
        .size:           8
        .value_kind:     global_buffer
      - .address_space:  global
        .offset:         24
        .size:           8
        .value_kind:     global_buffer
      - .address_space:  global
        .offset:         32
        .size:           8
        .value_kind:     global_buffer
      - .address_space:  global
        .offset:         40
        .size:           8
        .value_kind:     global_buffer
      - .address_space:  global
        .offset:         48
        .size:           8
        .value_kind:     global_buffer
      - .address_space:  global
        .offset:         56
        .size:           8
        .value_kind:     global_buffer
      - .offset:         64
        .size:           4
        .value_kind:     by_value
      - .offset:         68
        .size:           4
        .value_kind:     by_value
      - .offset:         72
        .size:           4
        .value_kind:     by_value
      - .offset:         76
        .size:           4
        .value_kind:     by_value
      - .offset:         80
        .size:           4
        .value_kind:     by_value
      - .offset:         84
        .size:           4
        .value_kind:     by_value
      - .offset:         88
        .size:           4
        .value_kind:     by_value
      - .offset:         92
        .size:           12
        .value_kind:     by_value
      - .offset:         104
        .size:           4
        .value_kind:     by_value
      - .offset:         108
        .size:           4
        .value_kind:     by_value
      - .offset:         112
        .size:           4
        .value_kind:     by_value
      - .offset:         116
        .size:           4
        .value_kind:     by_value
      - .offset:         120
        .size:           4
        .value_kind:     by_value
      - .offset:         124
        .size:           4
        .value_kind:     by_value
      - .offset:         128
        .size:           4
        .value_kind:     by_value
      - .offset:         132
        .size:           4
        .value_kind:     by_value
      - .offset:         136
        .size:           4
        .value_kind:     by_value
      - .offset:         140
        .size:           4
        .value_kind:     by_value
      - .offset:         144
        .size:           4
        .value_kind:     by_value
      - .offset:         152
        .size:           8
        .value_kind:     by_value
      - .offset:         160
        .size:           4
        .value_kind:     by_value
      - .offset:         164
        .size:           4
        .value_kind:     by_value
      - .offset:         168
        .size:           8
        .value_kind:     by_value
      - .offset:         176
        .size:           4
        .value_kind:     by_value
      - .offset:         180
        .size:           4
        .value_kind:     by_value
      - .offset:         184
        .size:           4
        .value_kind:     by_value
      - .offset:         188
        .size:           4
        .value_kind:     by_value
      - .offset:         192
        .size:           4
        .value_kind:     by_value
      - .offset:         200
        .size:           8
        .value_kind:     by_value
      - .offset:         208
        .size:           4
        .value_kind:     hidden_block_count_x
      - .offset:         212
        .size:           4
        .value_kind:     hidden_block_count_y
      - .offset:         216
        .size:           4
        .value_kind:     hidden_block_count_z
      - .offset:         220
        .size:           2
        .value_kind:     hidden_group_size_x
      - .offset:         222
        .size:           2
        .value_kind:     hidden_group_size_y
      - .offset:         224
        .size:           2
        .value_kind:     hidden_group_size_z
      - .offset:         226
        .size:           2
        .value_kind:     hidden_remainder_x
      - .offset:         228
        .size:           2
        .value_kind:     hidden_remainder_y
      - .offset:         230
        .size:           2
        .value_kind:     hidden_remainder_z
      - .offset:         248
        .size:           8
        .value_kind:     hidden_global_offset_x
      - .offset:         256
        .size:           8
        .value_kind:     hidden_global_offset_y
      - .offset:         264
        .size:           8
        .value_kind:     hidden_global_offset_z
      - .offset:         272
        .size:           2
        .value_kind:     hidden_grid_dims
    .group_segment_fixed_size: 6144
    .kernarg_segment_align: 8
    .kernarg_segment_size: 464
    .language:       OpenCL C
    .language_version:
      - 2
      - 0
    .max_flat_workgroup_size: 128
    .name:           _ZL15flash_attn_tileILi64ELi64ELi2ELi4ELb0EEvPKcS1_S1_S1_S1_PKiPfP15HIP_vector_typeIfLj2EEffffjfiS5_IjLj3EEiiiiiiiiiiiliiliiiiil
    .private_segment_fixed_size: 0
    .sgpr_count:     44
    .sgpr_spill_count: 0
    .symbol:         _ZL15flash_attn_tileILi64ELi64ELi2ELi4ELb0EEvPKcS1_S1_S1_S1_PKiPfP15HIP_vector_typeIfLj2EEffffjfiS5_IjLj3EEiiiiiiiiiiiliiliiiiil.kd
    .uniform_work_group_size: 1
    .uses_dynamic_stack: false
    .vgpr_count:     61
    .vgpr_spill_count: 0
    .wavefront_size: 64
  - .args:
      - .address_space:  global
        .offset:         0
        .size:           8
        .value_kind:     global_buffer
      - .address_space:  global
        .offset:         8
        .size:           8
        .value_kind:     global_buffer
      - .offset:         16
        .size:           4
        .value_kind:     by_value
      - .offset:         20
        .size:           4
        .value_kind:     by_value
      - .offset:         24
        .size:           4
        .value_kind:     by_value
      - .offset:         28
        .size:           4
        .value_kind:     by_value
      - .offset:         32
        .size:           4
        .value_kind:     by_value
      - .offset:         36
        .size:           4
        .value_kind:     by_value
      - .offset:         40
        .size:           12
        .value_kind:     by_value
      - .offset:         52
        .size:           12
        .value_kind:     by_value
      - .offset:         64
        .size:           12
        .value_kind:     by_value
    .group_segment_fixed_size: 0
    .kernarg_segment_align: 8
    .kernarg_segment_size: 76
    .language:       OpenCL C
    .language_version:
      - 2
      - 0
    .max_flat_workgroup_size: 64
    .name:           _ZL33flash_attn_stream_k_fixup_uniformILi64ELi2ELi4EEvPfPK15HIP_vector_typeIfLj2EEiiiiiiS1_IjLj3EES5_S5_
    .private_segment_fixed_size: 0
    .sgpr_count:     24
    .sgpr_spill_count: 0
    .symbol:         _ZL33flash_attn_stream_k_fixup_uniformILi64ELi2ELi4EEvPfPK15HIP_vector_typeIfLj2EEiiiiiiS1_IjLj3EES5_S5_.kd
    .uniform_work_group_size: 1
    .uses_dynamic_stack: false
    .vgpr_count:     17
    .vgpr_spill_count: 0
    .wavefront_size: 64
  - .args:
      - .address_space:  global
        .offset:         0
        .size:           8
        .value_kind:     global_buffer
      - .address_space:  global
        .offset:         8
        .size:           8
        .value_kind:     global_buffer
      - .offset:         16
        .size:           4
        .value_kind:     by_value
      - .offset:         20
        .size:           4
        .value_kind:     by_value
      - .offset:         24
        .size:           4
        .value_kind:     by_value
      - .offset:         28
        .size:           4
        .value_kind:     by_value
      - .offset:         32
        .size:           12
        .value_kind:     by_value
      - .offset:         44
        .size:           12
        .value_kind:     by_value
      - .offset:         56
        .size:           12
        .value_kind:     by_value
      - .offset:         68
        .size:           12
        .value_kind:     by_value
      - .offset:         80
        .size:           4
        .value_kind:     hidden_block_count_x
      - .offset:         84
        .size:           4
        .value_kind:     hidden_block_count_y
      - .offset:         88
        .size:           4
        .value_kind:     hidden_block_count_z
      - .offset:         92
        .size:           2
        .value_kind:     hidden_group_size_x
      - .offset:         94
        .size:           2
        .value_kind:     hidden_group_size_y
      - .offset:         96
        .size:           2
        .value_kind:     hidden_group_size_z
      - .offset:         98
        .size:           2
        .value_kind:     hidden_remainder_x
      - .offset:         100
        .size:           2
        .value_kind:     hidden_remainder_y
      - .offset:         102
        .size:           2
        .value_kind:     hidden_remainder_z
      - .offset:         120
        .size:           8
        .value_kind:     hidden_global_offset_x
      - .offset:         128
        .size:           8
        .value_kind:     hidden_global_offset_y
      - .offset:         136
        .size:           8
        .value_kind:     hidden_global_offset_z
      - .offset:         144
        .size:           2
        .value_kind:     hidden_grid_dims
    .group_segment_fixed_size: 0
    .kernarg_segment_align: 8
    .kernarg_segment_size: 336
    .language:       OpenCL C
    .language_version:
      - 2
      - 0
    .max_flat_workgroup_size: 64
    .name:           _ZL33flash_attn_stream_k_fixup_generalILi64ELi2ELi4EEvPfPK15HIP_vector_typeIfLj2EEiiiiS1_IjLj3EES5_S5_S5_
    .private_segment_fixed_size: 0
    .sgpr_count:     40
    .sgpr_spill_count: 0
    .symbol:         _ZL33flash_attn_stream_k_fixup_generalILi64ELi2ELi4EEvPfPK15HIP_vector_typeIfLj2EEiiiiS1_IjLj3EES5_S5_S5_.kd
    .uniform_work_group_size: 1
    .uses_dynamic_stack: false
    .vgpr_count:     18
    .vgpr_spill_count: 0
    .wavefront_size: 64
  - .args:
      - .address_space:  global
        .offset:         0
        .size:           8
        .value_kind:     global_buffer
      - .address_space:  global
        .offset:         8
        .size:           8
        .value_kind:     global_buffer
      - .address_space:  global
        .offset:         16
        .size:           8
        .value_kind:     global_buffer
      - .address_space:  global
        .offset:         24
        .size:           8
        .value_kind:     global_buffer
      - .address_space:  global
        .offset:         32
        .size:           8
        .value_kind:     global_buffer
      - .address_space:  global
        .offset:         40
        .size:           8
        .value_kind:     global_buffer
      - .address_space:  global
        .offset:         48
        .size:           8
        .value_kind:     global_buffer
      - .address_space:  global
        .offset:         56
        .size:           8
        .value_kind:     global_buffer
      - .offset:         64
        .size:           4
        .value_kind:     by_value
      - .offset:         68
        .size:           4
        .value_kind:     by_value
      - .offset:         72
        .size:           4
        .value_kind:     by_value
      - .offset:         76
        .size:           4
        .value_kind:     by_value
      - .offset:         80
        .size:           4
        .value_kind:     by_value
      - .offset:         84
        .size:           4
        .value_kind:     by_value
      - .offset:         88
        .size:           4
        .value_kind:     by_value
      - .offset:         92
        .size:           12
        .value_kind:     by_value
      - .offset:         104
        .size:           4
        .value_kind:     by_value
      - .offset:         108
        .size:           4
        .value_kind:     by_value
      - .offset:         112
        .size:           4
        .value_kind:     by_value
      - .offset:         116
        .size:           4
        .value_kind:     by_value
      - .offset:         120
        .size:           4
        .value_kind:     by_value
      - .offset:         124
        .size:           4
        .value_kind:     by_value
      - .offset:         128
        .size:           4
        .value_kind:     by_value
      - .offset:         132
        .size:           4
        .value_kind:     by_value
      - .offset:         136
        .size:           4
        .value_kind:     by_value
      - .offset:         140
        .size:           4
        .value_kind:     by_value
      - .offset:         144
        .size:           4
        .value_kind:     by_value
      - .offset:         152
        .size:           8
        .value_kind:     by_value
      - .offset:         160
        .size:           4
        .value_kind:     by_value
      - .offset:         164
        .size:           4
        .value_kind:     by_value
      - .offset:         168
        .size:           8
        .value_kind:     by_value
      - .offset:         176
        .size:           4
        .value_kind:     by_value
      - .offset:         180
        .size:           4
        .value_kind:     by_value
      - .offset:         184
        .size:           4
        .value_kind:     by_value
      - .offset:         188
        .size:           4
        .value_kind:     by_value
      - .offset:         192
        .size:           4
        .value_kind:     by_value
      - .offset:         200
        .size:           8
        .value_kind:     by_value
      - .offset:         208
        .size:           4
        .value_kind:     hidden_block_count_x
      - .offset:         212
        .size:           4
        .value_kind:     hidden_block_count_y
      - .offset:         216
        .size:           4
        .value_kind:     hidden_block_count_z
      - .offset:         220
        .size:           2
        .value_kind:     hidden_group_size_x
      - .offset:         222
        .size:           2
        .value_kind:     hidden_group_size_y
      - .offset:         224
        .size:           2
        .value_kind:     hidden_group_size_z
      - .offset:         226
        .size:           2
        .value_kind:     hidden_remainder_x
      - .offset:         228
        .size:           2
        .value_kind:     hidden_remainder_y
      - .offset:         230
        .size:           2
        .value_kind:     hidden_remainder_z
      - .offset:         248
        .size:           8
        .value_kind:     hidden_global_offset_x
      - .offset:         256
        .size:           8
        .value_kind:     hidden_global_offset_y
      - .offset:         264
        .size:           8
        .value_kind:     hidden_global_offset_z
      - .offset:         272
        .size:           2
        .value_kind:     hidden_grid_dims
    .group_segment_fixed_size: 10240
    .kernarg_segment_align: 8
    .kernarg_segment_size: 464
    .language:       OpenCL C
    .language_version:
      - 2
      - 0
    .max_flat_workgroup_size: 128
    .name:           _ZL15flash_attn_tileILi64ELi64ELi1ELi4ELb0EEvPKcS1_S1_S1_S1_PKiPfP15HIP_vector_typeIfLj2EEffffjfiS5_IjLj3EEiiiiiiiiiiiliiliiiiil
    .private_segment_fixed_size: 0
    .sgpr_count:     43
    .sgpr_spill_count: 0
    .symbol:         _ZL15flash_attn_tileILi64ELi64ELi1ELi4ELb0EEvPKcS1_S1_S1_S1_PKiPfP15HIP_vector_typeIfLj2EEffffjfiS5_IjLj3EEiiiiiiiiiiiliiliiiiil.kd
    .uniform_work_group_size: 1
    .uses_dynamic_stack: false
    .vgpr_count:     73
    .vgpr_spill_count: 0
    .wavefront_size: 64
  - .args:
      - .address_space:  global
        .offset:         0
        .size:           8
        .value_kind:     global_buffer
      - .address_space:  global
        .offset:         8
        .size:           8
        .value_kind:     global_buffer
      - .offset:         16
        .size:           4
        .value_kind:     by_value
      - .offset:         20
        .size:           4
        .value_kind:     by_value
      - .offset:         24
        .size:           4
        .value_kind:     by_value
      - .offset:         28
        .size:           4
        .value_kind:     by_value
      - .offset:         32
        .size:           4
        .value_kind:     by_value
      - .offset:         36
        .size:           4
        .value_kind:     by_value
      - .offset:         40
        .size:           12
        .value_kind:     by_value
      - .offset:         52
        .size:           12
        .value_kind:     by_value
      - .offset:         64
        .size:           12
        .value_kind:     by_value
    .group_segment_fixed_size: 0
    .kernarg_segment_align: 8
    .kernarg_segment_size: 76
    .language:       OpenCL C
    .language_version:
      - 2
      - 0
    .max_flat_workgroup_size: 64
    .name:           _ZL33flash_attn_stream_k_fixup_uniformILi64ELi1ELi4EEvPfPK15HIP_vector_typeIfLj2EEiiiiiiS1_IjLj3EES5_S5_
    .private_segment_fixed_size: 0
    .sgpr_count:     24
    .sgpr_spill_count: 0
    .symbol:         _ZL33flash_attn_stream_k_fixup_uniformILi64ELi1ELi4EEvPfPK15HIP_vector_typeIfLj2EEiiiiiiS1_IjLj3EES5_S5_.kd
    .uniform_work_group_size: 1
    .uses_dynamic_stack: false
    .vgpr_count:     17
    .vgpr_spill_count: 0
    .wavefront_size: 64
  - .args:
      - .address_space:  global
        .offset:         0
        .size:           8
        .value_kind:     global_buffer
      - .address_space:  global
        .offset:         8
        .size:           8
        .value_kind:     global_buffer
      - .offset:         16
        .size:           4
        .value_kind:     by_value
      - .offset:         20
        .size:           4
        .value_kind:     by_value
      - .offset:         24
        .size:           4
        .value_kind:     by_value
      - .offset:         28
        .size:           4
        .value_kind:     by_value
      - .offset:         32
        .size:           12
        .value_kind:     by_value
      - .offset:         44
        .size:           12
        .value_kind:     by_value
      - .offset:         56
        .size:           12
        .value_kind:     by_value
      - .offset:         68
        .size:           12
        .value_kind:     by_value
      - .offset:         80
        .size:           4
        .value_kind:     hidden_block_count_x
      - .offset:         84
        .size:           4
        .value_kind:     hidden_block_count_y
      - .offset:         88
        .size:           4
        .value_kind:     hidden_block_count_z
      - .offset:         92
        .size:           2
        .value_kind:     hidden_group_size_x
      - .offset:         94
        .size:           2
        .value_kind:     hidden_group_size_y
      - .offset:         96
        .size:           2
        .value_kind:     hidden_group_size_z
      - .offset:         98
        .size:           2
        .value_kind:     hidden_remainder_x
      - .offset:         100
        .size:           2
        .value_kind:     hidden_remainder_y
      - .offset:         102
        .size:           2
        .value_kind:     hidden_remainder_z
      - .offset:         120
        .size:           8
        .value_kind:     hidden_global_offset_x
      - .offset:         128
        .size:           8
        .value_kind:     hidden_global_offset_y
      - .offset:         136
        .size:           8
        .value_kind:     hidden_global_offset_z
      - .offset:         144
        .size:           2
        .value_kind:     hidden_grid_dims
    .group_segment_fixed_size: 0
    .kernarg_segment_align: 8
    .kernarg_segment_size: 336
    .language:       OpenCL C
    .language_version:
      - 2
      - 0
    .max_flat_workgroup_size: 64
    .name:           _ZL33flash_attn_stream_k_fixup_generalILi64ELi1ELi4EEvPfPK15HIP_vector_typeIfLj2EEiiiiS1_IjLj3EES5_S5_S5_
    .private_segment_fixed_size: 0
    .sgpr_count:     41
    .sgpr_spill_count: 0
    .symbol:         _ZL33flash_attn_stream_k_fixup_generalILi64ELi1ELi4EEvPfPK15HIP_vector_typeIfLj2EEiiiiS1_IjLj3EES5_S5_S5_.kd
    .uniform_work_group_size: 1
    .uses_dynamic_stack: false
    .vgpr_count:     18
    .vgpr_spill_count: 0
    .wavefront_size: 64
  - .args:
      - .address_space:  global
        .offset:         0
        .size:           8
        .value_kind:     global_buffer
      - .address_space:  global
        .offset:         8
        .size:           8
        .value_kind:     global_buffer
      - .address_space:  global
        .offset:         16
        .size:           8
        .value_kind:     global_buffer
      - .address_space:  global
        .offset:         24
        .size:           8
        .value_kind:     global_buffer
      - .address_space:  global
        .offset:         32
        .size:           8
        .value_kind:     global_buffer
      - .address_space:  global
        .offset:         40
        .size:           8
        .value_kind:     global_buffer
      - .address_space:  global
        .offset:         48
        .size:           8
        .value_kind:     global_buffer
      - .address_space:  global
        .offset:         56
        .size:           8
        .value_kind:     global_buffer
      - .offset:         64
        .size:           4
        .value_kind:     by_value
      - .offset:         68
        .size:           4
        .value_kind:     by_value
      - .offset:         72
        .size:           4
        .value_kind:     by_value
      - .offset:         76
        .size:           4
        .value_kind:     by_value
      - .offset:         80
        .size:           4
        .value_kind:     by_value
      - .offset:         84
        .size:           4
        .value_kind:     by_value
      - .offset:         88
        .size:           4
        .value_kind:     by_value
      - .offset:         92
        .size:           12
        .value_kind:     by_value
      - .offset:         104
        .size:           4
        .value_kind:     by_value
      - .offset:         108
        .size:           4
        .value_kind:     by_value
      - .offset:         112
        .size:           4
        .value_kind:     by_value
      - .offset:         116
        .size:           4
        .value_kind:     by_value
      - .offset:         120
        .size:           4
        .value_kind:     by_value
      - .offset:         124
        .size:           4
        .value_kind:     by_value
      - .offset:         128
        .size:           4
        .value_kind:     by_value
      - .offset:         132
        .size:           4
        .value_kind:     by_value
      - .offset:         136
        .size:           4
        .value_kind:     by_value
      - .offset:         140
        .size:           4
        .value_kind:     by_value
      - .offset:         144
        .size:           4
        .value_kind:     by_value
      - .offset:         152
        .size:           8
        .value_kind:     by_value
      - .offset:         160
        .size:           4
        .value_kind:     by_value
      - .offset:         164
        .size:           4
        .value_kind:     by_value
      - .offset:         168
        .size:           8
        .value_kind:     by_value
      - .offset:         176
        .size:           4
        .value_kind:     by_value
      - .offset:         180
        .size:           4
        .value_kind:     by_value
      - .offset:         184
        .size:           4
        .value_kind:     by_value
      - .offset:         188
        .size:           4
        .value_kind:     by_value
      - .offset:         192
        .size:           4
        .value_kind:     by_value
      - .offset:         200
        .size:           8
        .value_kind:     by_value
      - .offset:         208
        .size:           4
        .value_kind:     hidden_block_count_x
      - .offset:         212
        .size:           4
        .value_kind:     hidden_block_count_y
      - .offset:         216
        .size:           4
        .value_kind:     hidden_block_count_z
      - .offset:         220
        .size:           2
        .value_kind:     hidden_group_size_x
      - .offset:         222
        .size:           2
        .value_kind:     hidden_group_size_y
      - .offset:         224
        .size:           2
        .value_kind:     hidden_group_size_z
      - .offset:         226
        .size:           2
        .value_kind:     hidden_remainder_x
      - .offset:         228
        .size:           2
        .value_kind:     hidden_remainder_y
      - .offset:         230
        .size:           2
        .value_kind:     hidden_remainder_z
      - .offset:         248
        .size:           8
        .value_kind:     hidden_global_offset_x
      - .offset:         256
        .size:           8
        .value_kind:     hidden_global_offset_y
      - .offset:         264
        .size:           8
        .value_kind:     hidden_global_offset_z
      - .offset:         272
        .size:           2
        .value_kind:     hidden_grid_dims
    .group_segment_fixed_size: 25600
    .kernarg_segment_align: 8
    .kernarg_segment_size: 464
    .language:       OpenCL C
    .language_version:
      - 2
      - 0
    .max_flat_workgroup_size: 256
    .name:           _ZL15flash_attn_tileILi64ELi64ELi32ELi2ELb0EEvPKcS1_S1_S1_S1_PKiPfP15HIP_vector_typeIfLj2EEffffjfiS5_IjLj3EEiiiiiiiiiiiliiliiiiil
    .private_segment_fixed_size: 84
    .sgpr_count:     52
    .sgpr_spill_count: 0
    .symbol:         _ZL15flash_attn_tileILi64ELi64ELi32ELi2ELb0EEvPKcS1_S1_S1_S1_PKiPfP15HIP_vector_typeIfLj2EEffffjfiS5_IjLj3EEiiiiiiiiiiiliiliiiiil.kd
    .uniform_work_group_size: 1
    .uses_dynamic_stack: false
    .vgpr_count:     128
    .vgpr_spill_count: 20
    .wavefront_size: 64
  - .args:
      - .actual_access:  read_only
        .address_space:  global
        .offset:         0
        .size:           8
        .value_kind:     global_buffer
      - .actual_access:  write_only
        .address_space:  global
        .offset:         8
        .size:           8
        .value_kind:     global_buffer
      - .offset:         16
        .size:           4
        .value_kind:     by_value
      - .offset:         20
        .size:           4
        .value_kind:     by_value
      - .offset:         24
        .size:           4
        .value_kind:     by_value
      - .offset:         32
        .size:           4
        .value_kind:     hidden_block_count_x
      - .offset:         36
        .size:           4
        .value_kind:     hidden_block_count_y
      - .offset:         40
        .size:           4
        .value_kind:     hidden_block_count_z
      - .offset:         44
        .size:           2
        .value_kind:     hidden_group_size_x
      - .offset:         46
        .size:           2
        .value_kind:     hidden_group_size_y
      - .offset:         48
        .size:           2
        .value_kind:     hidden_group_size_z
      - .offset:         50
        .size:           2
        .value_kind:     hidden_remainder_x
      - .offset:         52
        .size:           2
        .value_kind:     hidden_remainder_y
      - .offset:         54
        .size:           2
        .value_kind:     hidden_remainder_z
      - .offset:         72
        .size:           8
        .value_kind:     hidden_global_offset_x
      - .offset:         80
        .size:           8
        .value_kind:     hidden_global_offset_y
      - .offset:         88
        .size:           8
        .value_kind:     hidden_global_offset_z
      - .offset:         96
        .size:           2
        .value_kind:     hidden_grid_dims
    .group_segment_fixed_size: 128
    .kernarg_segment_align: 8
    .kernarg_segment_size: 288
    .language:       OpenCL C
    .language_version:
      - 2
      - 0
    .max_flat_workgroup_size: 128
    .name:           _ZL25flash_attn_mask_to_KV_maxILi32EEvPK7__half2Piiii
    .private_segment_fixed_size: 0
    .sgpr_count:     100
    .sgpr_spill_count: 46
    .symbol:         _ZL25flash_attn_mask_to_KV_maxILi32EEvPK7__half2Piiii.kd
    .uniform_work_group_size: 1
    .uses_dynamic_stack: false
    .vgpr_count:     13
    .vgpr_spill_count: 0
    .wavefront_size: 64
  - .args:
      - .address_space:  global
        .offset:         0
        .size:           8
        .value_kind:     global_buffer
      - .address_space:  global
        .offset:         8
        .size:           8
        .value_kind:     global_buffer
      - .offset:         16
        .size:           4
        .value_kind:     by_value
      - .offset:         20
        .size:           4
        .value_kind:     by_value
      - .offset:         24
        .size:           4
        .value_kind:     by_value
      - .offset:         28
        .size:           4
        .value_kind:     by_value
      - .offset:         32
        .size:           4
        .value_kind:     by_value
      - .offset:         36
        .size:           4
        .value_kind:     by_value
      - .offset:         40
        .size:           12
        .value_kind:     by_value
      - .offset:         52
        .size:           12
        .value_kind:     by_value
      - .offset:         64
        .size:           12
        .value_kind:     by_value
    .group_segment_fixed_size: 0
    .kernarg_segment_align: 8
    .kernarg_segment_size: 76
    .language:       OpenCL C
    .language_version:
      - 2
      - 0
    .max_flat_workgroup_size: 64
    .name:           _ZL33flash_attn_stream_k_fixup_uniformILi64ELi32ELi2EEvPfPK15HIP_vector_typeIfLj2EEiiiiiiS1_IjLj3EES5_S5_
    .private_segment_fixed_size: 0
    .sgpr_count:     24
    .sgpr_spill_count: 0
    .symbol:         _ZL33flash_attn_stream_k_fixup_uniformILi64ELi32ELi2EEvPfPK15HIP_vector_typeIfLj2EEiiiiiiS1_IjLj3EES5_S5_.kd
    .uniform_work_group_size: 1
    .uses_dynamic_stack: false
    .vgpr_count:     17
    .vgpr_spill_count: 0
    .wavefront_size: 64
  - .args:
      - .address_space:  global
        .offset:         0
        .size:           8
        .value_kind:     global_buffer
      - .address_space:  global
        .offset:         8
        .size:           8
        .value_kind:     global_buffer
      - .offset:         16
        .size:           4
        .value_kind:     by_value
      - .offset:         20
        .size:           4
        .value_kind:     by_value
      - .offset:         24
        .size:           4
        .value_kind:     by_value
      - .offset:         28
        .size:           4
        .value_kind:     by_value
      - .offset:         32
        .size:           12
        .value_kind:     by_value
      - .offset:         44
        .size:           12
        .value_kind:     by_value
      - .offset:         56
        .size:           12
        .value_kind:     by_value
      - .offset:         68
        .size:           12
        .value_kind:     by_value
      - .offset:         80
        .size:           4
        .value_kind:     hidden_block_count_x
      - .offset:         84
        .size:           4
        .value_kind:     hidden_block_count_y
      - .offset:         88
        .size:           4
        .value_kind:     hidden_block_count_z
      - .offset:         92
        .size:           2
        .value_kind:     hidden_group_size_x
      - .offset:         94
        .size:           2
        .value_kind:     hidden_group_size_y
      - .offset:         96
        .size:           2
        .value_kind:     hidden_group_size_z
      - .offset:         98
        .size:           2
        .value_kind:     hidden_remainder_x
      - .offset:         100
        .size:           2
        .value_kind:     hidden_remainder_y
      - .offset:         102
        .size:           2
        .value_kind:     hidden_remainder_z
      - .offset:         120
        .size:           8
        .value_kind:     hidden_global_offset_x
      - .offset:         128
        .size:           8
        .value_kind:     hidden_global_offset_y
      - .offset:         136
        .size:           8
        .value_kind:     hidden_global_offset_z
      - .offset:         144
        .size:           2
        .value_kind:     hidden_grid_dims
    .group_segment_fixed_size: 0
    .kernarg_segment_align: 8
    .kernarg_segment_size: 336
    .language:       OpenCL C
    .language_version:
      - 2
      - 0
    .max_flat_workgroup_size: 64
    .name:           _ZL33flash_attn_stream_k_fixup_generalILi64ELi32ELi2EEvPfPK15HIP_vector_typeIfLj2EEiiiiS1_IjLj3EES5_S5_S5_
    .private_segment_fixed_size: 0
    .sgpr_count:     40
    .sgpr_spill_count: 0
    .symbol:         _ZL33flash_attn_stream_k_fixup_generalILi64ELi32ELi2EEvPfPK15HIP_vector_typeIfLj2EEiiiiS1_IjLj3EES5_S5_S5_.kd
    .uniform_work_group_size: 1
    .uses_dynamic_stack: false
    .vgpr_count:     18
    .vgpr_spill_count: 0
    .wavefront_size: 64
  - .args:
      - .address_space:  global
        .offset:         0
        .size:           8
        .value_kind:     global_buffer
      - .address_space:  global
        .offset:         8
        .size:           8
        .value_kind:     global_buffer
      - .address_space:  global
        .offset:         16
        .size:           8
        .value_kind:     global_buffer
      - .address_space:  global
        .offset:         24
        .size:           8
        .value_kind:     global_buffer
      - .address_space:  global
        .offset:         32
        .size:           8
        .value_kind:     global_buffer
      - .address_space:  global
        .offset:         40
        .size:           8
        .value_kind:     global_buffer
      - .address_space:  global
        .offset:         48
        .size:           8
        .value_kind:     global_buffer
      - .address_space:  global
        .offset:         56
        .size:           8
        .value_kind:     global_buffer
      - .offset:         64
        .size:           4
        .value_kind:     by_value
      - .offset:         68
        .size:           4
        .value_kind:     by_value
      - .offset:         72
        .size:           4
        .value_kind:     by_value
      - .offset:         76
        .size:           4
        .value_kind:     by_value
      - .offset:         80
        .size:           4
        .value_kind:     by_value
      - .offset:         84
        .size:           4
        .value_kind:     by_value
      - .offset:         88
        .size:           4
        .value_kind:     by_value
      - .offset:         92
        .size:           12
        .value_kind:     by_value
      - .offset:         104
        .size:           4
        .value_kind:     by_value
      - .offset:         108
        .size:           4
        .value_kind:     by_value
      - .offset:         112
        .size:           4
        .value_kind:     by_value
      - .offset:         116
        .size:           4
        .value_kind:     by_value
      - .offset:         120
        .size:           4
        .value_kind:     by_value
      - .offset:         124
        .size:           4
        .value_kind:     by_value
      - .offset:         128
        .size:           4
        .value_kind:     by_value
      - .offset:         132
        .size:           4
        .value_kind:     by_value
      - .offset:         136
        .size:           4
        .value_kind:     by_value
      - .offset:         140
        .size:           4
        .value_kind:     by_value
      - .offset:         144
        .size:           4
        .value_kind:     by_value
      - .offset:         152
        .size:           8
        .value_kind:     by_value
      - .offset:         160
        .size:           4
        .value_kind:     by_value
      - .offset:         164
        .size:           4
        .value_kind:     by_value
      - .offset:         168
        .size:           8
        .value_kind:     by_value
      - .offset:         176
        .size:           4
        .value_kind:     by_value
      - .offset:         180
        .size:           4
        .value_kind:     by_value
      - .offset:         184
        .size:           4
        .value_kind:     by_value
      - .offset:         188
        .size:           4
        .value_kind:     by_value
      - .offset:         192
        .size:           4
        .value_kind:     by_value
      - .offset:         200
        .size:           8
        .value_kind:     by_value
      - .offset:         208
        .size:           4
        .value_kind:     hidden_block_count_x
      - .offset:         212
        .size:           4
        .value_kind:     hidden_block_count_y
      - .offset:         216
        .size:           4
        .value_kind:     hidden_block_count_z
      - .offset:         220
        .size:           2
        .value_kind:     hidden_group_size_x
      - .offset:         222
        .size:           2
        .value_kind:     hidden_group_size_y
      - .offset:         224
        .size:           2
        .value_kind:     hidden_group_size_z
      - .offset:         226
        .size:           2
        .value_kind:     hidden_remainder_x
      - .offset:         228
        .size:           2
        .value_kind:     hidden_remainder_y
      - .offset:         230
        .size:           2
        .value_kind:     hidden_remainder_z
      - .offset:         248
        .size:           8
        .value_kind:     hidden_global_offset_x
      - .offset:         256
        .size:           8
        .value_kind:     hidden_global_offset_y
      - .offset:         264
        .size:           8
        .value_kind:     hidden_global_offset_z
      - .offset:         272
        .size:           2
        .value_kind:     hidden_grid_dims
    .group_segment_fixed_size: 17408
    .kernarg_segment_align: 8
    .kernarg_segment_size: 464
    .language:       OpenCL C
    .language_version:
      - 2
      - 0
    .max_flat_workgroup_size: 256
    .name:           _ZL15flash_attn_tileILi64ELi64ELi16ELi2ELb0EEvPKcS1_S1_S1_S1_PKiPfP15HIP_vector_typeIfLj2EEffffjfiS5_IjLj3EEiiiiiiiiiiiliiliiiiil
    .private_segment_fixed_size: 0
    .sgpr_count:     46
    .sgpr_spill_count: 0
    .symbol:         _ZL15flash_attn_tileILi64ELi64ELi16ELi2ELb0EEvPKcS1_S1_S1_S1_PKiPfP15HIP_vector_typeIfLj2EEffffjfiS5_IjLj3EEiiiiiiiiiiiliiliiiiil.kd
    .uniform_work_group_size: 1
    .uses_dynamic_stack: false
    .vgpr_count:     93
    .vgpr_spill_count: 0
    .wavefront_size: 64
  - .args:
      - .address_space:  global
        .offset:         0
        .size:           8
        .value_kind:     global_buffer
      - .address_space:  global
        .offset:         8
        .size:           8
        .value_kind:     global_buffer
      - .offset:         16
        .size:           4
        .value_kind:     by_value
      - .offset:         20
        .size:           4
        .value_kind:     by_value
      - .offset:         24
        .size:           4
        .value_kind:     by_value
      - .offset:         28
        .size:           4
        .value_kind:     by_value
      - .offset:         32
        .size:           4
        .value_kind:     by_value
      - .offset:         36
        .size:           4
        .value_kind:     by_value
      - .offset:         40
        .size:           12
        .value_kind:     by_value
      - .offset:         52
        .size:           12
        .value_kind:     by_value
      - .offset:         64
        .size:           12
        .value_kind:     by_value
    .group_segment_fixed_size: 0
    .kernarg_segment_align: 8
    .kernarg_segment_size: 76
    .language:       OpenCL C
    .language_version:
      - 2
      - 0
    .max_flat_workgroup_size: 64
    .name:           _ZL33flash_attn_stream_k_fixup_uniformILi64ELi16ELi2EEvPfPK15HIP_vector_typeIfLj2EEiiiiiiS1_IjLj3EES5_S5_
    .private_segment_fixed_size: 0
    .sgpr_count:     24
    .sgpr_spill_count: 0
    .symbol:         _ZL33flash_attn_stream_k_fixup_uniformILi64ELi16ELi2EEvPfPK15HIP_vector_typeIfLj2EEiiiiiiS1_IjLj3EES5_S5_.kd
    .uniform_work_group_size: 1
    .uses_dynamic_stack: false
    .vgpr_count:     17
    .vgpr_spill_count: 0
    .wavefront_size: 64
  - .args:
      - .address_space:  global
        .offset:         0
        .size:           8
        .value_kind:     global_buffer
      - .address_space:  global
        .offset:         8
        .size:           8
        .value_kind:     global_buffer
      - .offset:         16
        .size:           4
        .value_kind:     by_value
      - .offset:         20
        .size:           4
        .value_kind:     by_value
      - .offset:         24
        .size:           4
        .value_kind:     by_value
      - .offset:         28
        .size:           4
        .value_kind:     by_value
      - .offset:         32
        .size:           12
        .value_kind:     by_value
      - .offset:         44
        .size:           12
        .value_kind:     by_value
      - .offset:         56
        .size:           12
        .value_kind:     by_value
      - .offset:         68
        .size:           12
        .value_kind:     by_value
      - .offset:         80
        .size:           4
        .value_kind:     hidden_block_count_x
      - .offset:         84
        .size:           4
        .value_kind:     hidden_block_count_y
      - .offset:         88
        .size:           4
        .value_kind:     hidden_block_count_z
      - .offset:         92
        .size:           2
        .value_kind:     hidden_group_size_x
      - .offset:         94
        .size:           2
        .value_kind:     hidden_group_size_y
      - .offset:         96
        .size:           2
        .value_kind:     hidden_group_size_z
      - .offset:         98
        .size:           2
        .value_kind:     hidden_remainder_x
      - .offset:         100
        .size:           2
        .value_kind:     hidden_remainder_y
      - .offset:         102
        .size:           2
        .value_kind:     hidden_remainder_z
      - .offset:         120
        .size:           8
        .value_kind:     hidden_global_offset_x
      - .offset:         128
        .size:           8
        .value_kind:     hidden_global_offset_y
      - .offset:         136
        .size:           8
        .value_kind:     hidden_global_offset_z
      - .offset:         144
        .size:           2
        .value_kind:     hidden_grid_dims
    .group_segment_fixed_size: 0
    .kernarg_segment_align: 8
    .kernarg_segment_size: 336
    .language:       OpenCL C
    .language_version:
      - 2
      - 0
    .max_flat_workgroup_size: 64
    .name:           _ZL33flash_attn_stream_k_fixup_generalILi64ELi16ELi2EEvPfPK15HIP_vector_typeIfLj2EEiiiiS1_IjLj3EES5_S5_S5_
    .private_segment_fixed_size: 0
    .sgpr_count:     40
    .sgpr_spill_count: 0
    .symbol:         _ZL33flash_attn_stream_k_fixup_generalILi64ELi16ELi2EEvPfPK15HIP_vector_typeIfLj2EEiiiiS1_IjLj3EES5_S5_S5_.kd
    .uniform_work_group_size: 1
    .uses_dynamic_stack: false
    .vgpr_count:     18
    .vgpr_spill_count: 0
    .wavefront_size: 64
  - .args:
      - .address_space:  global
        .offset:         0
        .size:           8
        .value_kind:     global_buffer
      - .address_space:  global
        .offset:         8
        .size:           8
        .value_kind:     global_buffer
      - .address_space:  global
        .offset:         16
        .size:           8
        .value_kind:     global_buffer
      - .address_space:  global
        .offset:         24
        .size:           8
        .value_kind:     global_buffer
      - .address_space:  global
        .offset:         32
        .size:           8
        .value_kind:     global_buffer
      - .address_space:  global
        .offset:         40
        .size:           8
        .value_kind:     global_buffer
      - .address_space:  global
        .offset:         48
        .size:           8
        .value_kind:     global_buffer
      - .address_space:  global
        .offset:         56
        .size:           8
        .value_kind:     global_buffer
      - .offset:         64
        .size:           4
        .value_kind:     by_value
      - .offset:         68
        .size:           4
        .value_kind:     by_value
      - .offset:         72
        .size:           4
        .value_kind:     by_value
      - .offset:         76
        .size:           4
        .value_kind:     by_value
      - .offset:         80
        .size:           4
        .value_kind:     by_value
      - .offset:         84
        .size:           4
        .value_kind:     by_value
      - .offset:         88
        .size:           4
        .value_kind:     by_value
      - .offset:         92
        .size:           12
        .value_kind:     by_value
      - .offset:         104
        .size:           4
        .value_kind:     by_value
      - .offset:         108
        .size:           4
        .value_kind:     by_value
      - .offset:         112
        .size:           4
        .value_kind:     by_value
      - .offset:         116
        .size:           4
        .value_kind:     by_value
      - .offset:         120
        .size:           4
        .value_kind:     by_value
      - .offset:         124
        .size:           4
        .value_kind:     by_value
      - .offset:         128
        .size:           4
        .value_kind:     by_value
      - .offset:         132
        .size:           4
        .value_kind:     by_value
      - .offset:         136
        .size:           4
        .value_kind:     by_value
      - .offset:         140
        .size:           4
        .value_kind:     by_value
      - .offset:         144
        .size:           4
        .value_kind:     by_value
      - .offset:         152
        .size:           8
        .value_kind:     by_value
      - .offset:         160
        .size:           4
        .value_kind:     by_value
      - .offset:         164
        .size:           4
        .value_kind:     by_value
      - .offset:         168
        .size:           8
        .value_kind:     by_value
      - .offset:         176
        .size:           4
        .value_kind:     by_value
      - .offset:         180
        .size:           4
        .value_kind:     by_value
      - .offset:         184
        .size:           4
        .value_kind:     by_value
      - .offset:         188
        .size:           4
        .value_kind:     by_value
      - .offset:         192
        .size:           4
        .value_kind:     by_value
      - .offset:         200
        .size:           8
        .value_kind:     by_value
      - .offset:         208
        .size:           4
        .value_kind:     hidden_block_count_x
      - .offset:         212
        .size:           4
        .value_kind:     hidden_block_count_y
      - .offset:         216
        .size:           4
        .value_kind:     hidden_block_count_z
      - .offset:         220
        .size:           2
        .value_kind:     hidden_group_size_x
      - .offset:         222
        .size:           2
        .value_kind:     hidden_group_size_y
      - .offset:         224
        .size:           2
        .value_kind:     hidden_group_size_z
      - .offset:         226
        .size:           2
        .value_kind:     hidden_remainder_x
      - .offset:         228
        .size:           2
        .value_kind:     hidden_remainder_y
      - .offset:         230
        .size:           2
        .value_kind:     hidden_remainder_z
      - .offset:         248
        .size:           8
        .value_kind:     hidden_global_offset_x
      - .offset:         256
        .size:           8
        .value_kind:     hidden_global_offset_y
      - .offset:         264
        .size:           8
        .value_kind:     hidden_global_offset_z
      - .offset:         272
        .size:           2
        .value_kind:     hidden_grid_dims
    .group_segment_fixed_size: 24576
    .kernarg_segment_align: 8
    .kernarg_segment_size: 464
    .language:       OpenCL C
    .language_version:
      - 2
      - 0
    .max_flat_workgroup_size: 256
    .name:           _ZL15flash_attn_tileILi64ELi64ELi8ELi2ELb0EEvPKcS1_S1_S1_S1_PKiPfP15HIP_vector_typeIfLj2EEffffjfiS5_IjLj3EEiiiiiiiiiiiliiliiiiil
    .private_segment_fixed_size: 0
    .sgpr_count:     43
    .sgpr_spill_count: 0
    .symbol:         _ZL15flash_attn_tileILi64ELi64ELi8ELi2ELb0EEvPKcS1_S1_S1_S1_PKiPfP15HIP_vector_typeIfLj2EEffffjfiS5_IjLj3EEiiiiiiiiiiiliiliiiiil.kd
    .uniform_work_group_size: 1
    .uses_dynamic_stack: false
    .vgpr_count:     98
    .vgpr_spill_count: 0
    .wavefront_size: 64
  - .args:
      - .address_space:  global
        .offset:         0
        .size:           8
        .value_kind:     global_buffer
      - .address_space:  global
        .offset:         8
        .size:           8
        .value_kind:     global_buffer
      - .offset:         16
        .size:           4
        .value_kind:     by_value
      - .offset:         20
        .size:           4
        .value_kind:     by_value
      - .offset:         24
        .size:           4
        .value_kind:     by_value
      - .offset:         28
        .size:           4
        .value_kind:     by_value
      - .offset:         32
        .size:           4
        .value_kind:     by_value
      - .offset:         36
        .size:           4
        .value_kind:     by_value
      - .offset:         40
        .size:           12
        .value_kind:     by_value
      - .offset:         52
        .size:           12
        .value_kind:     by_value
      - .offset:         64
        .size:           12
        .value_kind:     by_value
    .group_segment_fixed_size: 0
    .kernarg_segment_align: 8
    .kernarg_segment_size: 76
    .language:       OpenCL C
    .language_version:
      - 2
      - 0
    .max_flat_workgroup_size: 64
    .name:           _ZL33flash_attn_stream_k_fixup_uniformILi64ELi8ELi2EEvPfPK15HIP_vector_typeIfLj2EEiiiiiiS1_IjLj3EES5_S5_
    .private_segment_fixed_size: 0
    .sgpr_count:     24
    .sgpr_spill_count: 0
    .symbol:         _ZL33flash_attn_stream_k_fixup_uniformILi64ELi8ELi2EEvPfPK15HIP_vector_typeIfLj2EEiiiiiiS1_IjLj3EES5_S5_.kd
    .uniform_work_group_size: 1
    .uses_dynamic_stack: false
    .vgpr_count:     17
    .vgpr_spill_count: 0
    .wavefront_size: 64
  - .args:
      - .address_space:  global
        .offset:         0
        .size:           8
        .value_kind:     global_buffer
      - .address_space:  global
        .offset:         8
        .size:           8
        .value_kind:     global_buffer
      - .offset:         16
        .size:           4
        .value_kind:     by_value
      - .offset:         20
        .size:           4
        .value_kind:     by_value
      - .offset:         24
        .size:           4
        .value_kind:     by_value
      - .offset:         28
        .size:           4
        .value_kind:     by_value
      - .offset:         32
        .size:           12
        .value_kind:     by_value
      - .offset:         44
        .size:           12
        .value_kind:     by_value
      - .offset:         56
        .size:           12
        .value_kind:     by_value
      - .offset:         68
        .size:           12
        .value_kind:     by_value
      - .offset:         80
        .size:           4
        .value_kind:     hidden_block_count_x
      - .offset:         84
        .size:           4
        .value_kind:     hidden_block_count_y
      - .offset:         88
        .size:           4
        .value_kind:     hidden_block_count_z
      - .offset:         92
        .size:           2
        .value_kind:     hidden_group_size_x
      - .offset:         94
        .size:           2
        .value_kind:     hidden_group_size_y
      - .offset:         96
        .size:           2
        .value_kind:     hidden_group_size_z
      - .offset:         98
        .size:           2
        .value_kind:     hidden_remainder_x
      - .offset:         100
        .size:           2
        .value_kind:     hidden_remainder_y
      - .offset:         102
        .size:           2
        .value_kind:     hidden_remainder_z
      - .offset:         120
        .size:           8
        .value_kind:     hidden_global_offset_x
      - .offset:         128
        .size:           8
        .value_kind:     hidden_global_offset_y
      - .offset:         136
        .size:           8
        .value_kind:     hidden_global_offset_z
      - .offset:         144
        .size:           2
        .value_kind:     hidden_grid_dims
    .group_segment_fixed_size: 0
    .kernarg_segment_align: 8
    .kernarg_segment_size: 336
    .language:       OpenCL C
    .language_version:
      - 2
      - 0
    .max_flat_workgroup_size: 64
    .name:           _ZL33flash_attn_stream_k_fixup_generalILi64ELi8ELi2EEvPfPK15HIP_vector_typeIfLj2EEiiiiS1_IjLj3EES5_S5_S5_
    .private_segment_fixed_size: 0
    .sgpr_count:     40
    .sgpr_spill_count: 0
    .symbol:         _ZL33flash_attn_stream_k_fixup_generalILi64ELi8ELi2EEvPfPK15HIP_vector_typeIfLj2EEiiiiS1_IjLj3EES5_S5_S5_.kd
    .uniform_work_group_size: 1
    .uses_dynamic_stack: false
    .vgpr_count:     18
    .vgpr_spill_count: 0
    .wavefront_size: 64
  - .args:
      - .address_space:  global
        .offset:         0
        .size:           8
        .value_kind:     global_buffer
      - .address_space:  global
        .offset:         8
        .size:           8
        .value_kind:     global_buffer
      - .address_space:  global
        .offset:         16
        .size:           8
        .value_kind:     global_buffer
      - .address_space:  global
        .offset:         24
        .size:           8
        .value_kind:     global_buffer
      - .address_space:  global
        .offset:         32
        .size:           8
        .value_kind:     global_buffer
      - .address_space:  global
        .offset:         40
        .size:           8
        .value_kind:     global_buffer
      - .address_space:  global
        .offset:         48
        .size:           8
        .value_kind:     global_buffer
      - .address_space:  global
        .offset:         56
        .size:           8
        .value_kind:     global_buffer
      - .offset:         64
        .size:           4
        .value_kind:     by_value
      - .offset:         68
        .size:           4
        .value_kind:     by_value
      - .offset:         72
        .size:           4
        .value_kind:     by_value
      - .offset:         76
        .size:           4
        .value_kind:     by_value
      - .offset:         80
        .size:           4
        .value_kind:     by_value
      - .offset:         84
        .size:           4
        .value_kind:     by_value
      - .offset:         88
        .size:           4
        .value_kind:     by_value
      - .offset:         92
        .size:           12
        .value_kind:     by_value
      - .offset:         104
        .size:           4
        .value_kind:     by_value
      - .offset:         108
        .size:           4
        .value_kind:     by_value
      - .offset:         112
        .size:           4
        .value_kind:     by_value
      - .offset:         116
        .size:           4
        .value_kind:     by_value
      - .offset:         120
        .size:           4
        .value_kind:     by_value
      - .offset:         124
        .size:           4
        .value_kind:     by_value
      - .offset:         128
        .size:           4
        .value_kind:     by_value
      - .offset:         132
        .size:           4
        .value_kind:     by_value
      - .offset:         136
        .size:           4
        .value_kind:     by_value
      - .offset:         140
        .size:           4
        .value_kind:     by_value
      - .offset:         144
        .size:           4
        .value_kind:     by_value
      - .offset:         152
        .size:           8
        .value_kind:     by_value
      - .offset:         160
        .size:           4
        .value_kind:     by_value
      - .offset:         164
        .size:           4
        .value_kind:     by_value
      - .offset:         168
        .size:           8
        .value_kind:     by_value
      - .offset:         176
        .size:           4
        .value_kind:     by_value
      - .offset:         180
        .size:           4
        .value_kind:     by_value
      - .offset:         184
        .size:           4
        .value_kind:     by_value
      - .offset:         188
        .size:           4
        .value_kind:     by_value
      - .offset:         192
        .size:           4
        .value_kind:     by_value
      - .offset:         200
        .size:           8
        .value_kind:     by_value
      - .offset:         208
        .size:           4
        .value_kind:     hidden_block_count_x
      - .offset:         212
        .size:           4
        .value_kind:     hidden_block_count_y
      - .offset:         216
        .size:           4
        .value_kind:     hidden_block_count_z
      - .offset:         220
        .size:           2
        .value_kind:     hidden_group_size_x
      - .offset:         222
        .size:           2
        .value_kind:     hidden_group_size_y
      - .offset:         224
        .size:           2
        .value_kind:     hidden_group_size_z
      - .offset:         226
        .size:           2
        .value_kind:     hidden_remainder_x
      - .offset:         228
        .size:           2
        .value_kind:     hidden_remainder_y
      - .offset:         230
        .size:           2
        .value_kind:     hidden_remainder_z
      - .offset:         248
        .size:           8
        .value_kind:     hidden_global_offset_x
      - .offset:         256
        .size:           8
        .value_kind:     hidden_global_offset_y
      - .offset:         264
        .size:           8
        .value_kind:     hidden_global_offset_z
      - .offset:         272
        .size:           2
        .value_kind:     hidden_grid_dims
    .group_segment_fixed_size: 6144
    .kernarg_segment_align: 8
    .kernarg_segment_size: 464
    .language:       OpenCL C
    .language_version:
      - 2
      - 0
    .max_flat_workgroup_size: 128
    .name:           _ZL15flash_attn_tileILi64ELi64ELi4ELi2ELb0EEvPKcS1_S1_S1_S1_PKiPfP15HIP_vector_typeIfLj2EEffffjfiS5_IjLj3EEiiiiiiiiiiiliiliiiiil
    .private_segment_fixed_size: 0
    .sgpr_count:     43
    .sgpr_spill_count: 0
    .symbol:         _ZL15flash_attn_tileILi64ELi64ELi4ELi2ELb0EEvPKcS1_S1_S1_S1_PKiPfP15HIP_vector_typeIfLj2EEffffjfiS5_IjLj3EEiiiiiiiiiiiliiliiiiil.kd
    .uniform_work_group_size: 1
    .uses_dynamic_stack: false
    .vgpr_count:     60
    .vgpr_spill_count: 0
    .wavefront_size: 64
  - .args:
      - .address_space:  global
        .offset:         0
        .size:           8
        .value_kind:     global_buffer
      - .address_space:  global
        .offset:         8
        .size:           8
        .value_kind:     global_buffer
      - .offset:         16
        .size:           4
        .value_kind:     by_value
      - .offset:         20
        .size:           4
        .value_kind:     by_value
      - .offset:         24
        .size:           4
        .value_kind:     by_value
      - .offset:         28
        .size:           4
        .value_kind:     by_value
      - .offset:         32
        .size:           4
        .value_kind:     by_value
      - .offset:         36
        .size:           4
        .value_kind:     by_value
      - .offset:         40
        .size:           12
        .value_kind:     by_value
      - .offset:         52
        .size:           12
        .value_kind:     by_value
      - .offset:         64
        .size:           12
        .value_kind:     by_value
    .group_segment_fixed_size: 0
    .kernarg_segment_align: 8
    .kernarg_segment_size: 76
    .language:       OpenCL C
    .language_version:
      - 2
      - 0
    .max_flat_workgroup_size: 64
    .name:           _ZL33flash_attn_stream_k_fixup_uniformILi64ELi4ELi2EEvPfPK15HIP_vector_typeIfLj2EEiiiiiiS1_IjLj3EES5_S5_
    .private_segment_fixed_size: 0
    .sgpr_count:     24
    .sgpr_spill_count: 0
    .symbol:         _ZL33flash_attn_stream_k_fixup_uniformILi64ELi4ELi2EEvPfPK15HIP_vector_typeIfLj2EEiiiiiiS1_IjLj3EES5_S5_.kd
    .uniform_work_group_size: 1
    .uses_dynamic_stack: false
    .vgpr_count:     17
    .vgpr_spill_count: 0
    .wavefront_size: 64
  - .args:
      - .address_space:  global
        .offset:         0
        .size:           8
        .value_kind:     global_buffer
      - .address_space:  global
        .offset:         8
        .size:           8
        .value_kind:     global_buffer
      - .offset:         16
        .size:           4
        .value_kind:     by_value
      - .offset:         20
        .size:           4
        .value_kind:     by_value
      - .offset:         24
        .size:           4
        .value_kind:     by_value
      - .offset:         28
        .size:           4
        .value_kind:     by_value
      - .offset:         32
        .size:           12
        .value_kind:     by_value
      - .offset:         44
        .size:           12
        .value_kind:     by_value
      - .offset:         56
        .size:           12
        .value_kind:     by_value
      - .offset:         68
        .size:           12
        .value_kind:     by_value
      - .offset:         80
        .size:           4
        .value_kind:     hidden_block_count_x
      - .offset:         84
        .size:           4
        .value_kind:     hidden_block_count_y
      - .offset:         88
        .size:           4
        .value_kind:     hidden_block_count_z
      - .offset:         92
        .size:           2
        .value_kind:     hidden_group_size_x
      - .offset:         94
        .size:           2
        .value_kind:     hidden_group_size_y
      - .offset:         96
        .size:           2
        .value_kind:     hidden_group_size_z
      - .offset:         98
        .size:           2
        .value_kind:     hidden_remainder_x
      - .offset:         100
        .size:           2
        .value_kind:     hidden_remainder_y
      - .offset:         102
        .size:           2
        .value_kind:     hidden_remainder_z
      - .offset:         120
        .size:           8
        .value_kind:     hidden_global_offset_x
      - .offset:         128
        .size:           8
        .value_kind:     hidden_global_offset_y
      - .offset:         136
        .size:           8
        .value_kind:     hidden_global_offset_z
      - .offset:         144
        .size:           2
        .value_kind:     hidden_grid_dims
    .group_segment_fixed_size: 0
    .kernarg_segment_align: 8
    .kernarg_segment_size: 336
    .language:       OpenCL C
    .language_version:
      - 2
      - 0
    .max_flat_workgroup_size: 64
    .name:           _ZL33flash_attn_stream_k_fixup_generalILi64ELi4ELi2EEvPfPK15HIP_vector_typeIfLj2EEiiiiS1_IjLj3EES5_S5_S5_
    .private_segment_fixed_size: 0
    .sgpr_count:     40
    .sgpr_spill_count: 0
    .symbol:         _ZL33flash_attn_stream_k_fixup_generalILi64ELi4ELi2EEvPfPK15HIP_vector_typeIfLj2EEiiiiS1_IjLj3EES5_S5_S5_.kd
    .uniform_work_group_size: 1
    .uses_dynamic_stack: false
    .vgpr_count:     18
    .vgpr_spill_count: 0
    .wavefront_size: 64
  - .args:
      - .address_space:  global
        .offset:         0
        .size:           8
        .value_kind:     global_buffer
      - .address_space:  global
        .offset:         8
        .size:           8
        .value_kind:     global_buffer
      - .address_space:  global
        .offset:         16
        .size:           8
        .value_kind:     global_buffer
      - .address_space:  global
        .offset:         24
        .size:           8
        .value_kind:     global_buffer
      - .address_space:  global
        .offset:         32
        .size:           8
        .value_kind:     global_buffer
      - .address_space:  global
        .offset:         40
        .size:           8
        .value_kind:     global_buffer
      - .address_space:  global
        .offset:         48
        .size:           8
        .value_kind:     global_buffer
      - .address_space:  global
        .offset:         56
        .size:           8
        .value_kind:     global_buffer
      - .offset:         64
        .size:           4
        .value_kind:     by_value
      - .offset:         68
        .size:           4
        .value_kind:     by_value
      - .offset:         72
        .size:           4
        .value_kind:     by_value
      - .offset:         76
        .size:           4
        .value_kind:     by_value
      - .offset:         80
        .size:           4
        .value_kind:     by_value
      - .offset:         84
        .size:           4
        .value_kind:     by_value
      - .offset:         88
        .size:           4
        .value_kind:     by_value
      - .offset:         92
        .size:           12
        .value_kind:     by_value
      - .offset:         104
        .size:           4
        .value_kind:     by_value
      - .offset:         108
        .size:           4
        .value_kind:     by_value
      - .offset:         112
        .size:           4
        .value_kind:     by_value
      - .offset:         116
        .size:           4
        .value_kind:     by_value
      - .offset:         120
        .size:           4
        .value_kind:     by_value
      - .offset:         124
        .size:           4
        .value_kind:     by_value
      - .offset:         128
        .size:           4
        .value_kind:     by_value
      - .offset:         132
        .size:           4
        .value_kind:     by_value
      - .offset:         136
        .size:           4
        .value_kind:     by_value
      - .offset:         140
        .size:           4
        .value_kind:     by_value
      - .offset:         144
        .size:           4
        .value_kind:     by_value
      - .offset:         152
        .size:           8
        .value_kind:     by_value
      - .offset:         160
        .size:           4
        .value_kind:     by_value
      - .offset:         164
        .size:           4
        .value_kind:     by_value
      - .offset:         168
        .size:           8
        .value_kind:     by_value
      - .offset:         176
        .size:           4
        .value_kind:     by_value
      - .offset:         180
        .size:           4
        .value_kind:     by_value
      - .offset:         184
        .size:           4
        .value_kind:     by_value
      - .offset:         188
        .size:           4
        .value_kind:     by_value
      - .offset:         192
        .size:           4
        .value_kind:     by_value
      - .offset:         200
        .size:           8
        .value_kind:     by_value
      - .offset:         208
        .size:           4
        .value_kind:     hidden_block_count_x
      - .offset:         212
        .size:           4
        .value_kind:     hidden_block_count_y
      - .offset:         216
        .size:           4
        .value_kind:     hidden_block_count_z
      - .offset:         220
        .size:           2
        .value_kind:     hidden_group_size_x
      - .offset:         222
        .size:           2
        .value_kind:     hidden_group_size_y
      - .offset:         224
        .size:           2
        .value_kind:     hidden_group_size_z
      - .offset:         226
        .size:           2
        .value_kind:     hidden_remainder_x
      - .offset:         228
        .size:           2
        .value_kind:     hidden_remainder_y
      - .offset:         230
        .size:           2
        .value_kind:     hidden_remainder_z
      - .offset:         248
        .size:           8
        .value_kind:     hidden_global_offset_x
      - .offset:         256
        .size:           8
        .value_kind:     hidden_global_offset_y
      - .offset:         264
        .size:           8
        .value_kind:     hidden_global_offset_z
      - .offset:         272
        .size:           2
        .value_kind:     hidden_grid_dims
    .group_segment_fixed_size: 10240
    .kernarg_segment_align: 8
    .kernarg_segment_size: 464
    .language:       OpenCL C
    .language_version:
      - 2
      - 0
    .max_flat_workgroup_size: 128
    .name:           _ZL15flash_attn_tileILi64ELi64ELi2ELi2ELb0EEvPKcS1_S1_S1_S1_PKiPfP15HIP_vector_typeIfLj2EEffffjfiS5_IjLj3EEiiiiiiiiiiiliiliiiiil
    .private_segment_fixed_size: 0
    .sgpr_count:     43
    .sgpr_spill_count: 0
    .symbol:         _ZL15flash_attn_tileILi64ELi64ELi2ELi2ELb0EEvPKcS1_S1_S1_S1_PKiPfP15HIP_vector_typeIfLj2EEffffjfiS5_IjLj3EEiiiiiiiiiiiliiliiiiil.kd
    .uniform_work_group_size: 1
    .uses_dynamic_stack: false
    .vgpr_count:     73
    .vgpr_spill_count: 0
    .wavefront_size: 64
  - .args:
      - .address_space:  global
        .offset:         0
        .size:           8
        .value_kind:     global_buffer
      - .address_space:  global
        .offset:         8
        .size:           8
        .value_kind:     global_buffer
      - .offset:         16
        .size:           4
        .value_kind:     by_value
      - .offset:         20
        .size:           4
        .value_kind:     by_value
      - .offset:         24
        .size:           4
        .value_kind:     by_value
      - .offset:         28
        .size:           4
        .value_kind:     by_value
      - .offset:         32
        .size:           4
        .value_kind:     by_value
      - .offset:         36
        .size:           4
        .value_kind:     by_value
      - .offset:         40
        .size:           12
        .value_kind:     by_value
      - .offset:         52
        .size:           12
        .value_kind:     by_value
      - .offset:         64
        .size:           12
        .value_kind:     by_value
    .group_segment_fixed_size: 0
    .kernarg_segment_align: 8
    .kernarg_segment_size: 76
    .language:       OpenCL C
    .language_version:
      - 2
      - 0
    .max_flat_workgroup_size: 64
    .name:           _ZL33flash_attn_stream_k_fixup_uniformILi64ELi2ELi2EEvPfPK15HIP_vector_typeIfLj2EEiiiiiiS1_IjLj3EES5_S5_
    .private_segment_fixed_size: 0
    .sgpr_count:     24
    .sgpr_spill_count: 0
    .symbol:         _ZL33flash_attn_stream_k_fixup_uniformILi64ELi2ELi2EEvPfPK15HIP_vector_typeIfLj2EEiiiiiiS1_IjLj3EES5_S5_.kd
    .uniform_work_group_size: 1
    .uses_dynamic_stack: false
    .vgpr_count:     17
    .vgpr_spill_count: 0
    .wavefront_size: 64
  - .args:
      - .address_space:  global
        .offset:         0
        .size:           8
        .value_kind:     global_buffer
      - .address_space:  global
        .offset:         8
        .size:           8
        .value_kind:     global_buffer
      - .offset:         16
        .size:           4
        .value_kind:     by_value
      - .offset:         20
        .size:           4
        .value_kind:     by_value
      - .offset:         24
        .size:           4
        .value_kind:     by_value
      - .offset:         28
        .size:           4
        .value_kind:     by_value
      - .offset:         32
        .size:           12
        .value_kind:     by_value
      - .offset:         44
        .size:           12
        .value_kind:     by_value
      - .offset:         56
        .size:           12
        .value_kind:     by_value
      - .offset:         68
        .size:           12
        .value_kind:     by_value
      - .offset:         80
        .size:           4
        .value_kind:     hidden_block_count_x
      - .offset:         84
        .size:           4
        .value_kind:     hidden_block_count_y
      - .offset:         88
        .size:           4
        .value_kind:     hidden_block_count_z
      - .offset:         92
        .size:           2
        .value_kind:     hidden_group_size_x
      - .offset:         94
        .size:           2
        .value_kind:     hidden_group_size_y
      - .offset:         96
        .size:           2
        .value_kind:     hidden_group_size_z
      - .offset:         98
        .size:           2
        .value_kind:     hidden_remainder_x
      - .offset:         100
        .size:           2
        .value_kind:     hidden_remainder_y
      - .offset:         102
        .size:           2
        .value_kind:     hidden_remainder_z
      - .offset:         120
        .size:           8
        .value_kind:     hidden_global_offset_x
      - .offset:         128
        .size:           8
        .value_kind:     hidden_global_offset_y
      - .offset:         136
        .size:           8
        .value_kind:     hidden_global_offset_z
      - .offset:         144
        .size:           2
        .value_kind:     hidden_grid_dims
    .group_segment_fixed_size: 0
    .kernarg_segment_align: 8
    .kernarg_segment_size: 336
    .language:       OpenCL C
    .language_version:
      - 2
      - 0
    .max_flat_workgroup_size: 64
    .name:           _ZL33flash_attn_stream_k_fixup_generalILi64ELi2ELi2EEvPfPK15HIP_vector_typeIfLj2EEiiiiS1_IjLj3EES5_S5_S5_
    .private_segment_fixed_size: 0
    .sgpr_count:     40
    .sgpr_spill_count: 0
    .symbol:         _ZL33flash_attn_stream_k_fixup_generalILi64ELi2ELi2EEvPfPK15HIP_vector_typeIfLj2EEiiiiS1_IjLj3EES5_S5_S5_.kd
    .uniform_work_group_size: 1
    .uses_dynamic_stack: false
    .vgpr_count:     18
    .vgpr_spill_count: 0
    .wavefront_size: 64
  - .args:
      - .address_space:  global
        .offset:         0
        .size:           8
        .value_kind:     global_buffer
      - .address_space:  global
        .offset:         8
        .size:           8
        .value_kind:     global_buffer
      - .address_space:  global
        .offset:         16
        .size:           8
        .value_kind:     global_buffer
      - .address_space:  global
        .offset:         24
        .size:           8
        .value_kind:     global_buffer
      - .address_space:  global
        .offset:         32
        .size:           8
        .value_kind:     global_buffer
      - .address_space:  global
        .offset:         40
        .size:           8
        .value_kind:     global_buffer
      - .address_space:  global
        .offset:         48
        .size:           8
        .value_kind:     global_buffer
      - .address_space:  global
        .offset:         56
        .size:           8
        .value_kind:     global_buffer
      - .offset:         64
        .size:           4
        .value_kind:     by_value
      - .offset:         68
        .size:           4
        .value_kind:     by_value
      - .offset:         72
        .size:           4
        .value_kind:     by_value
      - .offset:         76
        .size:           4
        .value_kind:     by_value
      - .offset:         80
        .size:           4
        .value_kind:     by_value
      - .offset:         84
        .size:           4
        .value_kind:     by_value
      - .offset:         88
        .size:           4
        .value_kind:     by_value
      - .offset:         92
        .size:           12
        .value_kind:     by_value
      - .offset:         104
        .size:           4
        .value_kind:     by_value
      - .offset:         108
        .size:           4
        .value_kind:     by_value
      - .offset:         112
        .size:           4
        .value_kind:     by_value
      - .offset:         116
        .size:           4
        .value_kind:     by_value
      - .offset:         120
        .size:           4
        .value_kind:     by_value
      - .offset:         124
        .size:           4
        .value_kind:     by_value
      - .offset:         128
        .size:           4
        .value_kind:     by_value
      - .offset:         132
        .size:           4
        .value_kind:     by_value
      - .offset:         136
        .size:           4
        .value_kind:     by_value
      - .offset:         140
        .size:           4
        .value_kind:     by_value
      - .offset:         144
        .size:           4
        .value_kind:     by_value
      - .offset:         152
        .size:           8
        .value_kind:     by_value
      - .offset:         160
        .size:           4
        .value_kind:     by_value
      - .offset:         164
        .size:           4
        .value_kind:     by_value
      - .offset:         168
        .size:           8
        .value_kind:     by_value
      - .offset:         176
        .size:           4
        .value_kind:     by_value
      - .offset:         180
        .size:           4
        .value_kind:     by_value
      - .offset:         184
        .size:           4
        .value_kind:     by_value
      - .offset:         188
        .size:           4
        .value_kind:     by_value
      - .offset:         192
        .size:           4
        .value_kind:     by_value
      - .offset:         200
        .size:           8
        .value_kind:     by_value
      - .offset:         208
        .size:           4
        .value_kind:     hidden_block_count_x
      - .offset:         212
        .size:           4
        .value_kind:     hidden_block_count_y
      - .offset:         216
        .size:           4
        .value_kind:     hidden_block_count_z
      - .offset:         220
        .size:           2
        .value_kind:     hidden_group_size_x
      - .offset:         222
        .size:           2
        .value_kind:     hidden_group_size_y
      - .offset:         224
        .size:           2
        .value_kind:     hidden_group_size_z
      - .offset:         226
        .size:           2
        .value_kind:     hidden_remainder_x
      - .offset:         228
        .size:           2
        .value_kind:     hidden_remainder_y
      - .offset:         230
        .size:           2
        .value_kind:     hidden_remainder_z
      - .offset:         248
        .size:           8
        .value_kind:     hidden_global_offset_x
      - .offset:         256
        .size:           8
        .value_kind:     hidden_global_offset_y
      - .offset:         264
        .size:           8
        .value_kind:     hidden_global_offset_z
      - .offset:         272
        .size:           2
        .value_kind:     hidden_grid_dims
    .group_segment_fixed_size: 4992
    .kernarg_segment_align: 8
    .kernarg_segment_size: 464
    .language:       OpenCL C
    .language_version:
      - 2
      - 0
    .max_flat_workgroup_size: 64
    .name:           _ZL15flash_attn_tileILi64ELi64ELi1ELi2ELb0EEvPKcS1_S1_S1_S1_PKiPfP15HIP_vector_typeIfLj2EEffffjfiS5_IjLj3EEiiiiiiiiiiiliiliiiiil
    .private_segment_fixed_size: 0
    .sgpr_count:     43
    .sgpr_spill_count: 0
    .symbol:         _ZL15flash_attn_tileILi64ELi64ELi1ELi2ELb0EEvPKcS1_S1_S1_S1_PKiPfP15HIP_vector_typeIfLj2EEffffjfiS5_IjLj3EEiiiiiiiiiiiliiliiiiil.kd
    .uniform_work_group_size: 1
    .uses_dynamic_stack: false
    .vgpr_count:     63
    .vgpr_spill_count: 0
    .wavefront_size: 64
  - .args:
      - .address_space:  global
        .offset:         0
        .size:           8
        .value_kind:     global_buffer
      - .address_space:  global
        .offset:         8
        .size:           8
        .value_kind:     global_buffer
      - .offset:         16
        .size:           4
        .value_kind:     by_value
      - .offset:         20
        .size:           4
        .value_kind:     by_value
      - .offset:         24
        .size:           4
        .value_kind:     by_value
      - .offset:         28
        .size:           4
        .value_kind:     by_value
      - .offset:         32
        .size:           4
        .value_kind:     by_value
      - .offset:         36
        .size:           4
        .value_kind:     by_value
      - .offset:         40
        .size:           12
        .value_kind:     by_value
      - .offset:         52
        .size:           12
        .value_kind:     by_value
      - .offset:         64
        .size:           12
        .value_kind:     by_value
    .group_segment_fixed_size: 0
    .kernarg_segment_align: 8
    .kernarg_segment_size: 76
    .language:       OpenCL C
    .language_version:
      - 2
      - 0
    .max_flat_workgroup_size: 64
    .name:           _ZL33flash_attn_stream_k_fixup_uniformILi64ELi1ELi2EEvPfPK15HIP_vector_typeIfLj2EEiiiiiiS1_IjLj3EES5_S5_
    .private_segment_fixed_size: 0
    .sgpr_count:     24
    .sgpr_spill_count: 0
    .symbol:         _ZL33flash_attn_stream_k_fixup_uniformILi64ELi1ELi2EEvPfPK15HIP_vector_typeIfLj2EEiiiiiiS1_IjLj3EES5_S5_.kd
    .uniform_work_group_size: 1
    .uses_dynamic_stack: false
    .vgpr_count:     17
    .vgpr_spill_count: 0
    .wavefront_size: 64
  - .args:
      - .address_space:  global
        .offset:         0
        .size:           8
        .value_kind:     global_buffer
      - .address_space:  global
        .offset:         8
        .size:           8
        .value_kind:     global_buffer
      - .offset:         16
        .size:           4
        .value_kind:     by_value
      - .offset:         20
        .size:           4
        .value_kind:     by_value
      - .offset:         24
        .size:           4
        .value_kind:     by_value
      - .offset:         28
        .size:           4
        .value_kind:     by_value
      - .offset:         32
        .size:           12
        .value_kind:     by_value
      - .offset:         44
        .size:           12
        .value_kind:     by_value
      - .offset:         56
        .size:           12
        .value_kind:     by_value
      - .offset:         68
        .size:           12
        .value_kind:     by_value
      - .offset:         80
        .size:           4
        .value_kind:     hidden_block_count_x
      - .offset:         84
        .size:           4
        .value_kind:     hidden_block_count_y
      - .offset:         88
        .size:           4
        .value_kind:     hidden_block_count_z
      - .offset:         92
        .size:           2
        .value_kind:     hidden_group_size_x
      - .offset:         94
        .size:           2
        .value_kind:     hidden_group_size_y
      - .offset:         96
        .size:           2
        .value_kind:     hidden_group_size_z
      - .offset:         98
        .size:           2
        .value_kind:     hidden_remainder_x
      - .offset:         100
        .size:           2
        .value_kind:     hidden_remainder_y
      - .offset:         102
        .size:           2
        .value_kind:     hidden_remainder_z
      - .offset:         120
        .size:           8
        .value_kind:     hidden_global_offset_x
      - .offset:         128
        .size:           8
        .value_kind:     hidden_global_offset_y
      - .offset:         136
        .size:           8
        .value_kind:     hidden_global_offset_z
      - .offset:         144
        .size:           2
        .value_kind:     hidden_grid_dims
    .group_segment_fixed_size: 0
    .kernarg_segment_align: 8
    .kernarg_segment_size: 336
    .language:       OpenCL C
    .language_version:
      - 2
      - 0
    .max_flat_workgroup_size: 64
    .name:           _ZL33flash_attn_stream_k_fixup_generalILi64ELi1ELi2EEvPfPK15HIP_vector_typeIfLj2EEiiiiS1_IjLj3EES5_S5_S5_
    .private_segment_fixed_size: 0
    .sgpr_count:     41
    .sgpr_spill_count: 0
    .symbol:         _ZL33flash_attn_stream_k_fixup_generalILi64ELi1ELi2EEvPfPK15HIP_vector_typeIfLj2EEiiiiS1_IjLj3EES5_S5_S5_.kd
    .uniform_work_group_size: 1
    .uses_dynamic_stack: false
    .vgpr_count:     18
    .vgpr_spill_count: 0
    .wavefront_size: 64
  - .args:
      - .address_space:  global
        .offset:         0
        .size:           8
        .value_kind:     global_buffer
      - .address_space:  global
        .offset:         8
        .size:           8
        .value_kind:     global_buffer
      - .address_space:  global
        .offset:         16
        .size:           8
        .value_kind:     global_buffer
      - .address_space:  global
        .offset:         24
        .size:           8
        .value_kind:     global_buffer
      - .address_space:  global
        .offset:         32
        .size:           8
        .value_kind:     global_buffer
      - .address_space:  global
        .offset:         40
        .size:           8
        .value_kind:     global_buffer
      - .address_space:  global
        .offset:         48
        .size:           8
        .value_kind:     global_buffer
      - .address_space:  global
        .offset:         56
        .size:           8
        .value_kind:     global_buffer
      - .offset:         64
        .size:           4
        .value_kind:     by_value
      - .offset:         68
        .size:           4
        .value_kind:     by_value
      - .offset:         72
        .size:           4
        .value_kind:     by_value
      - .offset:         76
        .size:           4
        .value_kind:     by_value
      - .offset:         80
        .size:           4
        .value_kind:     by_value
      - .offset:         84
        .size:           4
        .value_kind:     by_value
      - .offset:         88
        .size:           4
        .value_kind:     by_value
      - .offset:         92
        .size:           12
        .value_kind:     by_value
      - .offset:         104
        .size:           4
        .value_kind:     by_value
      - .offset:         108
        .size:           4
        .value_kind:     by_value
      - .offset:         112
        .size:           4
        .value_kind:     by_value
      - .offset:         116
        .size:           4
        .value_kind:     by_value
      - .offset:         120
        .size:           4
        .value_kind:     by_value
      - .offset:         124
        .size:           4
        .value_kind:     by_value
      - .offset:         128
        .size:           4
        .value_kind:     by_value
      - .offset:         132
        .size:           4
        .value_kind:     by_value
      - .offset:         136
        .size:           4
        .value_kind:     by_value
      - .offset:         140
        .size:           4
        .value_kind:     by_value
      - .offset:         144
        .size:           4
        .value_kind:     by_value
      - .offset:         152
        .size:           8
        .value_kind:     by_value
      - .offset:         160
        .size:           4
        .value_kind:     by_value
      - .offset:         164
        .size:           4
        .value_kind:     by_value
      - .offset:         168
        .size:           8
        .value_kind:     by_value
      - .offset:         176
        .size:           4
        .value_kind:     by_value
      - .offset:         180
        .size:           4
        .value_kind:     by_value
      - .offset:         184
        .size:           4
        .value_kind:     by_value
      - .offset:         188
        .size:           4
        .value_kind:     by_value
      - .offset:         192
        .size:           4
        .value_kind:     by_value
      - .offset:         200
        .size:           8
        .value_kind:     by_value
      - .offset:         208
        .size:           4
        .value_kind:     hidden_block_count_x
      - .offset:         212
        .size:           4
        .value_kind:     hidden_block_count_y
      - .offset:         216
        .size:           4
        .value_kind:     hidden_block_count_z
      - .offset:         220
        .size:           2
        .value_kind:     hidden_group_size_x
      - .offset:         222
        .size:           2
        .value_kind:     hidden_group_size_y
      - .offset:         224
        .size:           2
        .value_kind:     hidden_group_size_z
      - .offset:         226
        .size:           2
        .value_kind:     hidden_remainder_x
      - .offset:         228
        .size:           2
        .value_kind:     hidden_remainder_y
      - .offset:         230
        .size:           2
        .value_kind:     hidden_remainder_z
      - .offset:         248
        .size:           8
        .value_kind:     hidden_global_offset_x
      - .offset:         256
        .size:           8
        .value_kind:     hidden_global_offset_y
      - .offset:         264
        .size:           8
        .value_kind:     hidden_global_offset_z
      - .offset:         272
        .size:           2
        .value_kind:     hidden_grid_dims
    .group_segment_fixed_size: 25600
    .kernarg_segment_align: 8
    .kernarg_segment_size: 464
    .language:       OpenCL C
    .language_version:
      - 2
      - 0
    .max_flat_workgroup_size: 256
    .name:           _ZL15flash_attn_tileILi64ELi64ELi64ELi1ELb0EEvPKcS1_S1_S1_S1_PKiPfP15HIP_vector_typeIfLj2EEffffjfiS5_IjLj3EEiiiiiiiiiiiliiliiiiil
    .private_segment_fixed_size: 32
    .sgpr_count:     58
    .sgpr_spill_count: 0
    .symbol:         _ZL15flash_attn_tileILi64ELi64ELi64ELi1ELb0EEvPKcS1_S1_S1_S1_PKiPfP15HIP_vector_typeIfLj2EEffffjfiS5_IjLj3EEiiiiiiiiiiiliiliiiiil.kd
    .uniform_work_group_size: 1
    .uses_dynamic_stack: false
    .vgpr_count:     128
    .vgpr_spill_count: 0
    .wavefront_size: 64
  - .args:
      - .actual_access:  read_only
        .address_space:  global
        .offset:         0
        .size:           8
        .value_kind:     global_buffer
      - .actual_access:  write_only
        .address_space:  global
        .offset:         8
        .size:           8
        .value_kind:     global_buffer
      - .offset:         16
        .size:           4
        .value_kind:     by_value
      - .offset:         20
        .size:           4
        .value_kind:     by_value
      - .offset:         24
        .size:           4
        .value_kind:     by_value
      - .offset:         32
        .size:           4
        .value_kind:     hidden_block_count_x
      - .offset:         36
        .size:           4
        .value_kind:     hidden_block_count_y
      - .offset:         40
        .size:           4
        .value_kind:     hidden_block_count_z
      - .offset:         44
        .size:           2
        .value_kind:     hidden_group_size_x
      - .offset:         46
        .size:           2
        .value_kind:     hidden_group_size_y
      - .offset:         48
        .size:           2
        .value_kind:     hidden_group_size_z
      - .offset:         50
        .size:           2
        .value_kind:     hidden_remainder_x
      - .offset:         52
        .size:           2
        .value_kind:     hidden_remainder_y
      - .offset:         54
        .size:           2
        .value_kind:     hidden_remainder_z
      - .offset:         72
        .size:           8
        .value_kind:     hidden_global_offset_x
      - .offset:         80
        .size:           8
        .value_kind:     hidden_global_offset_y
      - .offset:         88
        .size:           8
        .value_kind:     hidden_global_offset_z
      - .offset:         96
        .size:           2
        .value_kind:     hidden_grid_dims
    .group_segment_fixed_size: 128
    .kernarg_segment_align: 8
    .kernarg_segment_size: 288
    .language:       OpenCL C
    .language_version:
      - 2
      - 0
    .max_flat_workgroup_size: 128
    .name:           _ZL25flash_attn_mask_to_KV_maxILi64EEvPK7__half2Piiii
    .private_segment_fixed_size: 0
    .sgpr_count:     100
    .sgpr_spill_count: 174
    .symbol:         _ZL25flash_attn_mask_to_KV_maxILi64EEvPK7__half2Piiii.kd
    .uniform_work_group_size: 1
    .uses_dynamic_stack: false
    .vgpr_count:     15
    .vgpr_spill_count: 0
    .wavefront_size: 64
  - .args:
      - .address_space:  global
        .offset:         0
        .size:           8
        .value_kind:     global_buffer
      - .address_space:  global
        .offset:         8
        .size:           8
        .value_kind:     global_buffer
      - .offset:         16
        .size:           4
        .value_kind:     by_value
      - .offset:         20
        .size:           4
        .value_kind:     by_value
      - .offset:         24
        .size:           4
        .value_kind:     by_value
      - .offset:         28
        .size:           4
        .value_kind:     by_value
      - .offset:         32
        .size:           4
        .value_kind:     by_value
      - .offset:         36
        .size:           4
        .value_kind:     by_value
      - .offset:         40
        .size:           12
        .value_kind:     by_value
      - .offset:         52
        .size:           12
        .value_kind:     by_value
      - .offset:         64
        .size:           12
        .value_kind:     by_value
    .group_segment_fixed_size: 0
    .kernarg_segment_align: 8
    .kernarg_segment_size: 76
    .language:       OpenCL C
    .language_version:
      - 2
      - 0
    .max_flat_workgroup_size: 64
    .name:           _ZL33flash_attn_stream_k_fixup_uniformILi64ELi64ELi1EEvPfPK15HIP_vector_typeIfLj2EEiiiiiiS1_IjLj3EES5_S5_
    .private_segment_fixed_size: 0
    .sgpr_count:     24
    .sgpr_spill_count: 0
    .symbol:         _ZL33flash_attn_stream_k_fixup_uniformILi64ELi64ELi1EEvPfPK15HIP_vector_typeIfLj2EEiiiiiiS1_IjLj3EES5_S5_.kd
    .uniform_work_group_size: 1
    .uses_dynamic_stack: false
    .vgpr_count:     17
    .vgpr_spill_count: 0
    .wavefront_size: 64
  - .args:
      - .address_space:  global
        .offset:         0
        .size:           8
        .value_kind:     global_buffer
      - .address_space:  global
        .offset:         8
        .size:           8
        .value_kind:     global_buffer
      - .offset:         16
        .size:           4
        .value_kind:     by_value
      - .offset:         20
        .size:           4
        .value_kind:     by_value
      - .offset:         24
        .size:           4
        .value_kind:     by_value
      - .offset:         28
        .size:           4
        .value_kind:     by_value
      - .offset:         32
        .size:           12
        .value_kind:     by_value
      - .offset:         44
        .size:           12
        .value_kind:     by_value
      - .offset:         56
        .size:           12
        .value_kind:     by_value
      - .offset:         68
        .size:           12
        .value_kind:     by_value
      - .offset:         80
        .size:           4
        .value_kind:     hidden_block_count_x
      - .offset:         84
        .size:           4
        .value_kind:     hidden_block_count_y
      - .offset:         88
        .size:           4
        .value_kind:     hidden_block_count_z
      - .offset:         92
        .size:           2
        .value_kind:     hidden_group_size_x
      - .offset:         94
        .size:           2
        .value_kind:     hidden_group_size_y
      - .offset:         96
        .size:           2
        .value_kind:     hidden_group_size_z
      - .offset:         98
        .size:           2
        .value_kind:     hidden_remainder_x
      - .offset:         100
        .size:           2
        .value_kind:     hidden_remainder_y
      - .offset:         102
        .size:           2
        .value_kind:     hidden_remainder_z
      - .offset:         120
        .size:           8
        .value_kind:     hidden_global_offset_x
      - .offset:         128
        .size:           8
        .value_kind:     hidden_global_offset_y
      - .offset:         136
        .size:           8
        .value_kind:     hidden_global_offset_z
      - .offset:         144
        .size:           2
        .value_kind:     hidden_grid_dims
    .group_segment_fixed_size: 0
    .kernarg_segment_align: 8
    .kernarg_segment_size: 336
    .language:       OpenCL C
    .language_version:
      - 2
      - 0
    .max_flat_workgroup_size: 64
    .name:           _ZL33flash_attn_stream_k_fixup_generalILi64ELi64ELi1EEvPfPK15HIP_vector_typeIfLj2EEiiiiS1_IjLj3EES5_S5_S5_
    .private_segment_fixed_size: 0
    .sgpr_count:     40
    .sgpr_spill_count: 0
    .symbol:         _ZL33flash_attn_stream_k_fixup_generalILi64ELi64ELi1EEvPfPK15HIP_vector_typeIfLj2EEiiiiS1_IjLj3EES5_S5_S5_.kd
    .uniform_work_group_size: 1
    .uses_dynamic_stack: false
    .vgpr_count:     18
    .vgpr_spill_count: 0
    .wavefront_size: 64
  - .args:
      - .address_space:  global
        .offset:         0
        .size:           8
        .value_kind:     global_buffer
      - .address_space:  global
        .offset:         8
        .size:           8
        .value_kind:     global_buffer
      - .address_space:  global
        .offset:         16
        .size:           8
        .value_kind:     global_buffer
      - .address_space:  global
        .offset:         24
        .size:           8
        .value_kind:     global_buffer
      - .address_space:  global
        .offset:         32
        .size:           8
        .value_kind:     global_buffer
      - .address_space:  global
        .offset:         40
        .size:           8
        .value_kind:     global_buffer
      - .address_space:  global
        .offset:         48
        .size:           8
        .value_kind:     global_buffer
      - .address_space:  global
        .offset:         56
        .size:           8
        .value_kind:     global_buffer
      - .offset:         64
        .size:           4
        .value_kind:     by_value
      - .offset:         68
        .size:           4
        .value_kind:     by_value
      - .offset:         72
        .size:           4
        .value_kind:     by_value
      - .offset:         76
        .size:           4
        .value_kind:     by_value
      - .offset:         80
        .size:           4
        .value_kind:     by_value
      - .offset:         84
        .size:           4
        .value_kind:     by_value
      - .offset:         88
        .size:           4
        .value_kind:     by_value
      - .offset:         92
        .size:           12
        .value_kind:     by_value
      - .offset:         104
        .size:           4
        .value_kind:     by_value
      - .offset:         108
        .size:           4
        .value_kind:     by_value
      - .offset:         112
        .size:           4
        .value_kind:     by_value
      - .offset:         116
        .size:           4
        .value_kind:     by_value
      - .offset:         120
        .size:           4
        .value_kind:     by_value
      - .offset:         124
        .size:           4
        .value_kind:     by_value
      - .offset:         128
        .size:           4
        .value_kind:     by_value
      - .offset:         132
        .size:           4
        .value_kind:     by_value
      - .offset:         136
        .size:           4
        .value_kind:     by_value
      - .offset:         140
        .size:           4
        .value_kind:     by_value
      - .offset:         144
        .size:           4
        .value_kind:     by_value
      - .offset:         152
        .size:           8
        .value_kind:     by_value
      - .offset:         160
        .size:           4
        .value_kind:     by_value
      - .offset:         164
        .size:           4
        .value_kind:     by_value
      - .offset:         168
        .size:           8
        .value_kind:     by_value
      - .offset:         176
        .size:           4
        .value_kind:     by_value
      - .offset:         180
        .size:           4
        .value_kind:     by_value
      - .offset:         184
        .size:           4
        .value_kind:     by_value
      - .offset:         188
        .size:           4
        .value_kind:     by_value
      - .offset:         192
        .size:           4
        .value_kind:     by_value
      - .offset:         200
        .size:           8
        .value_kind:     by_value
      - .offset:         208
        .size:           4
        .value_kind:     hidden_block_count_x
      - .offset:         212
        .size:           4
        .value_kind:     hidden_block_count_y
      - .offset:         216
        .size:           4
        .value_kind:     hidden_block_count_z
      - .offset:         220
        .size:           2
        .value_kind:     hidden_group_size_x
      - .offset:         222
        .size:           2
        .value_kind:     hidden_group_size_y
      - .offset:         224
        .size:           2
        .value_kind:     hidden_group_size_z
      - .offset:         226
        .size:           2
        .value_kind:     hidden_remainder_x
      - .offset:         228
        .size:           2
        .value_kind:     hidden_remainder_y
      - .offset:         230
        .size:           2
        .value_kind:     hidden_remainder_z
      - .offset:         248
        .size:           8
        .value_kind:     hidden_global_offset_x
      - .offset:         256
        .size:           8
        .value_kind:     hidden_global_offset_y
      - .offset:         264
        .size:           8
        .value_kind:     hidden_global_offset_z
      - .offset:         272
        .size:           2
        .value_kind:     hidden_grid_dims
    .group_segment_fixed_size: 17408
    .kernarg_segment_align: 8
    .kernarg_segment_size: 464
    .language:       OpenCL C
    .language_version:
      - 2
      - 0
    .max_flat_workgroup_size: 256
    .name:           _ZL15flash_attn_tileILi64ELi64ELi32ELi1ELb0EEvPKcS1_S1_S1_S1_PKiPfP15HIP_vector_typeIfLj2EEffffjfiS5_IjLj3EEiiiiiiiiiiiliiliiiiil
    .private_segment_fixed_size: 32
    .sgpr_count:     58
    .sgpr_spill_count: 0
    .symbol:         _ZL15flash_attn_tileILi64ELi64ELi32ELi1ELb0EEvPKcS1_S1_S1_S1_PKiPfP15HIP_vector_typeIfLj2EEffffjfiS5_IjLj3EEiiiiiiiiiiiliiliiiiil.kd
    .uniform_work_group_size: 1
    .uses_dynamic_stack: false
    .vgpr_count:     86
    .vgpr_spill_count: 0
    .wavefront_size: 64
  - .args:
      - .address_space:  global
        .offset:         0
        .size:           8
        .value_kind:     global_buffer
      - .address_space:  global
        .offset:         8
        .size:           8
        .value_kind:     global_buffer
      - .offset:         16
        .size:           4
        .value_kind:     by_value
      - .offset:         20
        .size:           4
        .value_kind:     by_value
      - .offset:         24
        .size:           4
        .value_kind:     by_value
      - .offset:         28
        .size:           4
        .value_kind:     by_value
      - .offset:         32
        .size:           4
        .value_kind:     by_value
      - .offset:         36
        .size:           4
        .value_kind:     by_value
      - .offset:         40
        .size:           12
        .value_kind:     by_value
      - .offset:         52
        .size:           12
        .value_kind:     by_value
      - .offset:         64
        .size:           12
        .value_kind:     by_value
    .group_segment_fixed_size: 0
    .kernarg_segment_align: 8
    .kernarg_segment_size: 76
    .language:       OpenCL C
    .language_version:
      - 2
      - 0
    .max_flat_workgroup_size: 64
    .name:           _ZL33flash_attn_stream_k_fixup_uniformILi64ELi32ELi1EEvPfPK15HIP_vector_typeIfLj2EEiiiiiiS1_IjLj3EES5_S5_
    .private_segment_fixed_size: 0
    .sgpr_count:     24
    .sgpr_spill_count: 0
    .symbol:         _ZL33flash_attn_stream_k_fixup_uniformILi64ELi32ELi1EEvPfPK15HIP_vector_typeIfLj2EEiiiiiiS1_IjLj3EES5_S5_.kd
    .uniform_work_group_size: 1
    .uses_dynamic_stack: false
    .vgpr_count:     17
    .vgpr_spill_count: 0
    .wavefront_size: 64
  - .args:
      - .address_space:  global
        .offset:         0
        .size:           8
        .value_kind:     global_buffer
      - .address_space:  global
        .offset:         8
        .size:           8
        .value_kind:     global_buffer
      - .offset:         16
        .size:           4
        .value_kind:     by_value
      - .offset:         20
        .size:           4
        .value_kind:     by_value
      - .offset:         24
        .size:           4
        .value_kind:     by_value
      - .offset:         28
        .size:           4
        .value_kind:     by_value
      - .offset:         32
        .size:           12
        .value_kind:     by_value
      - .offset:         44
        .size:           12
        .value_kind:     by_value
      - .offset:         56
        .size:           12
        .value_kind:     by_value
      - .offset:         68
        .size:           12
        .value_kind:     by_value
      - .offset:         80
        .size:           4
        .value_kind:     hidden_block_count_x
      - .offset:         84
        .size:           4
        .value_kind:     hidden_block_count_y
      - .offset:         88
        .size:           4
        .value_kind:     hidden_block_count_z
      - .offset:         92
        .size:           2
        .value_kind:     hidden_group_size_x
      - .offset:         94
        .size:           2
        .value_kind:     hidden_group_size_y
      - .offset:         96
        .size:           2
        .value_kind:     hidden_group_size_z
      - .offset:         98
        .size:           2
        .value_kind:     hidden_remainder_x
      - .offset:         100
        .size:           2
        .value_kind:     hidden_remainder_y
      - .offset:         102
        .size:           2
        .value_kind:     hidden_remainder_z
      - .offset:         120
        .size:           8
        .value_kind:     hidden_global_offset_x
      - .offset:         128
        .size:           8
        .value_kind:     hidden_global_offset_y
      - .offset:         136
        .size:           8
        .value_kind:     hidden_global_offset_z
      - .offset:         144
        .size:           2
        .value_kind:     hidden_grid_dims
    .group_segment_fixed_size: 0
    .kernarg_segment_align: 8
    .kernarg_segment_size: 336
    .language:       OpenCL C
    .language_version:
      - 2
      - 0
    .max_flat_workgroup_size: 64
    .name:           _ZL33flash_attn_stream_k_fixup_generalILi64ELi32ELi1EEvPfPK15HIP_vector_typeIfLj2EEiiiiS1_IjLj3EES5_S5_S5_
    .private_segment_fixed_size: 0
    .sgpr_count:     40
    .sgpr_spill_count: 0
    .symbol:         _ZL33flash_attn_stream_k_fixup_generalILi64ELi32ELi1EEvPfPK15HIP_vector_typeIfLj2EEiiiiS1_IjLj3EES5_S5_S5_.kd
    .uniform_work_group_size: 1
    .uses_dynamic_stack: false
    .vgpr_count:     18
    .vgpr_spill_count: 0
    .wavefront_size: 64
  - .args:
      - .address_space:  global
        .offset:         0
        .size:           8
        .value_kind:     global_buffer
      - .address_space:  global
        .offset:         8
        .size:           8
        .value_kind:     global_buffer
      - .address_space:  global
        .offset:         16
        .size:           8
        .value_kind:     global_buffer
      - .address_space:  global
        .offset:         24
        .size:           8
        .value_kind:     global_buffer
      - .address_space:  global
        .offset:         32
        .size:           8
        .value_kind:     global_buffer
      - .address_space:  global
        .offset:         40
        .size:           8
        .value_kind:     global_buffer
      - .address_space:  global
        .offset:         48
        .size:           8
        .value_kind:     global_buffer
      - .address_space:  global
        .offset:         56
        .size:           8
        .value_kind:     global_buffer
      - .offset:         64
        .size:           4
        .value_kind:     by_value
      - .offset:         68
        .size:           4
        .value_kind:     by_value
      - .offset:         72
        .size:           4
        .value_kind:     by_value
      - .offset:         76
        .size:           4
        .value_kind:     by_value
      - .offset:         80
        .size:           4
        .value_kind:     by_value
      - .offset:         84
        .size:           4
        .value_kind:     by_value
      - .offset:         88
        .size:           4
        .value_kind:     by_value
      - .offset:         92
        .size:           12
        .value_kind:     by_value
      - .offset:         104
        .size:           4
        .value_kind:     by_value
      - .offset:         108
        .size:           4
        .value_kind:     by_value
      - .offset:         112
        .size:           4
        .value_kind:     by_value
      - .offset:         116
        .size:           4
        .value_kind:     by_value
      - .offset:         120
        .size:           4
        .value_kind:     by_value
      - .offset:         124
        .size:           4
        .value_kind:     by_value
      - .offset:         128
        .size:           4
        .value_kind:     by_value
      - .offset:         132
        .size:           4
        .value_kind:     by_value
      - .offset:         136
        .size:           4
        .value_kind:     by_value
      - .offset:         140
        .size:           4
        .value_kind:     by_value
      - .offset:         144
        .size:           4
        .value_kind:     by_value
      - .offset:         152
        .size:           8
        .value_kind:     by_value
      - .offset:         160
        .size:           4
        .value_kind:     by_value
      - .offset:         164
        .size:           4
        .value_kind:     by_value
      - .offset:         168
        .size:           8
        .value_kind:     by_value
      - .offset:         176
        .size:           4
        .value_kind:     by_value
      - .offset:         180
        .size:           4
        .value_kind:     by_value
      - .offset:         184
        .size:           4
        .value_kind:     by_value
      - .offset:         188
        .size:           4
        .value_kind:     by_value
      - .offset:         192
        .size:           4
        .value_kind:     by_value
      - .offset:         200
        .size:           8
        .value_kind:     by_value
      - .offset:         208
        .size:           4
        .value_kind:     hidden_block_count_x
      - .offset:         212
        .size:           4
        .value_kind:     hidden_block_count_y
      - .offset:         216
        .size:           4
        .value_kind:     hidden_block_count_z
      - .offset:         220
        .size:           2
        .value_kind:     hidden_group_size_x
      - .offset:         222
        .size:           2
        .value_kind:     hidden_group_size_y
      - .offset:         224
        .size:           2
        .value_kind:     hidden_group_size_z
      - .offset:         226
        .size:           2
        .value_kind:     hidden_remainder_x
      - .offset:         228
        .size:           2
        .value_kind:     hidden_remainder_y
      - .offset:         230
        .size:           2
        .value_kind:     hidden_remainder_z
      - .offset:         248
        .size:           8
        .value_kind:     hidden_global_offset_x
      - .offset:         256
        .size:           8
        .value_kind:     hidden_global_offset_y
      - .offset:         264
        .size:           8
        .value_kind:     hidden_global_offset_z
      - .offset:         272
        .size:           2
        .value_kind:     hidden_grid_dims
    .group_segment_fixed_size: 24576
    .kernarg_segment_align: 8
    .kernarg_segment_size: 464
    .language:       OpenCL C
    .language_version:
      - 2
      - 0
    .max_flat_workgroup_size: 256
    .name:           _ZL15flash_attn_tileILi64ELi64ELi16ELi1ELb0EEvPKcS1_S1_S1_S1_PKiPfP15HIP_vector_typeIfLj2EEffffjfiS5_IjLj3EEiiiiiiiiiiiliiliiiiil
    .private_segment_fixed_size: 32
    .sgpr_count:     58
    .sgpr_spill_count: 0
    .symbol:         _ZL15flash_attn_tileILi64ELi64ELi16ELi1ELb0EEvPKcS1_S1_S1_S1_PKiPfP15HIP_vector_typeIfLj2EEffffjfiS5_IjLj3EEiiiiiiiiiiiliiliiiiil.kd
    .uniform_work_group_size: 1
    .uses_dynamic_stack: false
    .vgpr_count:     87
    .vgpr_spill_count: 0
    .wavefront_size: 64
  - .args:
      - .address_space:  global
        .offset:         0
        .size:           8
        .value_kind:     global_buffer
      - .address_space:  global
        .offset:         8
        .size:           8
        .value_kind:     global_buffer
      - .offset:         16
        .size:           4
        .value_kind:     by_value
      - .offset:         20
        .size:           4
        .value_kind:     by_value
      - .offset:         24
        .size:           4
        .value_kind:     by_value
      - .offset:         28
        .size:           4
        .value_kind:     by_value
      - .offset:         32
        .size:           4
        .value_kind:     by_value
      - .offset:         36
        .size:           4
        .value_kind:     by_value
      - .offset:         40
        .size:           12
        .value_kind:     by_value
      - .offset:         52
        .size:           12
        .value_kind:     by_value
      - .offset:         64
        .size:           12
        .value_kind:     by_value
    .group_segment_fixed_size: 0
    .kernarg_segment_align: 8
    .kernarg_segment_size: 76
    .language:       OpenCL C
    .language_version:
      - 2
      - 0
    .max_flat_workgroup_size: 64
    .name:           _ZL33flash_attn_stream_k_fixup_uniformILi64ELi16ELi1EEvPfPK15HIP_vector_typeIfLj2EEiiiiiiS1_IjLj3EES5_S5_
    .private_segment_fixed_size: 0
    .sgpr_count:     24
    .sgpr_spill_count: 0
    .symbol:         _ZL33flash_attn_stream_k_fixup_uniformILi64ELi16ELi1EEvPfPK15HIP_vector_typeIfLj2EEiiiiiiS1_IjLj3EES5_S5_.kd
    .uniform_work_group_size: 1
    .uses_dynamic_stack: false
    .vgpr_count:     17
    .vgpr_spill_count: 0
    .wavefront_size: 64
  - .args:
      - .address_space:  global
        .offset:         0
        .size:           8
        .value_kind:     global_buffer
      - .address_space:  global
        .offset:         8
        .size:           8
        .value_kind:     global_buffer
      - .offset:         16
        .size:           4
        .value_kind:     by_value
      - .offset:         20
        .size:           4
        .value_kind:     by_value
      - .offset:         24
        .size:           4
        .value_kind:     by_value
      - .offset:         28
        .size:           4
        .value_kind:     by_value
      - .offset:         32
        .size:           12
        .value_kind:     by_value
      - .offset:         44
        .size:           12
        .value_kind:     by_value
      - .offset:         56
        .size:           12
        .value_kind:     by_value
      - .offset:         68
        .size:           12
        .value_kind:     by_value
      - .offset:         80
        .size:           4
        .value_kind:     hidden_block_count_x
      - .offset:         84
        .size:           4
        .value_kind:     hidden_block_count_y
      - .offset:         88
        .size:           4
        .value_kind:     hidden_block_count_z
      - .offset:         92
        .size:           2
        .value_kind:     hidden_group_size_x
      - .offset:         94
        .size:           2
        .value_kind:     hidden_group_size_y
      - .offset:         96
        .size:           2
        .value_kind:     hidden_group_size_z
      - .offset:         98
        .size:           2
        .value_kind:     hidden_remainder_x
      - .offset:         100
        .size:           2
        .value_kind:     hidden_remainder_y
      - .offset:         102
        .size:           2
        .value_kind:     hidden_remainder_z
      - .offset:         120
        .size:           8
        .value_kind:     hidden_global_offset_x
      - .offset:         128
        .size:           8
        .value_kind:     hidden_global_offset_y
      - .offset:         136
        .size:           8
        .value_kind:     hidden_global_offset_z
      - .offset:         144
        .size:           2
        .value_kind:     hidden_grid_dims
    .group_segment_fixed_size: 0
    .kernarg_segment_align: 8
    .kernarg_segment_size: 336
    .language:       OpenCL C
    .language_version:
      - 2
      - 0
    .max_flat_workgroup_size: 64
    .name:           _ZL33flash_attn_stream_k_fixup_generalILi64ELi16ELi1EEvPfPK15HIP_vector_typeIfLj2EEiiiiS1_IjLj3EES5_S5_S5_
    .private_segment_fixed_size: 0
    .sgpr_count:     40
    .sgpr_spill_count: 0
    .symbol:         _ZL33flash_attn_stream_k_fixup_generalILi64ELi16ELi1EEvPfPK15HIP_vector_typeIfLj2EEiiiiS1_IjLj3EES5_S5_S5_.kd
    .uniform_work_group_size: 1
    .uses_dynamic_stack: false
    .vgpr_count:     18
    .vgpr_spill_count: 0
    .wavefront_size: 64
  - .args:
      - .address_space:  global
        .offset:         0
        .size:           8
        .value_kind:     global_buffer
      - .address_space:  global
        .offset:         8
        .size:           8
        .value_kind:     global_buffer
      - .address_space:  global
        .offset:         16
        .size:           8
        .value_kind:     global_buffer
      - .address_space:  global
        .offset:         24
        .size:           8
        .value_kind:     global_buffer
      - .address_space:  global
        .offset:         32
        .size:           8
        .value_kind:     global_buffer
      - .address_space:  global
        .offset:         40
        .size:           8
        .value_kind:     global_buffer
      - .address_space:  global
        .offset:         48
        .size:           8
        .value_kind:     global_buffer
      - .address_space:  global
        .offset:         56
        .size:           8
        .value_kind:     global_buffer
      - .offset:         64
        .size:           4
        .value_kind:     by_value
      - .offset:         68
        .size:           4
        .value_kind:     by_value
      - .offset:         72
        .size:           4
        .value_kind:     by_value
      - .offset:         76
        .size:           4
        .value_kind:     by_value
      - .offset:         80
        .size:           4
        .value_kind:     by_value
      - .offset:         84
        .size:           4
        .value_kind:     by_value
      - .offset:         88
        .size:           4
        .value_kind:     by_value
      - .offset:         92
        .size:           12
        .value_kind:     by_value
      - .offset:         104
        .size:           4
        .value_kind:     by_value
      - .offset:         108
        .size:           4
        .value_kind:     by_value
      - .offset:         112
        .size:           4
        .value_kind:     by_value
      - .offset:         116
        .size:           4
        .value_kind:     by_value
      - .offset:         120
        .size:           4
        .value_kind:     by_value
      - .offset:         124
        .size:           4
        .value_kind:     by_value
      - .offset:         128
        .size:           4
        .value_kind:     by_value
      - .offset:         132
        .size:           4
        .value_kind:     by_value
      - .offset:         136
        .size:           4
        .value_kind:     by_value
      - .offset:         140
        .size:           4
        .value_kind:     by_value
      - .offset:         144
        .size:           4
        .value_kind:     by_value
      - .offset:         152
        .size:           8
        .value_kind:     by_value
      - .offset:         160
        .size:           4
        .value_kind:     by_value
      - .offset:         164
        .size:           4
        .value_kind:     by_value
      - .offset:         168
        .size:           8
        .value_kind:     by_value
      - .offset:         176
        .size:           4
        .value_kind:     by_value
      - .offset:         180
        .size:           4
        .value_kind:     by_value
      - .offset:         184
        .size:           4
        .value_kind:     by_value
      - .offset:         188
        .size:           4
        .value_kind:     by_value
      - .offset:         192
        .size:           4
        .value_kind:     by_value
      - .offset:         200
        .size:           8
        .value_kind:     by_value
      - .offset:         208
        .size:           4
        .value_kind:     hidden_block_count_x
      - .offset:         212
        .size:           4
        .value_kind:     hidden_block_count_y
      - .offset:         216
        .size:           4
        .value_kind:     hidden_block_count_z
      - .offset:         220
        .size:           2
        .value_kind:     hidden_group_size_x
      - .offset:         222
        .size:           2
        .value_kind:     hidden_group_size_y
      - .offset:         224
        .size:           2
        .value_kind:     hidden_group_size_z
      - .offset:         226
        .size:           2
        .value_kind:     hidden_remainder_x
      - .offset:         228
        .size:           2
        .value_kind:     hidden_remainder_y
      - .offset:         230
        .size:           2
        .value_kind:     hidden_remainder_z
      - .offset:         248
        .size:           8
        .value_kind:     hidden_global_offset_x
      - .offset:         256
        .size:           8
        .value_kind:     hidden_global_offset_y
      - .offset:         264
        .size:           8
        .value_kind:     hidden_global_offset_z
      - .offset:         272
        .size:           2
        .value_kind:     hidden_grid_dims
    .group_segment_fixed_size: 6144
    .kernarg_segment_align: 8
    .kernarg_segment_size: 464
    .language:       OpenCL C
    .language_version:
      - 2
      - 0
    .max_flat_workgroup_size: 128
    .name:           _ZL15flash_attn_tileILi64ELi64ELi8ELi1ELb0EEvPKcS1_S1_S1_S1_PKiPfP15HIP_vector_typeIfLj2EEffffjfiS5_IjLj3EEiiiiiiiiiiiliiliiiiil
    .private_segment_fixed_size: 32
    .sgpr_count:     58
    .sgpr_spill_count: 0
    .symbol:         _ZL15flash_attn_tileILi64ELi64ELi8ELi1ELb0EEvPKcS1_S1_S1_S1_PKiPfP15HIP_vector_typeIfLj2EEffffjfiS5_IjLj3EEiiiiiiiiiiiliiliiiiil.kd
    .uniform_work_group_size: 1
    .uses_dynamic_stack: false
    .vgpr_count:     60
    .vgpr_spill_count: 0
    .wavefront_size: 64
  - .args:
      - .address_space:  global
        .offset:         0
        .size:           8
        .value_kind:     global_buffer
      - .address_space:  global
        .offset:         8
        .size:           8
        .value_kind:     global_buffer
      - .offset:         16
        .size:           4
        .value_kind:     by_value
      - .offset:         20
        .size:           4
        .value_kind:     by_value
      - .offset:         24
        .size:           4
        .value_kind:     by_value
      - .offset:         28
        .size:           4
        .value_kind:     by_value
      - .offset:         32
        .size:           4
        .value_kind:     by_value
      - .offset:         36
        .size:           4
        .value_kind:     by_value
      - .offset:         40
        .size:           12
        .value_kind:     by_value
      - .offset:         52
        .size:           12
        .value_kind:     by_value
      - .offset:         64
        .size:           12
        .value_kind:     by_value
    .group_segment_fixed_size: 0
    .kernarg_segment_align: 8
    .kernarg_segment_size: 76
    .language:       OpenCL C
    .language_version:
      - 2
      - 0
    .max_flat_workgroup_size: 64
    .name:           _ZL33flash_attn_stream_k_fixup_uniformILi64ELi8ELi1EEvPfPK15HIP_vector_typeIfLj2EEiiiiiiS1_IjLj3EES5_S5_
    .private_segment_fixed_size: 0
    .sgpr_count:     24
    .sgpr_spill_count: 0
    .symbol:         _ZL33flash_attn_stream_k_fixup_uniformILi64ELi8ELi1EEvPfPK15HIP_vector_typeIfLj2EEiiiiiiS1_IjLj3EES5_S5_.kd
    .uniform_work_group_size: 1
    .uses_dynamic_stack: false
    .vgpr_count:     17
    .vgpr_spill_count: 0
    .wavefront_size: 64
  - .args:
      - .address_space:  global
        .offset:         0
        .size:           8
        .value_kind:     global_buffer
      - .address_space:  global
        .offset:         8
        .size:           8
        .value_kind:     global_buffer
      - .offset:         16
        .size:           4
        .value_kind:     by_value
      - .offset:         20
        .size:           4
        .value_kind:     by_value
      - .offset:         24
        .size:           4
        .value_kind:     by_value
      - .offset:         28
        .size:           4
        .value_kind:     by_value
      - .offset:         32
        .size:           12
        .value_kind:     by_value
      - .offset:         44
        .size:           12
        .value_kind:     by_value
      - .offset:         56
        .size:           12
        .value_kind:     by_value
      - .offset:         68
        .size:           12
        .value_kind:     by_value
      - .offset:         80
        .size:           4
        .value_kind:     hidden_block_count_x
      - .offset:         84
        .size:           4
        .value_kind:     hidden_block_count_y
      - .offset:         88
        .size:           4
        .value_kind:     hidden_block_count_z
      - .offset:         92
        .size:           2
        .value_kind:     hidden_group_size_x
      - .offset:         94
        .size:           2
        .value_kind:     hidden_group_size_y
      - .offset:         96
        .size:           2
        .value_kind:     hidden_group_size_z
      - .offset:         98
        .size:           2
        .value_kind:     hidden_remainder_x
      - .offset:         100
        .size:           2
        .value_kind:     hidden_remainder_y
      - .offset:         102
        .size:           2
        .value_kind:     hidden_remainder_z
      - .offset:         120
        .size:           8
        .value_kind:     hidden_global_offset_x
      - .offset:         128
        .size:           8
        .value_kind:     hidden_global_offset_y
      - .offset:         136
        .size:           8
        .value_kind:     hidden_global_offset_z
      - .offset:         144
        .size:           2
        .value_kind:     hidden_grid_dims
    .group_segment_fixed_size: 0
    .kernarg_segment_align: 8
    .kernarg_segment_size: 336
    .language:       OpenCL C
    .language_version:
      - 2
      - 0
    .max_flat_workgroup_size: 64
    .name:           _ZL33flash_attn_stream_k_fixup_generalILi64ELi8ELi1EEvPfPK15HIP_vector_typeIfLj2EEiiiiS1_IjLj3EES5_S5_S5_
    .private_segment_fixed_size: 0
    .sgpr_count:     40
    .sgpr_spill_count: 0
    .symbol:         _ZL33flash_attn_stream_k_fixup_generalILi64ELi8ELi1EEvPfPK15HIP_vector_typeIfLj2EEiiiiS1_IjLj3EES5_S5_S5_.kd
    .uniform_work_group_size: 1
    .uses_dynamic_stack: false
    .vgpr_count:     18
    .vgpr_spill_count: 0
    .wavefront_size: 64
  - .args:
      - .address_space:  global
        .offset:         0
        .size:           8
        .value_kind:     global_buffer
      - .address_space:  global
        .offset:         8
        .size:           8
        .value_kind:     global_buffer
      - .address_space:  global
        .offset:         16
        .size:           8
        .value_kind:     global_buffer
      - .address_space:  global
        .offset:         24
        .size:           8
        .value_kind:     global_buffer
      - .address_space:  global
        .offset:         32
        .size:           8
        .value_kind:     global_buffer
      - .address_space:  global
        .offset:         40
        .size:           8
        .value_kind:     global_buffer
      - .address_space:  global
        .offset:         48
        .size:           8
        .value_kind:     global_buffer
      - .address_space:  global
        .offset:         56
        .size:           8
        .value_kind:     global_buffer
      - .offset:         64
        .size:           4
        .value_kind:     by_value
      - .offset:         68
        .size:           4
        .value_kind:     by_value
      - .offset:         72
        .size:           4
        .value_kind:     by_value
      - .offset:         76
        .size:           4
        .value_kind:     by_value
      - .offset:         80
        .size:           4
        .value_kind:     by_value
      - .offset:         84
        .size:           4
        .value_kind:     by_value
      - .offset:         88
        .size:           4
        .value_kind:     by_value
      - .offset:         92
        .size:           12
        .value_kind:     by_value
      - .offset:         104
        .size:           4
        .value_kind:     by_value
      - .offset:         108
        .size:           4
        .value_kind:     by_value
      - .offset:         112
        .size:           4
        .value_kind:     by_value
      - .offset:         116
        .size:           4
        .value_kind:     by_value
      - .offset:         120
        .size:           4
        .value_kind:     by_value
      - .offset:         124
        .size:           4
        .value_kind:     by_value
      - .offset:         128
        .size:           4
        .value_kind:     by_value
      - .offset:         132
        .size:           4
        .value_kind:     by_value
      - .offset:         136
        .size:           4
        .value_kind:     by_value
      - .offset:         140
        .size:           4
        .value_kind:     by_value
      - .offset:         144
        .size:           4
        .value_kind:     by_value
      - .offset:         152
        .size:           8
        .value_kind:     by_value
      - .offset:         160
        .size:           4
        .value_kind:     by_value
      - .offset:         164
        .size:           4
        .value_kind:     by_value
      - .offset:         168
        .size:           8
        .value_kind:     by_value
      - .offset:         176
        .size:           4
        .value_kind:     by_value
      - .offset:         180
        .size:           4
        .value_kind:     by_value
      - .offset:         184
        .size:           4
        .value_kind:     by_value
      - .offset:         188
        .size:           4
        .value_kind:     by_value
      - .offset:         192
        .size:           4
        .value_kind:     by_value
      - .offset:         200
        .size:           8
        .value_kind:     by_value
      - .offset:         208
        .size:           4
        .value_kind:     hidden_block_count_x
      - .offset:         212
        .size:           4
        .value_kind:     hidden_block_count_y
      - .offset:         216
        .size:           4
        .value_kind:     hidden_block_count_z
      - .offset:         220
        .size:           2
        .value_kind:     hidden_group_size_x
      - .offset:         222
        .size:           2
        .value_kind:     hidden_group_size_y
      - .offset:         224
        .size:           2
        .value_kind:     hidden_group_size_z
      - .offset:         226
        .size:           2
        .value_kind:     hidden_remainder_x
      - .offset:         228
        .size:           2
        .value_kind:     hidden_remainder_y
      - .offset:         230
        .size:           2
        .value_kind:     hidden_remainder_z
      - .offset:         248
        .size:           8
        .value_kind:     hidden_global_offset_x
      - .offset:         256
        .size:           8
        .value_kind:     hidden_global_offset_y
      - .offset:         264
        .size:           8
        .value_kind:     hidden_global_offset_z
      - .offset:         272
        .size:           2
        .value_kind:     hidden_grid_dims
    .group_segment_fixed_size: 10240
    .kernarg_segment_align: 8
    .kernarg_segment_size: 464
    .language:       OpenCL C
    .language_version:
      - 2
      - 0
    .max_flat_workgroup_size: 128
    .name:           _ZL15flash_attn_tileILi64ELi64ELi4ELi1ELb0EEvPKcS1_S1_S1_S1_PKiPfP15HIP_vector_typeIfLj2EEffffjfiS5_IjLj3EEiiiiiiiiiiiliiliiiiil
    .private_segment_fixed_size: 32
    .sgpr_count:     58
    .sgpr_spill_count: 0
    .symbol:         _ZL15flash_attn_tileILi64ELi64ELi4ELi1ELb0EEvPKcS1_S1_S1_S1_PKiPfP15HIP_vector_typeIfLj2EEffffjfiS5_IjLj3EEiiiiiiiiiiiliiliiiiil.kd
    .uniform_work_group_size: 1
    .uses_dynamic_stack: false
    .vgpr_count:     68
    .vgpr_spill_count: 0
    .wavefront_size: 64
  - .args:
      - .address_space:  global
        .offset:         0
        .size:           8
        .value_kind:     global_buffer
      - .address_space:  global
        .offset:         8
        .size:           8
        .value_kind:     global_buffer
      - .offset:         16
        .size:           4
        .value_kind:     by_value
      - .offset:         20
        .size:           4
        .value_kind:     by_value
      - .offset:         24
        .size:           4
        .value_kind:     by_value
      - .offset:         28
        .size:           4
        .value_kind:     by_value
      - .offset:         32
        .size:           4
        .value_kind:     by_value
      - .offset:         36
        .size:           4
        .value_kind:     by_value
      - .offset:         40
        .size:           12
        .value_kind:     by_value
      - .offset:         52
        .size:           12
        .value_kind:     by_value
      - .offset:         64
        .size:           12
        .value_kind:     by_value
    .group_segment_fixed_size: 0
    .kernarg_segment_align: 8
    .kernarg_segment_size: 76
    .language:       OpenCL C
    .language_version:
      - 2
      - 0
    .max_flat_workgroup_size: 64
    .name:           _ZL33flash_attn_stream_k_fixup_uniformILi64ELi4ELi1EEvPfPK15HIP_vector_typeIfLj2EEiiiiiiS1_IjLj3EES5_S5_
    .private_segment_fixed_size: 0
    .sgpr_count:     24
    .sgpr_spill_count: 0
    .symbol:         _ZL33flash_attn_stream_k_fixup_uniformILi64ELi4ELi1EEvPfPK15HIP_vector_typeIfLj2EEiiiiiiS1_IjLj3EES5_S5_.kd
    .uniform_work_group_size: 1
    .uses_dynamic_stack: false
    .vgpr_count:     17
    .vgpr_spill_count: 0
    .wavefront_size: 64
  - .args:
      - .address_space:  global
        .offset:         0
        .size:           8
        .value_kind:     global_buffer
      - .address_space:  global
        .offset:         8
        .size:           8
        .value_kind:     global_buffer
      - .offset:         16
        .size:           4
        .value_kind:     by_value
      - .offset:         20
        .size:           4
        .value_kind:     by_value
      - .offset:         24
        .size:           4
        .value_kind:     by_value
      - .offset:         28
        .size:           4
        .value_kind:     by_value
      - .offset:         32
        .size:           12
        .value_kind:     by_value
      - .offset:         44
        .size:           12
        .value_kind:     by_value
      - .offset:         56
        .size:           12
        .value_kind:     by_value
      - .offset:         68
        .size:           12
        .value_kind:     by_value
      - .offset:         80
        .size:           4
        .value_kind:     hidden_block_count_x
      - .offset:         84
        .size:           4
        .value_kind:     hidden_block_count_y
      - .offset:         88
        .size:           4
        .value_kind:     hidden_block_count_z
      - .offset:         92
        .size:           2
        .value_kind:     hidden_group_size_x
      - .offset:         94
        .size:           2
        .value_kind:     hidden_group_size_y
      - .offset:         96
        .size:           2
        .value_kind:     hidden_group_size_z
      - .offset:         98
        .size:           2
        .value_kind:     hidden_remainder_x
      - .offset:         100
        .size:           2
        .value_kind:     hidden_remainder_y
      - .offset:         102
        .size:           2
        .value_kind:     hidden_remainder_z
      - .offset:         120
        .size:           8
        .value_kind:     hidden_global_offset_x
      - .offset:         128
        .size:           8
        .value_kind:     hidden_global_offset_y
      - .offset:         136
        .size:           8
        .value_kind:     hidden_global_offset_z
      - .offset:         144
        .size:           2
        .value_kind:     hidden_grid_dims
    .group_segment_fixed_size: 0
    .kernarg_segment_align: 8
    .kernarg_segment_size: 336
    .language:       OpenCL C
    .language_version:
      - 2
      - 0
    .max_flat_workgroup_size: 64
    .name:           _ZL33flash_attn_stream_k_fixup_generalILi64ELi4ELi1EEvPfPK15HIP_vector_typeIfLj2EEiiiiS1_IjLj3EES5_S5_S5_
    .private_segment_fixed_size: 0
    .sgpr_count:     40
    .sgpr_spill_count: 0
    .symbol:         _ZL33flash_attn_stream_k_fixup_generalILi64ELi4ELi1EEvPfPK15HIP_vector_typeIfLj2EEiiiiS1_IjLj3EES5_S5_S5_.kd
    .uniform_work_group_size: 1
    .uses_dynamic_stack: false
    .vgpr_count:     18
    .vgpr_spill_count: 0
    .wavefront_size: 64
  - .args:
      - .address_space:  global
        .offset:         0
        .size:           8
        .value_kind:     global_buffer
      - .address_space:  global
        .offset:         8
        .size:           8
        .value_kind:     global_buffer
      - .address_space:  global
        .offset:         16
        .size:           8
        .value_kind:     global_buffer
      - .address_space:  global
        .offset:         24
        .size:           8
        .value_kind:     global_buffer
      - .address_space:  global
        .offset:         32
        .size:           8
        .value_kind:     global_buffer
      - .address_space:  global
        .offset:         40
        .size:           8
        .value_kind:     global_buffer
      - .address_space:  global
        .offset:         48
        .size:           8
        .value_kind:     global_buffer
      - .address_space:  global
        .offset:         56
        .size:           8
        .value_kind:     global_buffer
      - .offset:         64
        .size:           4
        .value_kind:     by_value
      - .offset:         68
        .size:           4
        .value_kind:     by_value
      - .offset:         72
        .size:           4
        .value_kind:     by_value
      - .offset:         76
        .size:           4
        .value_kind:     by_value
      - .offset:         80
        .size:           4
        .value_kind:     by_value
      - .offset:         84
        .size:           4
        .value_kind:     by_value
      - .offset:         88
        .size:           4
        .value_kind:     by_value
      - .offset:         92
        .size:           12
        .value_kind:     by_value
      - .offset:         104
        .size:           4
        .value_kind:     by_value
      - .offset:         108
        .size:           4
        .value_kind:     by_value
      - .offset:         112
        .size:           4
        .value_kind:     by_value
      - .offset:         116
        .size:           4
        .value_kind:     by_value
      - .offset:         120
        .size:           4
        .value_kind:     by_value
      - .offset:         124
        .size:           4
        .value_kind:     by_value
      - .offset:         128
        .size:           4
        .value_kind:     by_value
      - .offset:         132
        .size:           4
        .value_kind:     by_value
      - .offset:         136
        .size:           4
        .value_kind:     by_value
      - .offset:         140
        .size:           4
        .value_kind:     by_value
      - .offset:         144
        .size:           4
        .value_kind:     by_value
      - .offset:         152
        .size:           8
        .value_kind:     by_value
      - .offset:         160
        .size:           4
        .value_kind:     by_value
      - .offset:         164
        .size:           4
        .value_kind:     by_value
      - .offset:         168
        .size:           8
        .value_kind:     by_value
      - .offset:         176
        .size:           4
        .value_kind:     by_value
      - .offset:         180
        .size:           4
        .value_kind:     by_value
      - .offset:         184
        .size:           4
        .value_kind:     by_value
      - .offset:         188
        .size:           4
        .value_kind:     by_value
      - .offset:         192
        .size:           4
        .value_kind:     by_value
      - .offset:         200
        .size:           8
        .value_kind:     by_value
      - .offset:         208
        .size:           4
        .value_kind:     hidden_block_count_x
      - .offset:         212
        .size:           4
        .value_kind:     hidden_block_count_y
      - .offset:         216
        .size:           4
        .value_kind:     hidden_block_count_z
      - .offset:         220
        .size:           2
        .value_kind:     hidden_group_size_x
      - .offset:         222
        .size:           2
        .value_kind:     hidden_group_size_y
      - .offset:         224
        .size:           2
        .value_kind:     hidden_group_size_z
      - .offset:         226
        .size:           2
        .value_kind:     hidden_remainder_x
      - .offset:         228
        .size:           2
        .value_kind:     hidden_remainder_y
      - .offset:         230
        .size:           2
        .value_kind:     hidden_remainder_z
      - .offset:         248
        .size:           8
        .value_kind:     hidden_global_offset_x
      - .offset:         256
        .size:           8
        .value_kind:     hidden_global_offset_y
      - .offset:         264
        .size:           8
        .value_kind:     hidden_global_offset_z
      - .offset:         272
        .size:           2
        .value_kind:     hidden_grid_dims
    .group_segment_fixed_size: 4992
    .kernarg_segment_align: 8
    .kernarg_segment_size: 464
    .language:       OpenCL C
    .language_version:
      - 2
      - 0
    .max_flat_workgroup_size: 64
    .name:           _ZL15flash_attn_tileILi64ELi64ELi2ELi1ELb0EEvPKcS1_S1_S1_S1_PKiPfP15HIP_vector_typeIfLj2EEffffjfiS5_IjLj3EEiiiiiiiiiiiliiliiiiil
    .private_segment_fixed_size: 32
    .sgpr_count:     58
    .sgpr_spill_count: 0
    .symbol:         _ZL15flash_attn_tileILi64ELi64ELi2ELi1ELb0EEvPKcS1_S1_S1_S1_PKiPfP15HIP_vector_typeIfLj2EEffffjfiS5_IjLj3EEiiiiiiiiiiiliiliiiiil.kd
    .uniform_work_group_size: 1
    .uses_dynamic_stack: false
    .vgpr_count:     72
    .vgpr_spill_count: 0
    .wavefront_size: 64
  - .args:
      - .address_space:  global
        .offset:         0
        .size:           8
        .value_kind:     global_buffer
      - .address_space:  global
        .offset:         8
        .size:           8
        .value_kind:     global_buffer
      - .offset:         16
        .size:           4
        .value_kind:     by_value
      - .offset:         20
        .size:           4
        .value_kind:     by_value
      - .offset:         24
        .size:           4
        .value_kind:     by_value
      - .offset:         28
        .size:           4
        .value_kind:     by_value
      - .offset:         32
        .size:           4
        .value_kind:     by_value
      - .offset:         36
        .size:           4
        .value_kind:     by_value
      - .offset:         40
        .size:           12
        .value_kind:     by_value
      - .offset:         52
        .size:           12
        .value_kind:     by_value
      - .offset:         64
        .size:           12
        .value_kind:     by_value
    .group_segment_fixed_size: 0
    .kernarg_segment_align: 8
    .kernarg_segment_size: 76
    .language:       OpenCL C
    .language_version:
      - 2
      - 0
    .max_flat_workgroup_size: 64
    .name:           _ZL33flash_attn_stream_k_fixup_uniformILi64ELi2ELi1EEvPfPK15HIP_vector_typeIfLj2EEiiiiiiS1_IjLj3EES5_S5_
    .private_segment_fixed_size: 0
    .sgpr_count:     24
    .sgpr_spill_count: 0
    .symbol:         _ZL33flash_attn_stream_k_fixup_uniformILi64ELi2ELi1EEvPfPK15HIP_vector_typeIfLj2EEiiiiiiS1_IjLj3EES5_S5_.kd
    .uniform_work_group_size: 1
    .uses_dynamic_stack: false
    .vgpr_count:     17
    .vgpr_spill_count: 0
    .wavefront_size: 64
  - .args:
      - .address_space:  global
        .offset:         0
        .size:           8
        .value_kind:     global_buffer
      - .address_space:  global
        .offset:         8
        .size:           8
        .value_kind:     global_buffer
      - .offset:         16
        .size:           4
        .value_kind:     by_value
      - .offset:         20
        .size:           4
        .value_kind:     by_value
      - .offset:         24
        .size:           4
        .value_kind:     by_value
      - .offset:         28
        .size:           4
        .value_kind:     by_value
      - .offset:         32
        .size:           12
        .value_kind:     by_value
      - .offset:         44
        .size:           12
        .value_kind:     by_value
      - .offset:         56
        .size:           12
        .value_kind:     by_value
      - .offset:         68
        .size:           12
        .value_kind:     by_value
      - .offset:         80
        .size:           4
        .value_kind:     hidden_block_count_x
      - .offset:         84
        .size:           4
        .value_kind:     hidden_block_count_y
      - .offset:         88
        .size:           4
        .value_kind:     hidden_block_count_z
      - .offset:         92
        .size:           2
        .value_kind:     hidden_group_size_x
      - .offset:         94
        .size:           2
        .value_kind:     hidden_group_size_y
      - .offset:         96
        .size:           2
        .value_kind:     hidden_group_size_z
      - .offset:         98
        .size:           2
        .value_kind:     hidden_remainder_x
      - .offset:         100
        .size:           2
        .value_kind:     hidden_remainder_y
      - .offset:         102
        .size:           2
        .value_kind:     hidden_remainder_z
      - .offset:         120
        .size:           8
        .value_kind:     hidden_global_offset_x
      - .offset:         128
        .size:           8
        .value_kind:     hidden_global_offset_y
      - .offset:         136
        .size:           8
        .value_kind:     hidden_global_offset_z
      - .offset:         144
        .size:           2
        .value_kind:     hidden_grid_dims
    .group_segment_fixed_size: 0
    .kernarg_segment_align: 8
    .kernarg_segment_size: 336
    .language:       OpenCL C
    .language_version:
      - 2
      - 0
    .max_flat_workgroup_size: 64
    .name:           _ZL33flash_attn_stream_k_fixup_generalILi64ELi2ELi1EEvPfPK15HIP_vector_typeIfLj2EEiiiiS1_IjLj3EES5_S5_S5_
    .private_segment_fixed_size: 0
    .sgpr_count:     40
    .sgpr_spill_count: 0
    .symbol:         _ZL33flash_attn_stream_k_fixup_generalILi64ELi2ELi1EEvPfPK15HIP_vector_typeIfLj2EEiiiiS1_IjLj3EES5_S5_S5_.kd
    .uniform_work_group_size: 1
    .uses_dynamic_stack: false
    .vgpr_count:     18
    .vgpr_spill_count: 0
    .wavefront_size: 64
  - .args:
      - .address_space:  global
        .offset:         0
        .size:           8
        .value_kind:     global_buffer
      - .address_space:  global
        .offset:         8
        .size:           8
        .value_kind:     global_buffer
      - .address_space:  global
        .offset:         16
        .size:           8
        .value_kind:     global_buffer
      - .address_space:  global
        .offset:         24
        .size:           8
        .value_kind:     global_buffer
      - .address_space:  global
        .offset:         32
        .size:           8
        .value_kind:     global_buffer
      - .address_space:  global
        .offset:         40
        .size:           8
        .value_kind:     global_buffer
      - .address_space:  global
        .offset:         48
        .size:           8
        .value_kind:     global_buffer
      - .address_space:  global
        .offset:         56
        .size:           8
        .value_kind:     global_buffer
      - .offset:         64
        .size:           4
        .value_kind:     by_value
      - .offset:         68
        .size:           4
        .value_kind:     by_value
      - .offset:         72
        .size:           4
        .value_kind:     by_value
      - .offset:         76
        .size:           4
        .value_kind:     by_value
      - .offset:         80
        .size:           4
        .value_kind:     by_value
      - .offset:         84
        .size:           4
        .value_kind:     by_value
      - .offset:         88
        .size:           4
        .value_kind:     by_value
      - .offset:         92
        .size:           12
        .value_kind:     by_value
      - .offset:         104
        .size:           4
        .value_kind:     by_value
      - .offset:         108
        .size:           4
        .value_kind:     by_value
      - .offset:         112
        .size:           4
        .value_kind:     by_value
      - .offset:         116
        .size:           4
        .value_kind:     by_value
      - .offset:         120
        .size:           4
        .value_kind:     by_value
      - .offset:         124
        .size:           4
        .value_kind:     by_value
      - .offset:         128
        .size:           4
        .value_kind:     by_value
      - .offset:         132
        .size:           4
        .value_kind:     by_value
      - .offset:         136
        .size:           4
        .value_kind:     by_value
      - .offset:         140
        .size:           4
        .value_kind:     by_value
      - .offset:         144
        .size:           4
        .value_kind:     by_value
      - .offset:         152
        .size:           8
        .value_kind:     by_value
      - .offset:         160
        .size:           4
        .value_kind:     by_value
      - .offset:         164
        .size:           4
        .value_kind:     by_value
      - .offset:         168
        .size:           8
        .value_kind:     by_value
      - .offset:         176
        .size:           4
        .value_kind:     by_value
      - .offset:         180
        .size:           4
        .value_kind:     by_value
      - .offset:         184
        .size:           4
        .value_kind:     by_value
      - .offset:         188
        .size:           4
        .value_kind:     by_value
      - .offset:         192
        .size:           4
        .value_kind:     by_value
      - .offset:         200
        .size:           8
        .value_kind:     by_value
      - .offset:         208
        .size:           4
        .value_kind:     hidden_block_count_x
      - .offset:         212
        .size:           4
        .value_kind:     hidden_block_count_y
      - .offset:         216
        .size:           4
        .value_kind:     hidden_block_count_z
      - .offset:         220
        .size:           2
        .value_kind:     hidden_group_size_x
      - .offset:         222
        .size:           2
        .value_kind:     hidden_group_size_y
      - .offset:         224
        .size:           2
        .value_kind:     hidden_group_size_z
      - .offset:         226
        .size:           2
        .value_kind:     hidden_remainder_x
      - .offset:         228
        .size:           2
        .value_kind:     hidden_remainder_y
      - .offset:         230
        .size:           2
        .value_kind:     hidden_remainder_z
      - .offset:         248
        .size:           8
        .value_kind:     hidden_global_offset_x
      - .offset:         256
        .size:           8
        .value_kind:     hidden_global_offset_y
      - .offset:         264
        .size:           8
        .value_kind:     hidden_global_offset_z
      - .offset:         272
        .size:           2
        .value_kind:     hidden_grid_dims
      - .offset:         288
        .size:           8
        .value_kind:     hidden_hostcall_buffer
    .group_segment_fixed_size: 0
    .kernarg_segment_align: 8
    .kernarg_segment_size: 464
    .language:       OpenCL C
    .language_version:
      - 2
      - 0
    .max_flat_workgroup_size: 256
    .name:           _ZL15flash_attn_tileILi64ELi64ELi8ELi8ELb1EEvPKcS1_S1_S1_S1_PKiPfP15HIP_vector_typeIfLj2EEffffjfiS5_IjLj3EEiiiiiiiiiiiliiliiiiil
    .private_segment_fixed_size: 16
    .sgpr_count:     38
    .sgpr_spill_count: 0
    .symbol:         _ZL15flash_attn_tileILi64ELi64ELi8ELi8ELb1EEvPKcS1_S1_S1_S1_PKiPfP15HIP_vector_typeIfLj2EEffffjfiS5_IjLj3EEiiiiiiiiiiiliiliiiiil.kd
    .uniform_work_group_size: 1
    .uses_dynamic_stack: false
    .vgpr_count:     41
    .vgpr_spill_count: 0
    .wavefront_size: 64
  - .args:
      - .address_space:  global
        .offset:         0
        .size:           8
        .value_kind:     global_buffer
      - .address_space:  global
        .offset:         8
        .size:           8
        .value_kind:     global_buffer
      - .address_space:  global
        .offset:         16
        .size:           8
        .value_kind:     global_buffer
      - .address_space:  global
        .offset:         24
        .size:           8
        .value_kind:     global_buffer
      - .address_space:  global
        .offset:         32
        .size:           8
        .value_kind:     global_buffer
      - .address_space:  global
        .offset:         40
        .size:           8
        .value_kind:     global_buffer
      - .address_space:  global
        .offset:         48
        .size:           8
        .value_kind:     global_buffer
      - .address_space:  global
        .offset:         56
        .size:           8
        .value_kind:     global_buffer
      - .offset:         64
        .size:           4
        .value_kind:     by_value
      - .offset:         68
        .size:           4
        .value_kind:     by_value
      - .offset:         72
        .size:           4
        .value_kind:     by_value
      - .offset:         76
        .size:           4
        .value_kind:     by_value
      - .offset:         80
        .size:           4
        .value_kind:     by_value
      - .offset:         84
        .size:           4
        .value_kind:     by_value
      - .offset:         88
        .size:           4
        .value_kind:     by_value
      - .offset:         92
        .size:           12
        .value_kind:     by_value
      - .offset:         104
        .size:           4
        .value_kind:     by_value
      - .offset:         108
        .size:           4
        .value_kind:     by_value
      - .offset:         112
        .size:           4
        .value_kind:     by_value
      - .offset:         116
        .size:           4
        .value_kind:     by_value
      - .offset:         120
        .size:           4
        .value_kind:     by_value
      - .offset:         124
        .size:           4
        .value_kind:     by_value
      - .offset:         128
        .size:           4
        .value_kind:     by_value
      - .offset:         132
        .size:           4
        .value_kind:     by_value
      - .offset:         136
        .size:           4
        .value_kind:     by_value
      - .offset:         140
        .size:           4
        .value_kind:     by_value
      - .offset:         144
        .size:           4
        .value_kind:     by_value
      - .offset:         152
        .size:           8
        .value_kind:     by_value
      - .offset:         160
        .size:           4
        .value_kind:     by_value
      - .offset:         164
        .size:           4
        .value_kind:     by_value
      - .offset:         168
        .size:           8
        .value_kind:     by_value
      - .offset:         176
        .size:           4
        .value_kind:     by_value
      - .offset:         180
        .size:           4
        .value_kind:     by_value
      - .offset:         184
        .size:           4
        .value_kind:     by_value
      - .offset:         188
        .size:           4
        .value_kind:     by_value
      - .offset:         192
        .size:           4
        .value_kind:     by_value
      - .offset:         200
        .size:           8
        .value_kind:     by_value
      - .offset:         208
        .size:           4
        .value_kind:     hidden_block_count_x
      - .offset:         212
        .size:           4
        .value_kind:     hidden_block_count_y
      - .offset:         216
        .size:           4
        .value_kind:     hidden_block_count_z
      - .offset:         220
        .size:           2
        .value_kind:     hidden_group_size_x
      - .offset:         222
        .size:           2
        .value_kind:     hidden_group_size_y
      - .offset:         224
        .size:           2
        .value_kind:     hidden_group_size_z
      - .offset:         226
        .size:           2
        .value_kind:     hidden_remainder_x
      - .offset:         228
        .size:           2
        .value_kind:     hidden_remainder_y
      - .offset:         230
        .size:           2
        .value_kind:     hidden_remainder_z
      - .offset:         248
        .size:           8
        .value_kind:     hidden_global_offset_x
      - .offset:         256
        .size:           8
        .value_kind:     hidden_global_offset_y
      - .offset:         264
        .size:           8
        .value_kind:     hidden_global_offset_z
      - .offset:         272
        .size:           2
        .value_kind:     hidden_grid_dims
      - .offset:         288
        .size:           8
        .value_kind:     hidden_hostcall_buffer
    .group_segment_fixed_size: 0
    .kernarg_segment_align: 8
    .kernarg_segment_size: 464
    .language:       OpenCL C
    .language_version:
      - 2
      - 0
    .max_flat_workgroup_size: 256
    .name:           _ZL15flash_attn_tileILi64ELi64ELi4ELi8ELb1EEvPKcS1_S1_S1_S1_PKiPfP15HIP_vector_typeIfLj2EEffffjfiS5_IjLj3EEiiiiiiiiiiiliiliiiiil
    .private_segment_fixed_size: 16
    .sgpr_count:     38
    .sgpr_spill_count: 0
    .symbol:         _ZL15flash_attn_tileILi64ELi64ELi4ELi8ELb1EEvPKcS1_S1_S1_S1_PKiPfP15HIP_vector_typeIfLj2EEffffjfiS5_IjLj3EEiiiiiiiiiiiliiliiiiil.kd
    .uniform_work_group_size: 1
    .uses_dynamic_stack: false
    .vgpr_count:     41
    .vgpr_spill_count: 0
    .wavefront_size: 64
  - .args:
      - .address_space:  global
        .offset:         0
        .size:           8
        .value_kind:     global_buffer
      - .address_space:  global
        .offset:         8
        .size:           8
        .value_kind:     global_buffer
      - .address_space:  global
        .offset:         16
        .size:           8
        .value_kind:     global_buffer
      - .address_space:  global
        .offset:         24
        .size:           8
        .value_kind:     global_buffer
      - .address_space:  global
        .offset:         32
        .size:           8
        .value_kind:     global_buffer
      - .address_space:  global
        .offset:         40
        .size:           8
        .value_kind:     global_buffer
      - .address_space:  global
        .offset:         48
        .size:           8
        .value_kind:     global_buffer
      - .address_space:  global
        .offset:         56
        .size:           8
        .value_kind:     global_buffer
      - .offset:         64
        .size:           4
        .value_kind:     by_value
      - .offset:         68
        .size:           4
        .value_kind:     by_value
      - .offset:         72
        .size:           4
        .value_kind:     by_value
      - .offset:         76
        .size:           4
        .value_kind:     by_value
      - .offset:         80
        .size:           4
        .value_kind:     by_value
      - .offset:         84
        .size:           4
        .value_kind:     by_value
      - .offset:         88
        .size:           4
        .value_kind:     by_value
      - .offset:         92
        .size:           12
        .value_kind:     by_value
      - .offset:         104
        .size:           4
        .value_kind:     by_value
      - .offset:         108
        .size:           4
        .value_kind:     by_value
      - .offset:         112
        .size:           4
        .value_kind:     by_value
      - .offset:         116
        .size:           4
        .value_kind:     by_value
      - .offset:         120
        .size:           4
        .value_kind:     by_value
      - .offset:         124
        .size:           4
        .value_kind:     by_value
      - .offset:         128
        .size:           4
        .value_kind:     by_value
      - .offset:         132
        .size:           4
        .value_kind:     by_value
      - .offset:         136
        .size:           4
        .value_kind:     by_value
      - .offset:         140
        .size:           4
        .value_kind:     by_value
      - .offset:         144
        .size:           4
        .value_kind:     by_value
      - .offset:         152
        .size:           8
        .value_kind:     by_value
      - .offset:         160
        .size:           4
        .value_kind:     by_value
      - .offset:         164
        .size:           4
        .value_kind:     by_value
      - .offset:         168
        .size:           8
        .value_kind:     by_value
      - .offset:         176
        .size:           4
        .value_kind:     by_value
      - .offset:         180
        .size:           4
        .value_kind:     by_value
      - .offset:         184
        .size:           4
        .value_kind:     by_value
      - .offset:         188
        .size:           4
        .value_kind:     by_value
      - .offset:         192
        .size:           4
        .value_kind:     by_value
      - .offset:         200
        .size:           8
        .value_kind:     by_value
      - .offset:         208
        .size:           4
        .value_kind:     hidden_block_count_x
      - .offset:         212
        .size:           4
        .value_kind:     hidden_block_count_y
      - .offset:         216
        .size:           4
        .value_kind:     hidden_block_count_z
      - .offset:         220
        .size:           2
        .value_kind:     hidden_group_size_x
      - .offset:         222
        .size:           2
        .value_kind:     hidden_group_size_y
      - .offset:         224
        .size:           2
        .value_kind:     hidden_group_size_z
      - .offset:         226
        .size:           2
        .value_kind:     hidden_remainder_x
      - .offset:         228
        .size:           2
        .value_kind:     hidden_remainder_y
      - .offset:         230
        .size:           2
        .value_kind:     hidden_remainder_z
      - .offset:         248
        .size:           8
        .value_kind:     hidden_global_offset_x
      - .offset:         256
        .size:           8
        .value_kind:     hidden_global_offset_y
      - .offset:         264
        .size:           8
        .value_kind:     hidden_global_offset_z
      - .offset:         272
        .size:           2
        .value_kind:     hidden_grid_dims
      - .offset:         288
        .size:           8
        .value_kind:     hidden_hostcall_buffer
    .group_segment_fixed_size: 0
    .kernarg_segment_align: 8
    .kernarg_segment_size: 464
    .language:       OpenCL C
    .language_version:
      - 2
      - 0
    .max_flat_workgroup_size: 256
    .name:           _ZL15flash_attn_tileILi64ELi64ELi2ELi8ELb1EEvPKcS1_S1_S1_S1_PKiPfP15HIP_vector_typeIfLj2EEffffjfiS5_IjLj3EEiiiiiiiiiiiliiliiiiil
    .private_segment_fixed_size: 16
    .sgpr_count:     38
    .sgpr_spill_count: 0
    .symbol:         _ZL15flash_attn_tileILi64ELi64ELi2ELi8ELb1EEvPKcS1_S1_S1_S1_PKiPfP15HIP_vector_typeIfLj2EEffffjfiS5_IjLj3EEiiiiiiiiiiiliiliiiiil.kd
    .uniform_work_group_size: 1
    .uses_dynamic_stack: false
    .vgpr_count:     41
    .vgpr_spill_count: 0
    .wavefront_size: 64
  - .args:
      - .address_space:  global
        .offset:         0
        .size:           8
        .value_kind:     global_buffer
      - .address_space:  global
        .offset:         8
        .size:           8
        .value_kind:     global_buffer
      - .address_space:  global
        .offset:         16
        .size:           8
        .value_kind:     global_buffer
      - .address_space:  global
        .offset:         24
        .size:           8
        .value_kind:     global_buffer
      - .address_space:  global
        .offset:         32
        .size:           8
        .value_kind:     global_buffer
      - .address_space:  global
        .offset:         40
        .size:           8
        .value_kind:     global_buffer
      - .address_space:  global
        .offset:         48
        .size:           8
        .value_kind:     global_buffer
      - .address_space:  global
        .offset:         56
        .size:           8
        .value_kind:     global_buffer
      - .offset:         64
        .size:           4
        .value_kind:     by_value
      - .offset:         68
        .size:           4
        .value_kind:     by_value
      - .offset:         72
        .size:           4
        .value_kind:     by_value
      - .offset:         76
        .size:           4
        .value_kind:     by_value
      - .offset:         80
        .size:           4
        .value_kind:     by_value
      - .offset:         84
        .size:           4
        .value_kind:     by_value
      - .offset:         88
        .size:           4
        .value_kind:     by_value
      - .offset:         92
        .size:           12
        .value_kind:     by_value
      - .offset:         104
        .size:           4
        .value_kind:     by_value
      - .offset:         108
        .size:           4
        .value_kind:     by_value
      - .offset:         112
        .size:           4
        .value_kind:     by_value
      - .offset:         116
        .size:           4
        .value_kind:     by_value
      - .offset:         120
        .size:           4
        .value_kind:     by_value
      - .offset:         124
        .size:           4
        .value_kind:     by_value
      - .offset:         128
        .size:           4
        .value_kind:     by_value
      - .offset:         132
        .size:           4
        .value_kind:     by_value
      - .offset:         136
        .size:           4
        .value_kind:     by_value
      - .offset:         140
        .size:           4
        .value_kind:     by_value
      - .offset:         144
        .size:           4
        .value_kind:     by_value
      - .offset:         152
        .size:           8
        .value_kind:     by_value
      - .offset:         160
        .size:           4
        .value_kind:     by_value
      - .offset:         164
        .size:           4
        .value_kind:     by_value
      - .offset:         168
        .size:           8
        .value_kind:     by_value
      - .offset:         176
        .size:           4
        .value_kind:     by_value
      - .offset:         180
        .size:           4
        .value_kind:     by_value
      - .offset:         184
        .size:           4
        .value_kind:     by_value
      - .offset:         188
        .size:           4
        .value_kind:     by_value
      - .offset:         192
        .size:           4
        .value_kind:     by_value
      - .offset:         200
        .size:           8
        .value_kind:     by_value
      - .offset:         208
        .size:           4
        .value_kind:     hidden_block_count_x
      - .offset:         212
        .size:           4
        .value_kind:     hidden_block_count_y
      - .offset:         216
        .size:           4
        .value_kind:     hidden_block_count_z
      - .offset:         220
        .size:           2
        .value_kind:     hidden_group_size_x
      - .offset:         222
        .size:           2
        .value_kind:     hidden_group_size_y
      - .offset:         224
        .size:           2
        .value_kind:     hidden_group_size_z
      - .offset:         226
        .size:           2
        .value_kind:     hidden_remainder_x
      - .offset:         228
        .size:           2
        .value_kind:     hidden_remainder_y
      - .offset:         230
        .size:           2
        .value_kind:     hidden_remainder_z
      - .offset:         248
        .size:           8
        .value_kind:     hidden_global_offset_x
      - .offset:         256
        .size:           8
        .value_kind:     hidden_global_offset_y
      - .offset:         264
        .size:           8
        .value_kind:     hidden_global_offset_z
      - .offset:         272
        .size:           2
        .value_kind:     hidden_grid_dims
      - .offset:         288
        .size:           8
        .value_kind:     hidden_hostcall_buffer
    .group_segment_fixed_size: 0
    .kernarg_segment_align: 8
    .kernarg_segment_size: 464
    .language:       OpenCL C
    .language_version:
      - 2
      - 0
    .max_flat_workgroup_size: 128
    .name:           _ZL15flash_attn_tileILi64ELi64ELi1ELi8ELb1EEvPKcS1_S1_S1_S1_PKiPfP15HIP_vector_typeIfLj2EEffffjfiS5_IjLj3EEiiiiiiiiiiiliiliiiiil
    .private_segment_fixed_size: 16
    .sgpr_count:     38
    .sgpr_spill_count: 0
    .symbol:         _ZL15flash_attn_tileILi64ELi64ELi1ELi8ELb1EEvPKcS1_S1_S1_S1_PKiPfP15HIP_vector_typeIfLj2EEffffjfiS5_IjLj3EEiiiiiiiiiiiliiliiiiil.kd
    .uniform_work_group_size: 1
    .uses_dynamic_stack: false
    .vgpr_count:     41
    .vgpr_spill_count: 0
    .wavefront_size: 64
  - .args:
      - .address_space:  global
        .offset:         0
        .size:           8
        .value_kind:     global_buffer
      - .address_space:  global
        .offset:         8
        .size:           8
        .value_kind:     global_buffer
      - .address_space:  global
        .offset:         16
        .size:           8
        .value_kind:     global_buffer
      - .address_space:  global
        .offset:         24
        .size:           8
        .value_kind:     global_buffer
      - .address_space:  global
        .offset:         32
        .size:           8
        .value_kind:     global_buffer
      - .address_space:  global
        .offset:         40
        .size:           8
        .value_kind:     global_buffer
      - .address_space:  global
        .offset:         48
        .size:           8
        .value_kind:     global_buffer
      - .address_space:  global
        .offset:         56
        .size:           8
        .value_kind:     global_buffer
      - .offset:         64
        .size:           4
        .value_kind:     by_value
      - .offset:         68
        .size:           4
        .value_kind:     by_value
      - .offset:         72
        .size:           4
        .value_kind:     by_value
      - .offset:         76
        .size:           4
        .value_kind:     by_value
      - .offset:         80
        .size:           4
        .value_kind:     by_value
      - .offset:         84
        .size:           4
        .value_kind:     by_value
      - .offset:         88
        .size:           4
        .value_kind:     by_value
      - .offset:         92
        .size:           12
        .value_kind:     by_value
      - .offset:         104
        .size:           4
        .value_kind:     by_value
      - .offset:         108
        .size:           4
        .value_kind:     by_value
      - .offset:         112
        .size:           4
        .value_kind:     by_value
      - .offset:         116
        .size:           4
        .value_kind:     by_value
      - .offset:         120
        .size:           4
        .value_kind:     by_value
      - .offset:         124
        .size:           4
        .value_kind:     by_value
      - .offset:         128
        .size:           4
        .value_kind:     by_value
      - .offset:         132
        .size:           4
        .value_kind:     by_value
      - .offset:         136
        .size:           4
        .value_kind:     by_value
      - .offset:         140
        .size:           4
        .value_kind:     by_value
      - .offset:         144
        .size:           4
        .value_kind:     by_value
      - .offset:         152
        .size:           8
        .value_kind:     by_value
      - .offset:         160
        .size:           4
        .value_kind:     by_value
      - .offset:         164
        .size:           4
        .value_kind:     by_value
      - .offset:         168
        .size:           8
        .value_kind:     by_value
      - .offset:         176
        .size:           4
        .value_kind:     by_value
      - .offset:         180
        .size:           4
        .value_kind:     by_value
      - .offset:         184
        .size:           4
        .value_kind:     by_value
      - .offset:         188
        .size:           4
        .value_kind:     by_value
      - .offset:         192
        .size:           4
        .value_kind:     by_value
      - .offset:         200
        .size:           8
        .value_kind:     by_value
      - .offset:         208
        .size:           4
        .value_kind:     hidden_block_count_x
      - .offset:         212
        .size:           4
        .value_kind:     hidden_block_count_y
      - .offset:         216
        .size:           4
        .value_kind:     hidden_block_count_z
      - .offset:         220
        .size:           2
        .value_kind:     hidden_group_size_x
      - .offset:         222
        .size:           2
        .value_kind:     hidden_group_size_y
      - .offset:         224
        .size:           2
        .value_kind:     hidden_group_size_z
      - .offset:         226
        .size:           2
        .value_kind:     hidden_remainder_x
      - .offset:         228
        .size:           2
        .value_kind:     hidden_remainder_y
      - .offset:         230
        .size:           2
        .value_kind:     hidden_remainder_z
      - .offset:         248
        .size:           8
        .value_kind:     hidden_global_offset_x
      - .offset:         256
        .size:           8
        .value_kind:     hidden_global_offset_y
      - .offset:         264
        .size:           8
        .value_kind:     hidden_global_offset_z
      - .offset:         272
        .size:           2
        .value_kind:     hidden_grid_dims
      - .offset:         288
        .size:           8
        .value_kind:     hidden_hostcall_buffer
    .group_segment_fixed_size: 0
    .kernarg_segment_align: 8
    .kernarg_segment_size: 464
    .language:       OpenCL C
    .language_version:
      - 2
      - 0
    .max_flat_workgroup_size: 256
    .name:           _ZL15flash_attn_tileILi64ELi64ELi16ELi4ELb1EEvPKcS1_S1_S1_S1_PKiPfP15HIP_vector_typeIfLj2EEffffjfiS5_IjLj3EEiiiiiiiiiiiliiliiiiil
    .private_segment_fixed_size: 16
    .sgpr_count:     38
    .sgpr_spill_count: 0
    .symbol:         _ZL15flash_attn_tileILi64ELi64ELi16ELi4ELb1EEvPKcS1_S1_S1_S1_PKiPfP15HIP_vector_typeIfLj2EEffffjfiS5_IjLj3EEiiiiiiiiiiiliiliiiiil.kd
    .uniform_work_group_size: 1
    .uses_dynamic_stack: false
    .vgpr_count:     41
    .vgpr_spill_count: 0
    .wavefront_size: 64
  - .args:
      - .address_space:  global
        .offset:         0
        .size:           8
        .value_kind:     global_buffer
      - .address_space:  global
        .offset:         8
        .size:           8
        .value_kind:     global_buffer
      - .address_space:  global
        .offset:         16
        .size:           8
        .value_kind:     global_buffer
      - .address_space:  global
        .offset:         24
        .size:           8
        .value_kind:     global_buffer
      - .address_space:  global
        .offset:         32
        .size:           8
        .value_kind:     global_buffer
      - .address_space:  global
        .offset:         40
        .size:           8
        .value_kind:     global_buffer
      - .address_space:  global
        .offset:         48
        .size:           8
        .value_kind:     global_buffer
      - .address_space:  global
        .offset:         56
        .size:           8
        .value_kind:     global_buffer
      - .offset:         64
        .size:           4
        .value_kind:     by_value
      - .offset:         68
        .size:           4
        .value_kind:     by_value
      - .offset:         72
        .size:           4
        .value_kind:     by_value
      - .offset:         76
        .size:           4
        .value_kind:     by_value
      - .offset:         80
        .size:           4
        .value_kind:     by_value
      - .offset:         84
        .size:           4
        .value_kind:     by_value
      - .offset:         88
        .size:           4
        .value_kind:     by_value
      - .offset:         92
        .size:           12
        .value_kind:     by_value
      - .offset:         104
        .size:           4
        .value_kind:     by_value
      - .offset:         108
        .size:           4
        .value_kind:     by_value
      - .offset:         112
        .size:           4
        .value_kind:     by_value
      - .offset:         116
        .size:           4
        .value_kind:     by_value
      - .offset:         120
        .size:           4
        .value_kind:     by_value
      - .offset:         124
        .size:           4
        .value_kind:     by_value
      - .offset:         128
        .size:           4
        .value_kind:     by_value
      - .offset:         132
        .size:           4
        .value_kind:     by_value
      - .offset:         136
        .size:           4
        .value_kind:     by_value
      - .offset:         140
        .size:           4
        .value_kind:     by_value
      - .offset:         144
        .size:           4
        .value_kind:     by_value
      - .offset:         152
        .size:           8
        .value_kind:     by_value
      - .offset:         160
        .size:           4
        .value_kind:     by_value
      - .offset:         164
        .size:           4
        .value_kind:     by_value
      - .offset:         168
        .size:           8
        .value_kind:     by_value
      - .offset:         176
        .size:           4
        .value_kind:     by_value
      - .offset:         180
        .size:           4
        .value_kind:     by_value
      - .offset:         184
        .size:           4
        .value_kind:     by_value
      - .offset:         188
        .size:           4
        .value_kind:     by_value
      - .offset:         192
        .size:           4
        .value_kind:     by_value
      - .offset:         200
        .size:           8
        .value_kind:     by_value
      - .offset:         208
        .size:           4
        .value_kind:     hidden_block_count_x
      - .offset:         212
        .size:           4
        .value_kind:     hidden_block_count_y
      - .offset:         216
        .size:           4
        .value_kind:     hidden_block_count_z
      - .offset:         220
        .size:           2
        .value_kind:     hidden_group_size_x
      - .offset:         222
        .size:           2
        .value_kind:     hidden_group_size_y
      - .offset:         224
        .size:           2
        .value_kind:     hidden_group_size_z
      - .offset:         226
        .size:           2
        .value_kind:     hidden_remainder_x
      - .offset:         228
        .size:           2
        .value_kind:     hidden_remainder_y
      - .offset:         230
        .size:           2
        .value_kind:     hidden_remainder_z
      - .offset:         248
        .size:           8
        .value_kind:     hidden_global_offset_x
      - .offset:         256
        .size:           8
        .value_kind:     hidden_global_offset_y
      - .offset:         264
        .size:           8
        .value_kind:     hidden_global_offset_z
      - .offset:         272
        .size:           2
        .value_kind:     hidden_grid_dims
      - .offset:         288
        .size:           8
        .value_kind:     hidden_hostcall_buffer
    .group_segment_fixed_size: 0
    .kernarg_segment_align: 8
    .kernarg_segment_size: 464
    .language:       OpenCL C
    .language_version:
      - 2
      - 0
    .max_flat_workgroup_size: 256
    .name:           _ZL15flash_attn_tileILi64ELi64ELi8ELi4ELb1EEvPKcS1_S1_S1_S1_PKiPfP15HIP_vector_typeIfLj2EEffffjfiS5_IjLj3EEiiiiiiiiiiiliiliiiiil
    .private_segment_fixed_size: 16
    .sgpr_count:     38
    .sgpr_spill_count: 0
    .symbol:         _ZL15flash_attn_tileILi64ELi64ELi8ELi4ELb1EEvPKcS1_S1_S1_S1_PKiPfP15HIP_vector_typeIfLj2EEffffjfiS5_IjLj3EEiiiiiiiiiiiliiliiiiil.kd
    .uniform_work_group_size: 1
    .uses_dynamic_stack: false
    .vgpr_count:     41
    .vgpr_spill_count: 0
    .wavefront_size: 64
  - .args:
      - .address_space:  global
        .offset:         0
        .size:           8
        .value_kind:     global_buffer
      - .address_space:  global
        .offset:         8
        .size:           8
        .value_kind:     global_buffer
      - .address_space:  global
        .offset:         16
        .size:           8
        .value_kind:     global_buffer
      - .address_space:  global
        .offset:         24
        .size:           8
        .value_kind:     global_buffer
      - .address_space:  global
        .offset:         32
        .size:           8
        .value_kind:     global_buffer
      - .address_space:  global
        .offset:         40
        .size:           8
        .value_kind:     global_buffer
      - .address_space:  global
        .offset:         48
        .size:           8
        .value_kind:     global_buffer
      - .address_space:  global
        .offset:         56
        .size:           8
        .value_kind:     global_buffer
      - .offset:         64
        .size:           4
        .value_kind:     by_value
      - .offset:         68
        .size:           4
        .value_kind:     by_value
      - .offset:         72
        .size:           4
        .value_kind:     by_value
      - .offset:         76
        .size:           4
        .value_kind:     by_value
      - .offset:         80
        .size:           4
        .value_kind:     by_value
      - .offset:         84
        .size:           4
        .value_kind:     by_value
      - .offset:         88
        .size:           4
        .value_kind:     by_value
      - .offset:         92
        .size:           12
        .value_kind:     by_value
      - .offset:         104
        .size:           4
        .value_kind:     by_value
      - .offset:         108
        .size:           4
        .value_kind:     by_value
      - .offset:         112
        .size:           4
        .value_kind:     by_value
      - .offset:         116
        .size:           4
        .value_kind:     by_value
      - .offset:         120
        .size:           4
        .value_kind:     by_value
      - .offset:         124
        .size:           4
        .value_kind:     by_value
      - .offset:         128
        .size:           4
        .value_kind:     by_value
      - .offset:         132
        .size:           4
        .value_kind:     by_value
      - .offset:         136
        .size:           4
        .value_kind:     by_value
      - .offset:         140
        .size:           4
        .value_kind:     by_value
      - .offset:         144
        .size:           4
        .value_kind:     by_value
      - .offset:         152
        .size:           8
        .value_kind:     by_value
      - .offset:         160
        .size:           4
        .value_kind:     by_value
      - .offset:         164
        .size:           4
        .value_kind:     by_value
      - .offset:         168
        .size:           8
        .value_kind:     by_value
      - .offset:         176
        .size:           4
        .value_kind:     by_value
      - .offset:         180
        .size:           4
        .value_kind:     by_value
      - .offset:         184
        .size:           4
        .value_kind:     by_value
      - .offset:         188
        .size:           4
        .value_kind:     by_value
      - .offset:         192
        .size:           4
        .value_kind:     by_value
      - .offset:         200
        .size:           8
        .value_kind:     by_value
      - .offset:         208
        .size:           4
        .value_kind:     hidden_block_count_x
      - .offset:         212
        .size:           4
        .value_kind:     hidden_block_count_y
      - .offset:         216
        .size:           4
        .value_kind:     hidden_block_count_z
      - .offset:         220
        .size:           2
        .value_kind:     hidden_group_size_x
      - .offset:         222
        .size:           2
        .value_kind:     hidden_group_size_y
      - .offset:         224
        .size:           2
        .value_kind:     hidden_group_size_z
      - .offset:         226
        .size:           2
        .value_kind:     hidden_remainder_x
      - .offset:         228
        .size:           2
        .value_kind:     hidden_remainder_y
      - .offset:         230
        .size:           2
        .value_kind:     hidden_remainder_z
      - .offset:         248
        .size:           8
        .value_kind:     hidden_global_offset_x
      - .offset:         256
        .size:           8
        .value_kind:     hidden_global_offset_y
      - .offset:         264
        .size:           8
        .value_kind:     hidden_global_offset_z
      - .offset:         272
        .size:           2
        .value_kind:     hidden_grid_dims
      - .offset:         288
        .size:           8
        .value_kind:     hidden_hostcall_buffer
    .group_segment_fixed_size: 0
    .kernarg_segment_align: 8
    .kernarg_segment_size: 464
    .language:       OpenCL C
    .language_version:
      - 2
      - 0
    .max_flat_workgroup_size: 256
    .name:           _ZL15flash_attn_tileILi64ELi64ELi4ELi4ELb1EEvPKcS1_S1_S1_S1_PKiPfP15HIP_vector_typeIfLj2EEffffjfiS5_IjLj3EEiiiiiiiiiiiliiliiiiil
    .private_segment_fixed_size: 16
    .sgpr_count:     38
    .sgpr_spill_count: 0
    .symbol:         _ZL15flash_attn_tileILi64ELi64ELi4ELi4ELb1EEvPKcS1_S1_S1_S1_PKiPfP15HIP_vector_typeIfLj2EEffffjfiS5_IjLj3EEiiiiiiiiiiiliiliiiiil.kd
    .uniform_work_group_size: 1
    .uses_dynamic_stack: false
    .vgpr_count:     41
    .vgpr_spill_count: 0
    .wavefront_size: 64
  - .args:
      - .address_space:  global
        .offset:         0
        .size:           8
        .value_kind:     global_buffer
      - .address_space:  global
        .offset:         8
        .size:           8
        .value_kind:     global_buffer
      - .address_space:  global
        .offset:         16
        .size:           8
        .value_kind:     global_buffer
      - .address_space:  global
        .offset:         24
        .size:           8
        .value_kind:     global_buffer
      - .address_space:  global
        .offset:         32
        .size:           8
        .value_kind:     global_buffer
      - .address_space:  global
        .offset:         40
        .size:           8
        .value_kind:     global_buffer
      - .address_space:  global
        .offset:         48
        .size:           8
        .value_kind:     global_buffer
      - .address_space:  global
        .offset:         56
        .size:           8
        .value_kind:     global_buffer
      - .offset:         64
        .size:           4
        .value_kind:     by_value
      - .offset:         68
        .size:           4
        .value_kind:     by_value
      - .offset:         72
        .size:           4
        .value_kind:     by_value
      - .offset:         76
        .size:           4
        .value_kind:     by_value
      - .offset:         80
        .size:           4
        .value_kind:     by_value
      - .offset:         84
        .size:           4
        .value_kind:     by_value
      - .offset:         88
        .size:           4
        .value_kind:     by_value
      - .offset:         92
        .size:           12
        .value_kind:     by_value
      - .offset:         104
        .size:           4
        .value_kind:     by_value
      - .offset:         108
        .size:           4
        .value_kind:     by_value
      - .offset:         112
        .size:           4
        .value_kind:     by_value
      - .offset:         116
        .size:           4
        .value_kind:     by_value
      - .offset:         120
        .size:           4
        .value_kind:     by_value
      - .offset:         124
        .size:           4
        .value_kind:     by_value
      - .offset:         128
        .size:           4
        .value_kind:     by_value
      - .offset:         132
        .size:           4
        .value_kind:     by_value
      - .offset:         136
        .size:           4
        .value_kind:     by_value
      - .offset:         140
        .size:           4
        .value_kind:     by_value
      - .offset:         144
        .size:           4
        .value_kind:     by_value
      - .offset:         152
        .size:           8
        .value_kind:     by_value
      - .offset:         160
        .size:           4
        .value_kind:     by_value
      - .offset:         164
        .size:           4
        .value_kind:     by_value
      - .offset:         168
        .size:           8
        .value_kind:     by_value
      - .offset:         176
        .size:           4
        .value_kind:     by_value
      - .offset:         180
        .size:           4
        .value_kind:     by_value
      - .offset:         184
        .size:           4
        .value_kind:     by_value
      - .offset:         188
        .size:           4
        .value_kind:     by_value
      - .offset:         192
        .size:           4
        .value_kind:     by_value
      - .offset:         200
        .size:           8
        .value_kind:     by_value
      - .offset:         208
        .size:           4
        .value_kind:     hidden_block_count_x
      - .offset:         212
        .size:           4
        .value_kind:     hidden_block_count_y
      - .offset:         216
        .size:           4
        .value_kind:     hidden_block_count_z
      - .offset:         220
        .size:           2
        .value_kind:     hidden_group_size_x
      - .offset:         222
        .size:           2
        .value_kind:     hidden_group_size_y
      - .offset:         224
        .size:           2
        .value_kind:     hidden_group_size_z
      - .offset:         226
        .size:           2
        .value_kind:     hidden_remainder_x
      - .offset:         228
        .size:           2
        .value_kind:     hidden_remainder_y
      - .offset:         230
        .size:           2
        .value_kind:     hidden_remainder_z
      - .offset:         248
        .size:           8
        .value_kind:     hidden_global_offset_x
      - .offset:         256
        .size:           8
        .value_kind:     hidden_global_offset_y
      - .offset:         264
        .size:           8
        .value_kind:     hidden_global_offset_z
      - .offset:         272
        .size:           2
        .value_kind:     hidden_grid_dims
      - .offset:         288
        .size:           8
        .value_kind:     hidden_hostcall_buffer
    .group_segment_fixed_size: 0
    .kernarg_segment_align: 8
    .kernarg_segment_size: 464
    .language:       OpenCL C
    .language_version:
      - 2
      - 0
    .max_flat_workgroup_size: 128
    .name:           _ZL15flash_attn_tileILi64ELi64ELi2ELi4ELb1EEvPKcS1_S1_S1_S1_PKiPfP15HIP_vector_typeIfLj2EEffffjfiS5_IjLj3EEiiiiiiiiiiiliiliiiiil
    .private_segment_fixed_size: 16
    .sgpr_count:     38
    .sgpr_spill_count: 0
    .symbol:         _ZL15flash_attn_tileILi64ELi64ELi2ELi4ELb1EEvPKcS1_S1_S1_S1_PKiPfP15HIP_vector_typeIfLj2EEffffjfiS5_IjLj3EEiiiiiiiiiiiliiliiiiil.kd
    .uniform_work_group_size: 1
    .uses_dynamic_stack: false
    .vgpr_count:     41
    .vgpr_spill_count: 0
    .wavefront_size: 64
  - .args:
      - .address_space:  global
        .offset:         0
        .size:           8
        .value_kind:     global_buffer
      - .address_space:  global
        .offset:         8
        .size:           8
        .value_kind:     global_buffer
      - .address_space:  global
        .offset:         16
        .size:           8
        .value_kind:     global_buffer
      - .address_space:  global
        .offset:         24
        .size:           8
        .value_kind:     global_buffer
      - .address_space:  global
        .offset:         32
        .size:           8
        .value_kind:     global_buffer
      - .address_space:  global
        .offset:         40
        .size:           8
        .value_kind:     global_buffer
      - .address_space:  global
        .offset:         48
        .size:           8
        .value_kind:     global_buffer
      - .address_space:  global
        .offset:         56
        .size:           8
        .value_kind:     global_buffer
      - .offset:         64
        .size:           4
        .value_kind:     by_value
      - .offset:         68
        .size:           4
        .value_kind:     by_value
      - .offset:         72
        .size:           4
        .value_kind:     by_value
      - .offset:         76
        .size:           4
        .value_kind:     by_value
      - .offset:         80
        .size:           4
        .value_kind:     by_value
      - .offset:         84
        .size:           4
        .value_kind:     by_value
      - .offset:         88
        .size:           4
        .value_kind:     by_value
      - .offset:         92
        .size:           12
        .value_kind:     by_value
      - .offset:         104
        .size:           4
        .value_kind:     by_value
      - .offset:         108
        .size:           4
        .value_kind:     by_value
      - .offset:         112
        .size:           4
        .value_kind:     by_value
      - .offset:         116
        .size:           4
        .value_kind:     by_value
      - .offset:         120
        .size:           4
        .value_kind:     by_value
      - .offset:         124
        .size:           4
        .value_kind:     by_value
      - .offset:         128
        .size:           4
        .value_kind:     by_value
      - .offset:         132
        .size:           4
        .value_kind:     by_value
      - .offset:         136
        .size:           4
        .value_kind:     by_value
      - .offset:         140
        .size:           4
        .value_kind:     by_value
      - .offset:         144
        .size:           4
        .value_kind:     by_value
      - .offset:         152
        .size:           8
        .value_kind:     by_value
      - .offset:         160
        .size:           4
        .value_kind:     by_value
      - .offset:         164
        .size:           4
        .value_kind:     by_value
      - .offset:         168
        .size:           8
        .value_kind:     by_value
      - .offset:         176
        .size:           4
        .value_kind:     by_value
      - .offset:         180
        .size:           4
        .value_kind:     by_value
      - .offset:         184
        .size:           4
        .value_kind:     by_value
      - .offset:         188
        .size:           4
        .value_kind:     by_value
      - .offset:         192
        .size:           4
        .value_kind:     by_value
      - .offset:         200
        .size:           8
        .value_kind:     by_value
      - .offset:         208
        .size:           4
        .value_kind:     hidden_block_count_x
      - .offset:         212
        .size:           4
        .value_kind:     hidden_block_count_y
      - .offset:         216
        .size:           4
        .value_kind:     hidden_block_count_z
      - .offset:         220
        .size:           2
        .value_kind:     hidden_group_size_x
      - .offset:         222
        .size:           2
        .value_kind:     hidden_group_size_y
      - .offset:         224
        .size:           2
        .value_kind:     hidden_group_size_z
      - .offset:         226
        .size:           2
        .value_kind:     hidden_remainder_x
      - .offset:         228
        .size:           2
        .value_kind:     hidden_remainder_y
      - .offset:         230
        .size:           2
        .value_kind:     hidden_remainder_z
      - .offset:         248
        .size:           8
        .value_kind:     hidden_global_offset_x
      - .offset:         256
        .size:           8
        .value_kind:     hidden_global_offset_y
      - .offset:         264
        .size:           8
        .value_kind:     hidden_global_offset_z
      - .offset:         272
        .size:           2
        .value_kind:     hidden_grid_dims
      - .offset:         288
        .size:           8
        .value_kind:     hidden_hostcall_buffer
    .group_segment_fixed_size: 0
    .kernarg_segment_align: 8
    .kernarg_segment_size: 464
    .language:       OpenCL C
    .language_version:
      - 2
      - 0
    .max_flat_workgroup_size: 128
    .name:           _ZL15flash_attn_tileILi64ELi64ELi1ELi4ELb1EEvPKcS1_S1_S1_S1_PKiPfP15HIP_vector_typeIfLj2EEffffjfiS5_IjLj3EEiiiiiiiiiiiliiliiiiil
    .private_segment_fixed_size: 16
    .sgpr_count:     38
    .sgpr_spill_count: 0
    .symbol:         _ZL15flash_attn_tileILi64ELi64ELi1ELi4ELb1EEvPKcS1_S1_S1_S1_PKiPfP15HIP_vector_typeIfLj2EEffffjfiS5_IjLj3EEiiiiiiiiiiiliiliiiiil.kd
    .uniform_work_group_size: 1
    .uses_dynamic_stack: false
    .vgpr_count:     41
    .vgpr_spill_count: 0
    .wavefront_size: 64
  - .args:
      - .address_space:  global
        .offset:         0
        .size:           8
        .value_kind:     global_buffer
      - .address_space:  global
        .offset:         8
        .size:           8
        .value_kind:     global_buffer
      - .address_space:  global
        .offset:         16
        .size:           8
        .value_kind:     global_buffer
      - .address_space:  global
        .offset:         24
        .size:           8
        .value_kind:     global_buffer
      - .address_space:  global
        .offset:         32
        .size:           8
        .value_kind:     global_buffer
      - .address_space:  global
        .offset:         40
        .size:           8
        .value_kind:     global_buffer
      - .address_space:  global
        .offset:         48
        .size:           8
        .value_kind:     global_buffer
      - .address_space:  global
        .offset:         56
        .size:           8
        .value_kind:     global_buffer
      - .offset:         64
        .size:           4
        .value_kind:     by_value
      - .offset:         68
        .size:           4
        .value_kind:     by_value
      - .offset:         72
        .size:           4
        .value_kind:     by_value
      - .offset:         76
        .size:           4
        .value_kind:     by_value
      - .offset:         80
        .size:           4
        .value_kind:     by_value
      - .offset:         84
        .size:           4
        .value_kind:     by_value
      - .offset:         88
        .size:           4
        .value_kind:     by_value
      - .offset:         92
        .size:           12
        .value_kind:     by_value
      - .offset:         104
        .size:           4
        .value_kind:     by_value
      - .offset:         108
        .size:           4
        .value_kind:     by_value
      - .offset:         112
        .size:           4
        .value_kind:     by_value
      - .offset:         116
        .size:           4
        .value_kind:     by_value
      - .offset:         120
        .size:           4
        .value_kind:     by_value
      - .offset:         124
        .size:           4
        .value_kind:     by_value
      - .offset:         128
        .size:           4
        .value_kind:     by_value
      - .offset:         132
        .size:           4
        .value_kind:     by_value
      - .offset:         136
        .size:           4
        .value_kind:     by_value
      - .offset:         140
        .size:           4
        .value_kind:     by_value
      - .offset:         144
        .size:           4
        .value_kind:     by_value
      - .offset:         152
        .size:           8
        .value_kind:     by_value
      - .offset:         160
        .size:           4
        .value_kind:     by_value
      - .offset:         164
        .size:           4
        .value_kind:     by_value
      - .offset:         168
        .size:           8
        .value_kind:     by_value
      - .offset:         176
        .size:           4
        .value_kind:     by_value
      - .offset:         180
        .size:           4
        .value_kind:     by_value
      - .offset:         184
        .size:           4
        .value_kind:     by_value
      - .offset:         188
        .size:           4
        .value_kind:     by_value
      - .offset:         192
        .size:           4
        .value_kind:     by_value
      - .offset:         200
        .size:           8
        .value_kind:     by_value
      - .offset:         208
        .size:           4
        .value_kind:     hidden_block_count_x
      - .offset:         212
        .size:           4
        .value_kind:     hidden_block_count_y
      - .offset:         216
        .size:           4
        .value_kind:     hidden_block_count_z
      - .offset:         220
        .size:           2
        .value_kind:     hidden_group_size_x
      - .offset:         222
        .size:           2
        .value_kind:     hidden_group_size_y
      - .offset:         224
        .size:           2
        .value_kind:     hidden_group_size_z
      - .offset:         226
        .size:           2
        .value_kind:     hidden_remainder_x
      - .offset:         228
        .size:           2
        .value_kind:     hidden_remainder_y
      - .offset:         230
        .size:           2
        .value_kind:     hidden_remainder_z
      - .offset:         248
        .size:           8
        .value_kind:     hidden_global_offset_x
      - .offset:         256
        .size:           8
        .value_kind:     hidden_global_offset_y
      - .offset:         264
        .size:           8
        .value_kind:     hidden_global_offset_z
      - .offset:         272
        .size:           2
        .value_kind:     hidden_grid_dims
      - .offset:         288
        .size:           8
        .value_kind:     hidden_hostcall_buffer
    .group_segment_fixed_size: 0
    .kernarg_segment_align: 8
    .kernarg_segment_size: 464
    .language:       OpenCL C
    .language_version:
      - 2
      - 0
    .max_flat_workgroup_size: 256
    .name:           _ZL15flash_attn_tileILi64ELi64ELi32ELi2ELb1EEvPKcS1_S1_S1_S1_PKiPfP15HIP_vector_typeIfLj2EEffffjfiS5_IjLj3EEiiiiiiiiiiiliiliiiiil
    .private_segment_fixed_size: 16
    .sgpr_count:     38
    .sgpr_spill_count: 0
    .symbol:         _ZL15flash_attn_tileILi64ELi64ELi32ELi2ELb1EEvPKcS1_S1_S1_S1_PKiPfP15HIP_vector_typeIfLj2EEffffjfiS5_IjLj3EEiiiiiiiiiiiliiliiiiil.kd
    .uniform_work_group_size: 1
    .uses_dynamic_stack: false
    .vgpr_count:     41
    .vgpr_spill_count: 0
    .wavefront_size: 64
  - .args:
      - .address_space:  global
        .offset:         0
        .size:           8
        .value_kind:     global_buffer
      - .address_space:  global
        .offset:         8
        .size:           8
        .value_kind:     global_buffer
      - .address_space:  global
        .offset:         16
        .size:           8
        .value_kind:     global_buffer
      - .address_space:  global
        .offset:         24
        .size:           8
        .value_kind:     global_buffer
      - .address_space:  global
        .offset:         32
        .size:           8
        .value_kind:     global_buffer
      - .address_space:  global
        .offset:         40
        .size:           8
        .value_kind:     global_buffer
      - .address_space:  global
        .offset:         48
        .size:           8
        .value_kind:     global_buffer
      - .address_space:  global
        .offset:         56
        .size:           8
        .value_kind:     global_buffer
      - .offset:         64
        .size:           4
        .value_kind:     by_value
      - .offset:         68
        .size:           4
        .value_kind:     by_value
      - .offset:         72
        .size:           4
        .value_kind:     by_value
      - .offset:         76
        .size:           4
        .value_kind:     by_value
      - .offset:         80
        .size:           4
        .value_kind:     by_value
      - .offset:         84
        .size:           4
        .value_kind:     by_value
      - .offset:         88
        .size:           4
        .value_kind:     by_value
      - .offset:         92
        .size:           12
        .value_kind:     by_value
      - .offset:         104
        .size:           4
        .value_kind:     by_value
      - .offset:         108
        .size:           4
        .value_kind:     by_value
      - .offset:         112
        .size:           4
        .value_kind:     by_value
      - .offset:         116
        .size:           4
        .value_kind:     by_value
      - .offset:         120
        .size:           4
        .value_kind:     by_value
      - .offset:         124
        .size:           4
        .value_kind:     by_value
      - .offset:         128
        .size:           4
        .value_kind:     by_value
      - .offset:         132
        .size:           4
        .value_kind:     by_value
      - .offset:         136
        .size:           4
        .value_kind:     by_value
      - .offset:         140
        .size:           4
        .value_kind:     by_value
      - .offset:         144
        .size:           4
        .value_kind:     by_value
      - .offset:         152
        .size:           8
        .value_kind:     by_value
      - .offset:         160
        .size:           4
        .value_kind:     by_value
      - .offset:         164
        .size:           4
        .value_kind:     by_value
      - .offset:         168
        .size:           8
        .value_kind:     by_value
      - .offset:         176
        .size:           4
        .value_kind:     by_value
      - .offset:         180
        .size:           4
        .value_kind:     by_value
      - .offset:         184
        .size:           4
        .value_kind:     by_value
      - .offset:         188
        .size:           4
        .value_kind:     by_value
      - .offset:         192
        .size:           4
        .value_kind:     by_value
      - .offset:         200
        .size:           8
        .value_kind:     by_value
      - .offset:         208
        .size:           4
        .value_kind:     hidden_block_count_x
      - .offset:         212
        .size:           4
        .value_kind:     hidden_block_count_y
      - .offset:         216
        .size:           4
        .value_kind:     hidden_block_count_z
      - .offset:         220
        .size:           2
        .value_kind:     hidden_group_size_x
      - .offset:         222
        .size:           2
        .value_kind:     hidden_group_size_y
      - .offset:         224
        .size:           2
        .value_kind:     hidden_group_size_z
      - .offset:         226
        .size:           2
        .value_kind:     hidden_remainder_x
      - .offset:         228
        .size:           2
        .value_kind:     hidden_remainder_y
      - .offset:         230
        .size:           2
        .value_kind:     hidden_remainder_z
      - .offset:         248
        .size:           8
        .value_kind:     hidden_global_offset_x
      - .offset:         256
        .size:           8
        .value_kind:     hidden_global_offset_y
      - .offset:         264
        .size:           8
        .value_kind:     hidden_global_offset_z
      - .offset:         272
        .size:           2
        .value_kind:     hidden_grid_dims
      - .offset:         288
        .size:           8
        .value_kind:     hidden_hostcall_buffer
    .group_segment_fixed_size: 0
    .kernarg_segment_align: 8
    .kernarg_segment_size: 464
    .language:       OpenCL C
    .language_version:
      - 2
      - 0
    .max_flat_workgroup_size: 256
    .name:           _ZL15flash_attn_tileILi64ELi64ELi16ELi2ELb1EEvPKcS1_S1_S1_S1_PKiPfP15HIP_vector_typeIfLj2EEffffjfiS5_IjLj3EEiiiiiiiiiiiliiliiiiil
    .private_segment_fixed_size: 16
    .sgpr_count:     38
    .sgpr_spill_count: 0
    .symbol:         _ZL15flash_attn_tileILi64ELi64ELi16ELi2ELb1EEvPKcS1_S1_S1_S1_PKiPfP15HIP_vector_typeIfLj2EEffffjfiS5_IjLj3EEiiiiiiiiiiiliiliiiiil.kd
    .uniform_work_group_size: 1
    .uses_dynamic_stack: false
    .vgpr_count:     41
    .vgpr_spill_count: 0
    .wavefront_size: 64
  - .args:
      - .address_space:  global
        .offset:         0
        .size:           8
        .value_kind:     global_buffer
      - .address_space:  global
        .offset:         8
        .size:           8
        .value_kind:     global_buffer
      - .address_space:  global
        .offset:         16
        .size:           8
        .value_kind:     global_buffer
      - .address_space:  global
        .offset:         24
        .size:           8
        .value_kind:     global_buffer
      - .address_space:  global
        .offset:         32
        .size:           8
        .value_kind:     global_buffer
      - .address_space:  global
        .offset:         40
        .size:           8
        .value_kind:     global_buffer
      - .address_space:  global
        .offset:         48
        .size:           8
        .value_kind:     global_buffer
      - .address_space:  global
        .offset:         56
        .size:           8
        .value_kind:     global_buffer
      - .offset:         64
        .size:           4
        .value_kind:     by_value
      - .offset:         68
        .size:           4
        .value_kind:     by_value
      - .offset:         72
        .size:           4
        .value_kind:     by_value
      - .offset:         76
        .size:           4
        .value_kind:     by_value
      - .offset:         80
        .size:           4
        .value_kind:     by_value
      - .offset:         84
        .size:           4
        .value_kind:     by_value
      - .offset:         88
        .size:           4
        .value_kind:     by_value
      - .offset:         92
        .size:           12
        .value_kind:     by_value
      - .offset:         104
        .size:           4
        .value_kind:     by_value
      - .offset:         108
        .size:           4
        .value_kind:     by_value
      - .offset:         112
        .size:           4
        .value_kind:     by_value
      - .offset:         116
        .size:           4
        .value_kind:     by_value
      - .offset:         120
        .size:           4
        .value_kind:     by_value
      - .offset:         124
        .size:           4
        .value_kind:     by_value
      - .offset:         128
        .size:           4
        .value_kind:     by_value
      - .offset:         132
        .size:           4
        .value_kind:     by_value
      - .offset:         136
        .size:           4
        .value_kind:     by_value
      - .offset:         140
        .size:           4
        .value_kind:     by_value
      - .offset:         144
        .size:           4
        .value_kind:     by_value
      - .offset:         152
        .size:           8
        .value_kind:     by_value
      - .offset:         160
        .size:           4
        .value_kind:     by_value
      - .offset:         164
        .size:           4
        .value_kind:     by_value
      - .offset:         168
        .size:           8
        .value_kind:     by_value
      - .offset:         176
        .size:           4
        .value_kind:     by_value
      - .offset:         180
        .size:           4
        .value_kind:     by_value
      - .offset:         184
        .size:           4
        .value_kind:     by_value
      - .offset:         188
        .size:           4
        .value_kind:     by_value
      - .offset:         192
        .size:           4
        .value_kind:     by_value
      - .offset:         200
        .size:           8
        .value_kind:     by_value
      - .offset:         208
        .size:           4
        .value_kind:     hidden_block_count_x
      - .offset:         212
        .size:           4
        .value_kind:     hidden_block_count_y
      - .offset:         216
        .size:           4
        .value_kind:     hidden_block_count_z
      - .offset:         220
        .size:           2
        .value_kind:     hidden_group_size_x
      - .offset:         222
        .size:           2
        .value_kind:     hidden_group_size_y
      - .offset:         224
        .size:           2
        .value_kind:     hidden_group_size_z
      - .offset:         226
        .size:           2
        .value_kind:     hidden_remainder_x
      - .offset:         228
        .size:           2
        .value_kind:     hidden_remainder_y
      - .offset:         230
        .size:           2
        .value_kind:     hidden_remainder_z
      - .offset:         248
        .size:           8
        .value_kind:     hidden_global_offset_x
      - .offset:         256
        .size:           8
        .value_kind:     hidden_global_offset_y
      - .offset:         264
        .size:           8
        .value_kind:     hidden_global_offset_z
      - .offset:         272
        .size:           2
        .value_kind:     hidden_grid_dims
      - .offset:         288
        .size:           8
        .value_kind:     hidden_hostcall_buffer
    .group_segment_fixed_size: 0
    .kernarg_segment_align: 8
    .kernarg_segment_size: 464
    .language:       OpenCL C
    .language_version:
      - 2
      - 0
    .max_flat_workgroup_size: 256
    .name:           _ZL15flash_attn_tileILi64ELi64ELi8ELi2ELb1EEvPKcS1_S1_S1_S1_PKiPfP15HIP_vector_typeIfLj2EEffffjfiS5_IjLj3EEiiiiiiiiiiiliiliiiiil
    .private_segment_fixed_size: 16
    .sgpr_count:     38
    .sgpr_spill_count: 0
    .symbol:         _ZL15flash_attn_tileILi64ELi64ELi8ELi2ELb1EEvPKcS1_S1_S1_S1_PKiPfP15HIP_vector_typeIfLj2EEffffjfiS5_IjLj3EEiiiiiiiiiiiliiliiiiil.kd
    .uniform_work_group_size: 1
    .uses_dynamic_stack: false
    .vgpr_count:     41
    .vgpr_spill_count: 0
    .wavefront_size: 64
  - .args:
      - .address_space:  global
        .offset:         0
        .size:           8
        .value_kind:     global_buffer
      - .address_space:  global
        .offset:         8
        .size:           8
        .value_kind:     global_buffer
      - .address_space:  global
        .offset:         16
        .size:           8
        .value_kind:     global_buffer
      - .address_space:  global
        .offset:         24
        .size:           8
        .value_kind:     global_buffer
      - .address_space:  global
        .offset:         32
        .size:           8
        .value_kind:     global_buffer
      - .address_space:  global
        .offset:         40
        .size:           8
        .value_kind:     global_buffer
      - .address_space:  global
        .offset:         48
        .size:           8
        .value_kind:     global_buffer
      - .address_space:  global
        .offset:         56
        .size:           8
        .value_kind:     global_buffer
      - .offset:         64
        .size:           4
        .value_kind:     by_value
      - .offset:         68
        .size:           4
        .value_kind:     by_value
      - .offset:         72
        .size:           4
        .value_kind:     by_value
      - .offset:         76
        .size:           4
        .value_kind:     by_value
      - .offset:         80
        .size:           4
        .value_kind:     by_value
      - .offset:         84
        .size:           4
        .value_kind:     by_value
      - .offset:         88
        .size:           4
        .value_kind:     by_value
      - .offset:         92
        .size:           12
        .value_kind:     by_value
      - .offset:         104
        .size:           4
        .value_kind:     by_value
      - .offset:         108
        .size:           4
        .value_kind:     by_value
      - .offset:         112
        .size:           4
        .value_kind:     by_value
      - .offset:         116
        .size:           4
        .value_kind:     by_value
      - .offset:         120
        .size:           4
        .value_kind:     by_value
      - .offset:         124
        .size:           4
        .value_kind:     by_value
      - .offset:         128
        .size:           4
        .value_kind:     by_value
      - .offset:         132
        .size:           4
        .value_kind:     by_value
      - .offset:         136
        .size:           4
        .value_kind:     by_value
      - .offset:         140
        .size:           4
        .value_kind:     by_value
      - .offset:         144
        .size:           4
        .value_kind:     by_value
      - .offset:         152
        .size:           8
        .value_kind:     by_value
      - .offset:         160
        .size:           4
        .value_kind:     by_value
      - .offset:         164
        .size:           4
        .value_kind:     by_value
      - .offset:         168
        .size:           8
        .value_kind:     by_value
      - .offset:         176
        .size:           4
        .value_kind:     by_value
      - .offset:         180
        .size:           4
        .value_kind:     by_value
      - .offset:         184
        .size:           4
        .value_kind:     by_value
      - .offset:         188
        .size:           4
        .value_kind:     by_value
      - .offset:         192
        .size:           4
        .value_kind:     by_value
      - .offset:         200
        .size:           8
        .value_kind:     by_value
      - .offset:         208
        .size:           4
        .value_kind:     hidden_block_count_x
      - .offset:         212
        .size:           4
        .value_kind:     hidden_block_count_y
      - .offset:         216
        .size:           4
        .value_kind:     hidden_block_count_z
      - .offset:         220
        .size:           2
        .value_kind:     hidden_group_size_x
      - .offset:         222
        .size:           2
        .value_kind:     hidden_group_size_y
      - .offset:         224
        .size:           2
        .value_kind:     hidden_group_size_z
      - .offset:         226
        .size:           2
        .value_kind:     hidden_remainder_x
      - .offset:         228
        .size:           2
        .value_kind:     hidden_remainder_y
      - .offset:         230
        .size:           2
        .value_kind:     hidden_remainder_z
      - .offset:         248
        .size:           8
        .value_kind:     hidden_global_offset_x
      - .offset:         256
        .size:           8
        .value_kind:     hidden_global_offset_y
      - .offset:         264
        .size:           8
        .value_kind:     hidden_global_offset_z
      - .offset:         272
        .size:           2
        .value_kind:     hidden_grid_dims
      - .offset:         288
        .size:           8
        .value_kind:     hidden_hostcall_buffer
    .group_segment_fixed_size: 0
    .kernarg_segment_align: 8
    .kernarg_segment_size: 464
    .language:       OpenCL C
    .language_version:
      - 2
      - 0
    .max_flat_workgroup_size: 128
    .name:           _ZL15flash_attn_tileILi64ELi64ELi4ELi2ELb1EEvPKcS1_S1_S1_S1_PKiPfP15HIP_vector_typeIfLj2EEffffjfiS5_IjLj3EEiiiiiiiiiiiliiliiiiil
    .private_segment_fixed_size: 16
    .sgpr_count:     38
    .sgpr_spill_count: 0
    .symbol:         _ZL15flash_attn_tileILi64ELi64ELi4ELi2ELb1EEvPKcS1_S1_S1_S1_PKiPfP15HIP_vector_typeIfLj2EEffffjfiS5_IjLj3EEiiiiiiiiiiiliiliiiiil.kd
    .uniform_work_group_size: 1
    .uses_dynamic_stack: false
    .vgpr_count:     41
    .vgpr_spill_count: 0
    .wavefront_size: 64
  - .args:
      - .address_space:  global
        .offset:         0
        .size:           8
        .value_kind:     global_buffer
      - .address_space:  global
        .offset:         8
        .size:           8
        .value_kind:     global_buffer
      - .address_space:  global
        .offset:         16
        .size:           8
        .value_kind:     global_buffer
      - .address_space:  global
        .offset:         24
        .size:           8
        .value_kind:     global_buffer
      - .address_space:  global
        .offset:         32
        .size:           8
        .value_kind:     global_buffer
      - .address_space:  global
        .offset:         40
        .size:           8
        .value_kind:     global_buffer
      - .address_space:  global
        .offset:         48
        .size:           8
        .value_kind:     global_buffer
      - .address_space:  global
        .offset:         56
        .size:           8
        .value_kind:     global_buffer
      - .offset:         64
        .size:           4
        .value_kind:     by_value
      - .offset:         68
        .size:           4
        .value_kind:     by_value
      - .offset:         72
        .size:           4
        .value_kind:     by_value
      - .offset:         76
        .size:           4
        .value_kind:     by_value
      - .offset:         80
        .size:           4
        .value_kind:     by_value
      - .offset:         84
        .size:           4
        .value_kind:     by_value
      - .offset:         88
        .size:           4
        .value_kind:     by_value
      - .offset:         92
        .size:           12
        .value_kind:     by_value
      - .offset:         104
        .size:           4
        .value_kind:     by_value
      - .offset:         108
        .size:           4
        .value_kind:     by_value
      - .offset:         112
        .size:           4
        .value_kind:     by_value
      - .offset:         116
        .size:           4
        .value_kind:     by_value
      - .offset:         120
        .size:           4
        .value_kind:     by_value
      - .offset:         124
        .size:           4
        .value_kind:     by_value
      - .offset:         128
        .size:           4
        .value_kind:     by_value
      - .offset:         132
        .size:           4
        .value_kind:     by_value
      - .offset:         136
        .size:           4
        .value_kind:     by_value
      - .offset:         140
        .size:           4
        .value_kind:     by_value
      - .offset:         144
        .size:           4
        .value_kind:     by_value
      - .offset:         152
        .size:           8
        .value_kind:     by_value
      - .offset:         160
        .size:           4
        .value_kind:     by_value
      - .offset:         164
        .size:           4
        .value_kind:     by_value
      - .offset:         168
        .size:           8
        .value_kind:     by_value
      - .offset:         176
        .size:           4
        .value_kind:     by_value
      - .offset:         180
        .size:           4
        .value_kind:     by_value
      - .offset:         184
        .size:           4
        .value_kind:     by_value
      - .offset:         188
        .size:           4
        .value_kind:     by_value
      - .offset:         192
        .size:           4
        .value_kind:     by_value
      - .offset:         200
        .size:           8
        .value_kind:     by_value
      - .offset:         208
        .size:           4
        .value_kind:     hidden_block_count_x
      - .offset:         212
        .size:           4
        .value_kind:     hidden_block_count_y
      - .offset:         216
        .size:           4
        .value_kind:     hidden_block_count_z
      - .offset:         220
        .size:           2
        .value_kind:     hidden_group_size_x
      - .offset:         222
        .size:           2
        .value_kind:     hidden_group_size_y
      - .offset:         224
        .size:           2
        .value_kind:     hidden_group_size_z
      - .offset:         226
        .size:           2
        .value_kind:     hidden_remainder_x
      - .offset:         228
        .size:           2
        .value_kind:     hidden_remainder_y
      - .offset:         230
        .size:           2
        .value_kind:     hidden_remainder_z
      - .offset:         248
        .size:           8
        .value_kind:     hidden_global_offset_x
      - .offset:         256
        .size:           8
        .value_kind:     hidden_global_offset_y
      - .offset:         264
        .size:           8
        .value_kind:     hidden_global_offset_z
      - .offset:         272
        .size:           2
        .value_kind:     hidden_grid_dims
      - .offset:         288
        .size:           8
        .value_kind:     hidden_hostcall_buffer
    .group_segment_fixed_size: 0
    .kernarg_segment_align: 8
    .kernarg_segment_size: 464
    .language:       OpenCL C
    .language_version:
      - 2
      - 0
    .max_flat_workgroup_size: 128
    .name:           _ZL15flash_attn_tileILi64ELi64ELi2ELi2ELb1EEvPKcS1_S1_S1_S1_PKiPfP15HIP_vector_typeIfLj2EEffffjfiS5_IjLj3EEiiiiiiiiiiiliiliiiiil
    .private_segment_fixed_size: 16
    .sgpr_count:     38
    .sgpr_spill_count: 0
    .symbol:         _ZL15flash_attn_tileILi64ELi64ELi2ELi2ELb1EEvPKcS1_S1_S1_S1_PKiPfP15HIP_vector_typeIfLj2EEffffjfiS5_IjLj3EEiiiiiiiiiiiliiliiiiil.kd
    .uniform_work_group_size: 1
    .uses_dynamic_stack: false
    .vgpr_count:     41
    .vgpr_spill_count: 0
    .wavefront_size: 64
  - .args:
      - .address_space:  global
        .offset:         0
        .size:           8
        .value_kind:     global_buffer
      - .address_space:  global
        .offset:         8
        .size:           8
        .value_kind:     global_buffer
      - .address_space:  global
        .offset:         16
        .size:           8
        .value_kind:     global_buffer
      - .address_space:  global
        .offset:         24
        .size:           8
        .value_kind:     global_buffer
      - .address_space:  global
        .offset:         32
        .size:           8
        .value_kind:     global_buffer
      - .address_space:  global
        .offset:         40
        .size:           8
        .value_kind:     global_buffer
      - .address_space:  global
        .offset:         48
        .size:           8
        .value_kind:     global_buffer
      - .address_space:  global
        .offset:         56
        .size:           8
        .value_kind:     global_buffer
      - .offset:         64
        .size:           4
        .value_kind:     by_value
      - .offset:         68
        .size:           4
        .value_kind:     by_value
      - .offset:         72
        .size:           4
        .value_kind:     by_value
      - .offset:         76
        .size:           4
        .value_kind:     by_value
      - .offset:         80
        .size:           4
        .value_kind:     by_value
      - .offset:         84
        .size:           4
        .value_kind:     by_value
      - .offset:         88
        .size:           4
        .value_kind:     by_value
      - .offset:         92
        .size:           12
        .value_kind:     by_value
      - .offset:         104
        .size:           4
        .value_kind:     by_value
      - .offset:         108
        .size:           4
        .value_kind:     by_value
      - .offset:         112
        .size:           4
        .value_kind:     by_value
      - .offset:         116
        .size:           4
        .value_kind:     by_value
      - .offset:         120
        .size:           4
        .value_kind:     by_value
      - .offset:         124
        .size:           4
        .value_kind:     by_value
      - .offset:         128
        .size:           4
        .value_kind:     by_value
      - .offset:         132
        .size:           4
        .value_kind:     by_value
      - .offset:         136
        .size:           4
        .value_kind:     by_value
      - .offset:         140
        .size:           4
        .value_kind:     by_value
      - .offset:         144
        .size:           4
        .value_kind:     by_value
      - .offset:         152
        .size:           8
        .value_kind:     by_value
      - .offset:         160
        .size:           4
        .value_kind:     by_value
      - .offset:         164
        .size:           4
        .value_kind:     by_value
      - .offset:         168
        .size:           8
        .value_kind:     by_value
      - .offset:         176
        .size:           4
        .value_kind:     by_value
      - .offset:         180
        .size:           4
        .value_kind:     by_value
      - .offset:         184
        .size:           4
        .value_kind:     by_value
      - .offset:         188
        .size:           4
        .value_kind:     by_value
      - .offset:         192
        .size:           4
        .value_kind:     by_value
      - .offset:         200
        .size:           8
        .value_kind:     by_value
      - .offset:         208
        .size:           4
        .value_kind:     hidden_block_count_x
      - .offset:         212
        .size:           4
        .value_kind:     hidden_block_count_y
      - .offset:         216
        .size:           4
        .value_kind:     hidden_block_count_z
      - .offset:         220
        .size:           2
        .value_kind:     hidden_group_size_x
      - .offset:         222
        .size:           2
        .value_kind:     hidden_group_size_y
      - .offset:         224
        .size:           2
        .value_kind:     hidden_group_size_z
      - .offset:         226
        .size:           2
        .value_kind:     hidden_remainder_x
      - .offset:         228
        .size:           2
        .value_kind:     hidden_remainder_y
      - .offset:         230
        .size:           2
        .value_kind:     hidden_remainder_z
      - .offset:         248
        .size:           8
        .value_kind:     hidden_global_offset_x
      - .offset:         256
        .size:           8
        .value_kind:     hidden_global_offset_y
      - .offset:         264
        .size:           8
        .value_kind:     hidden_global_offset_z
      - .offset:         272
        .size:           2
        .value_kind:     hidden_grid_dims
      - .offset:         288
        .size:           8
        .value_kind:     hidden_hostcall_buffer
    .group_segment_fixed_size: 0
    .kernarg_segment_align: 8
    .kernarg_segment_size: 464
    .language:       OpenCL C
    .language_version:
      - 2
      - 0
    .max_flat_workgroup_size: 64
    .name:           _ZL15flash_attn_tileILi64ELi64ELi1ELi2ELb1EEvPKcS1_S1_S1_S1_PKiPfP15HIP_vector_typeIfLj2EEffffjfiS5_IjLj3EEiiiiiiiiiiiliiliiiiil
    .private_segment_fixed_size: 16
    .sgpr_count:     38
    .sgpr_spill_count: 0
    .symbol:         _ZL15flash_attn_tileILi64ELi64ELi1ELi2ELb1EEvPKcS1_S1_S1_S1_PKiPfP15HIP_vector_typeIfLj2EEffffjfiS5_IjLj3EEiiiiiiiiiiiliiliiiiil.kd
    .uniform_work_group_size: 1
    .uses_dynamic_stack: false
    .vgpr_count:     41
    .vgpr_spill_count: 0
    .wavefront_size: 64
  - .args:
      - .address_space:  global
        .offset:         0
        .size:           8
        .value_kind:     global_buffer
      - .address_space:  global
        .offset:         8
        .size:           8
        .value_kind:     global_buffer
      - .address_space:  global
        .offset:         16
        .size:           8
        .value_kind:     global_buffer
      - .address_space:  global
        .offset:         24
        .size:           8
        .value_kind:     global_buffer
      - .address_space:  global
        .offset:         32
        .size:           8
        .value_kind:     global_buffer
      - .address_space:  global
        .offset:         40
        .size:           8
        .value_kind:     global_buffer
      - .address_space:  global
        .offset:         48
        .size:           8
        .value_kind:     global_buffer
      - .address_space:  global
        .offset:         56
        .size:           8
        .value_kind:     global_buffer
      - .offset:         64
        .size:           4
        .value_kind:     by_value
      - .offset:         68
        .size:           4
        .value_kind:     by_value
      - .offset:         72
        .size:           4
        .value_kind:     by_value
      - .offset:         76
        .size:           4
        .value_kind:     by_value
      - .offset:         80
        .size:           4
        .value_kind:     by_value
      - .offset:         84
        .size:           4
        .value_kind:     by_value
      - .offset:         88
        .size:           4
        .value_kind:     by_value
      - .offset:         92
        .size:           12
        .value_kind:     by_value
      - .offset:         104
        .size:           4
        .value_kind:     by_value
      - .offset:         108
        .size:           4
        .value_kind:     by_value
      - .offset:         112
        .size:           4
        .value_kind:     by_value
      - .offset:         116
        .size:           4
        .value_kind:     by_value
      - .offset:         120
        .size:           4
        .value_kind:     by_value
      - .offset:         124
        .size:           4
        .value_kind:     by_value
      - .offset:         128
        .size:           4
        .value_kind:     by_value
      - .offset:         132
        .size:           4
        .value_kind:     by_value
      - .offset:         136
        .size:           4
        .value_kind:     by_value
      - .offset:         140
        .size:           4
        .value_kind:     by_value
      - .offset:         144
        .size:           4
        .value_kind:     by_value
      - .offset:         152
        .size:           8
        .value_kind:     by_value
      - .offset:         160
        .size:           4
        .value_kind:     by_value
      - .offset:         164
        .size:           4
        .value_kind:     by_value
      - .offset:         168
        .size:           8
        .value_kind:     by_value
      - .offset:         176
        .size:           4
        .value_kind:     by_value
      - .offset:         180
        .size:           4
        .value_kind:     by_value
      - .offset:         184
        .size:           4
        .value_kind:     by_value
      - .offset:         188
        .size:           4
        .value_kind:     by_value
      - .offset:         192
        .size:           4
        .value_kind:     by_value
      - .offset:         200
        .size:           8
        .value_kind:     by_value
      - .offset:         208
        .size:           4
        .value_kind:     hidden_block_count_x
      - .offset:         212
        .size:           4
        .value_kind:     hidden_block_count_y
      - .offset:         216
        .size:           4
        .value_kind:     hidden_block_count_z
      - .offset:         220
        .size:           2
        .value_kind:     hidden_group_size_x
      - .offset:         222
        .size:           2
        .value_kind:     hidden_group_size_y
      - .offset:         224
        .size:           2
        .value_kind:     hidden_group_size_z
      - .offset:         226
        .size:           2
        .value_kind:     hidden_remainder_x
      - .offset:         228
        .size:           2
        .value_kind:     hidden_remainder_y
      - .offset:         230
        .size:           2
        .value_kind:     hidden_remainder_z
      - .offset:         248
        .size:           8
        .value_kind:     hidden_global_offset_x
      - .offset:         256
        .size:           8
        .value_kind:     hidden_global_offset_y
      - .offset:         264
        .size:           8
        .value_kind:     hidden_global_offset_z
      - .offset:         272
        .size:           2
        .value_kind:     hidden_grid_dims
      - .offset:         288
        .size:           8
        .value_kind:     hidden_hostcall_buffer
    .group_segment_fixed_size: 0
    .kernarg_segment_align: 8
    .kernarg_segment_size: 464
    .language:       OpenCL C
    .language_version:
      - 2
      - 0
    .max_flat_workgroup_size: 256
    .name:           _ZL15flash_attn_tileILi64ELi64ELi64ELi1ELb1EEvPKcS1_S1_S1_S1_PKiPfP15HIP_vector_typeIfLj2EEffffjfiS5_IjLj3EEiiiiiiiiiiiliiliiiiil
    .private_segment_fixed_size: 16
    .sgpr_count:     38
    .sgpr_spill_count: 0
    .symbol:         _ZL15flash_attn_tileILi64ELi64ELi64ELi1ELb1EEvPKcS1_S1_S1_S1_PKiPfP15HIP_vector_typeIfLj2EEffffjfiS5_IjLj3EEiiiiiiiiiiiliiliiiiil.kd
    .uniform_work_group_size: 1
    .uses_dynamic_stack: false
    .vgpr_count:     41
    .vgpr_spill_count: 0
    .wavefront_size: 64
  - .args:
      - .address_space:  global
        .offset:         0
        .size:           8
        .value_kind:     global_buffer
      - .address_space:  global
        .offset:         8
        .size:           8
        .value_kind:     global_buffer
      - .address_space:  global
        .offset:         16
        .size:           8
        .value_kind:     global_buffer
      - .address_space:  global
        .offset:         24
        .size:           8
        .value_kind:     global_buffer
      - .address_space:  global
        .offset:         32
        .size:           8
        .value_kind:     global_buffer
      - .address_space:  global
        .offset:         40
        .size:           8
        .value_kind:     global_buffer
      - .address_space:  global
        .offset:         48
        .size:           8
        .value_kind:     global_buffer
      - .address_space:  global
        .offset:         56
        .size:           8
        .value_kind:     global_buffer
      - .offset:         64
        .size:           4
        .value_kind:     by_value
      - .offset:         68
        .size:           4
        .value_kind:     by_value
      - .offset:         72
        .size:           4
        .value_kind:     by_value
      - .offset:         76
        .size:           4
        .value_kind:     by_value
      - .offset:         80
        .size:           4
        .value_kind:     by_value
      - .offset:         84
        .size:           4
        .value_kind:     by_value
      - .offset:         88
        .size:           4
        .value_kind:     by_value
      - .offset:         92
        .size:           12
        .value_kind:     by_value
      - .offset:         104
        .size:           4
        .value_kind:     by_value
      - .offset:         108
        .size:           4
        .value_kind:     by_value
      - .offset:         112
        .size:           4
        .value_kind:     by_value
      - .offset:         116
        .size:           4
        .value_kind:     by_value
      - .offset:         120
        .size:           4
        .value_kind:     by_value
      - .offset:         124
        .size:           4
        .value_kind:     by_value
      - .offset:         128
        .size:           4
        .value_kind:     by_value
      - .offset:         132
        .size:           4
        .value_kind:     by_value
      - .offset:         136
        .size:           4
        .value_kind:     by_value
      - .offset:         140
        .size:           4
        .value_kind:     by_value
      - .offset:         144
        .size:           4
        .value_kind:     by_value
      - .offset:         152
        .size:           8
        .value_kind:     by_value
      - .offset:         160
        .size:           4
        .value_kind:     by_value
      - .offset:         164
        .size:           4
        .value_kind:     by_value
      - .offset:         168
        .size:           8
        .value_kind:     by_value
      - .offset:         176
        .size:           4
        .value_kind:     by_value
      - .offset:         180
        .size:           4
        .value_kind:     by_value
      - .offset:         184
        .size:           4
        .value_kind:     by_value
      - .offset:         188
        .size:           4
        .value_kind:     by_value
      - .offset:         192
        .size:           4
        .value_kind:     by_value
      - .offset:         200
        .size:           8
        .value_kind:     by_value
      - .offset:         208
        .size:           4
        .value_kind:     hidden_block_count_x
      - .offset:         212
        .size:           4
        .value_kind:     hidden_block_count_y
      - .offset:         216
        .size:           4
        .value_kind:     hidden_block_count_z
      - .offset:         220
        .size:           2
        .value_kind:     hidden_group_size_x
      - .offset:         222
        .size:           2
        .value_kind:     hidden_group_size_y
      - .offset:         224
        .size:           2
        .value_kind:     hidden_group_size_z
      - .offset:         226
        .size:           2
        .value_kind:     hidden_remainder_x
      - .offset:         228
        .size:           2
        .value_kind:     hidden_remainder_y
      - .offset:         230
        .size:           2
        .value_kind:     hidden_remainder_z
      - .offset:         248
        .size:           8
        .value_kind:     hidden_global_offset_x
      - .offset:         256
        .size:           8
        .value_kind:     hidden_global_offset_y
      - .offset:         264
        .size:           8
        .value_kind:     hidden_global_offset_z
      - .offset:         272
        .size:           2
        .value_kind:     hidden_grid_dims
      - .offset:         288
        .size:           8
        .value_kind:     hidden_hostcall_buffer
    .group_segment_fixed_size: 0
    .kernarg_segment_align: 8
    .kernarg_segment_size: 464
    .language:       OpenCL C
    .language_version:
      - 2
      - 0
    .max_flat_workgroup_size: 256
    .name:           _ZL15flash_attn_tileILi64ELi64ELi32ELi1ELb1EEvPKcS1_S1_S1_S1_PKiPfP15HIP_vector_typeIfLj2EEffffjfiS5_IjLj3EEiiiiiiiiiiiliiliiiiil
    .private_segment_fixed_size: 16
    .sgpr_count:     38
    .sgpr_spill_count: 0
    .symbol:         _ZL15flash_attn_tileILi64ELi64ELi32ELi1ELb1EEvPKcS1_S1_S1_S1_PKiPfP15HIP_vector_typeIfLj2EEffffjfiS5_IjLj3EEiiiiiiiiiiiliiliiiiil.kd
    .uniform_work_group_size: 1
    .uses_dynamic_stack: false
    .vgpr_count:     41
    .vgpr_spill_count: 0
    .wavefront_size: 64
  - .args:
      - .address_space:  global
        .offset:         0
        .size:           8
        .value_kind:     global_buffer
      - .address_space:  global
        .offset:         8
        .size:           8
        .value_kind:     global_buffer
      - .address_space:  global
        .offset:         16
        .size:           8
        .value_kind:     global_buffer
      - .address_space:  global
        .offset:         24
        .size:           8
        .value_kind:     global_buffer
      - .address_space:  global
        .offset:         32
        .size:           8
        .value_kind:     global_buffer
      - .address_space:  global
        .offset:         40
        .size:           8
        .value_kind:     global_buffer
      - .address_space:  global
        .offset:         48
        .size:           8
        .value_kind:     global_buffer
      - .address_space:  global
        .offset:         56
        .size:           8
        .value_kind:     global_buffer
      - .offset:         64
        .size:           4
        .value_kind:     by_value
      - .offset:         68
        .size:           4
        .value_kind:     by_value
      - .offset:         72
        .size:           4
        .value_kind:     by_value
      - .offset:         76
        .size:           4
        .value_kind:     by_value
      - .offset:         80
        .size:           4
        .value_kind:     by_value
      - .offset:         84
        .size:           4
        .value_kind:     by_value
      - .offset:         88
        .size:           4
        .value_kind:     by_value
      - .offset:         92
        .size:           12
        .value_kind:     by_value
      - .offset:         104
        .size:           4
        .value_kind:     by_value
      - .offset:         108
        .size:           4
        .value_kind:     by_value
      - .offset:         112
        .size:           4
        .value_kind:     by_value
      - .offset:         116
        .size:           4
        .value_kind:     by_value
      - .offset:         120
        .size:           4
        .value_kind:     by_value
      - .offset:         124
        .size:           4
        .value_kind:     by_value
      - .offset:         128
        .size:           4
        .value_kind:     by_value
      - .offset:         132
        .size:           4
        .value_kind:     by_value
      - .offset:         136
        .size:           4
        .value_kind:     by_value
      - .offset:         140
        .size:           4
        .value_kind:     by_value
      - .offset:         144
        .size:           4
        .value_kind:     by_value
      - .offset:         152
        .size:           8
        .value_kind:     by_value
      - .offset:         160
        .size:           4
        .value_kind:     by_value
      - .offset:         164
        .size:           4
        .value_kind:     by_value
      - .offset:         168
        .size:           8
        .value_kind:     by_value
      - .offset:         176
        .size:           4
        .value_kind:     by_value
      - .offset:         180
        .size:           4
        .value_kind:     by_value
      - .offset:         184
        .size:           4
        .value_kind:     by_value
      - .offset:         188
        .size:           4
        .value_kind:     by_value
      - .offset:         192
        .size:           4
        .value_kind:     by_value
      - .offset:         200
        .size:           8
        .value_kind:     by_value
      - .offset:         208
        .size:           4
        .value_kind:     hidden_block_count_x
      - .offset:         212
        .size:           4
        .value_kind:     hidden_block_count_y
      - .offset:         216
        .size:           4
        .value_kind:     hidden_block_count_z
      - .offset:         220
        .size:           2
        .value_kind:     hidden_group_size_x
      - .offset:         222
        .size:           2
        .value_kind:     hidden_group_size_y
      - .offset:         224
        .size:           2
        .value_kind:     hidden_group_size_z
      - .offset:         226
        .size:           2
        .value_kind:     hidden_remainder_x
      - .offset:         228
        .size:           2
        .value_kind:     hidden_remainder_y
      - .offset:         230
        .size:           2
        .value_kind:     hidden_remainder_z
      - .offset:         248
        .size:           8
        .value_kind:     hidden_global_offset_x
      - .offset:         256
        .size:           8
        .value_kind:     hidden_global_offset_y
      - .offset:         264
        .size:           8
        .value_kind:     hidden_global_offset_z
      - .offset:         272
        .size:           2
        .value_kind:     hidden_grid_dims
      - .offset:         288
        .size:           8
        .value_kind:     hidden_hostcall_buffer
    .group_segment_fixed_size: 0
    .kernarg_segment_align: 8
    .kernarg_segment_size: 464
    .language:       OpenCL C
    .language_version:
      - 2
      - 0
    .max_flat_workgroup_size: 256
    .name:           _ZL15flash_attn_tileILi64ELi64ELi16ELi1ELb1EEvPKcS1_S1_S1_S1_PKiPfP15HIP_vector_typeIfLj2EEffffjfiS5_IjLj3EEiiiiiiiiiiiliiliiiiil
    .private_segment_fixed_size: 16
    .sgpr_count:     38
    .sgpr_spill_count: 0
    .symbol:         _ZL15flash_attn_tileILi64ELi64ELi16ELi1ELb1EEvPKcS1_S1_S1_S1_PKiPfP15HIP_vector_typeIfLj2EEffffjfiS5_IjLj3EEiiiiiiiiiiiliiliiiiil.kd
    .uniform_work_group_size: 1
    .uses_dynamic_stack: false
    .vgpr_count:     41
    .vgpr_spill_count: 0
    .wavefront_size: 64
  - .args:
      - .address_space:  global
        .offset:         0
        .size:           8
        .value_kind:     global_buffer
      - .address_space:  global
        .offset:         8
        .size:           8
        .value_kind:     global_buffer
      - .address_space:  global
        .offset:         16
        .size:           8
        .value_kind:     global_buffer
      - .address_space:  global
        .offset:         24
        .size:           8
        .value_kind:     global_buffer
      - .address_space:  global
        .offset:         32
        .size:           8
        .value_kind:     global_buffer
      - .address_space:  global
        .offset:         40
        .size:           8
        .value_kind:     global_buffer
      - .address_space:  global
        .offset:         48
        .size:           8
        .value_kind:     global_buffer
      - .address_space:  global
        .offset:         56
        .size:           8
        .value_kind:     global_buffer
      - .offset:         64
        .size:           4
        .value_kind:     by_value
      - .offset:         68
        .size:           4
        .value_kind:     by_value
      - .offset:         72
        .size:           4
        .value_kind:     by_value
      - .offset:         76
        .size:           4
        .value_kind:     by_value
      - .offset:         80
        .size:           4
        .value_kind:     by_value
      - .offset:         84
        .size:           4
        .value_kind:     by_value
      - .offset:         88
        .size:           4
        .value_kind:     by_value
      - .offset:         92
        .size:           12
        .value_kind:     by_value
      - .offset:         104
        .size:           4
        .value_kind:     by_value
      - .offset:         108
        .size:           4
        .value_kind:     by_value
      - .offset:         112
        .size:           4
        .value_kind:     by_value
      - .offset:         116
        .size:           4
        .value_kind:     by_value
      - .offset:         120
        .size:           4
        .value_kind:     by_value
      - .offset:         124
        .size:           4
        .value_kind:     by_value
      - .offset:         128
        .size:           4
        .value_kind:     by_value
      - .offset:         132
        .size:           4
        .value_kind:     by_value
      - .offset:         136
        .size:           4
        .value_kind:     by_value
      - .offset:         140
        .size:           4
        .value_kind:     by_value
      - .offset:         144
        .size:           4
        .value_kind:     by_value
      - .offset:         152
        .size:           8
        .value_kind:     by_value
      - .offset:         160
        .size:           4
        .value_kind:     by_value
      - .offset:         164
        .size:           4
        .value_kind:     by_value
      - .offset:         168
        .size:           8
        .value_kind:     by_value
      - .offset:         176
        .size:           4
        .value_kind:     by_value
      - .offset:         180
        .size:           4
        .value_kind:     by_value
      - .offset:         184
        .size:           4
        .value_kind:     by_value
      - .offset:         188
        .size:           4
        .value_kind:     by_value
      - .offset:         192
        .size:           4
        .value_kind:     by_value
      - .offset:         200
        .size:           8
        .value_kind:     by_value
      - .offset:         208
        .size:           4
        .value_kind:     hidden_block_count_x
      - .offset:         212
        .size:           4
        .value_kind:     hidden_block_count_y
      - .offset:         216
        .size:           4
        .value_kind:     hidden_block_count_z
      - .offset:         220
        .size:           2
        .value_kind:     hidden_group_size_x
      - .offset:         222
        .size:           2
        .value_kind:     hidden_group_size_y
      - .offset:         224
        .size:           2
        .value_kind:     hidden_group_size_z
      - .offset:         226
        .size:           2
        .value_kind:     hidden_remainder_x
      - .offset:         228
        .size:           2
        .value_kind:     hidden_remainder_y
      - .offset:         230
        .size:           2
        .value_kind:     hidden_remainder_z
      - .offset:         248
        .size:           8
        .value_kind:     hidden_global_offset_x
      - .offset:         256
        .size:           8
        .value_kind:     hidden_global_offset_y
      - .offset:         264
        .size:           8
        .value_kind:     hidden_global_offset_z
      - .offset:         272
        .size:           2
        .value_kind:     hidden_grid_dims
      - .offset:         288
        .size:           8
        .value_kind:     hidden_hostcall_buffer
    .group_segment_fixed_size: 0
    .kernarg_segment_align: 8
    .kernarg_segment_size: 464
    .language:       OpenCL C
    .language_version:
      - 2
      - 0
    .max_flat_workgroup_size: 128
    .name:           _ZL15flash_attn_tileILi64ELi64ELi8ELi1ELb1EEvPKcS1_S1_S1_S1_PKiPfP15HIP_vector_typeIfLj2EEffffjfiS5_IjLj3EEiiiiiiiiiiiliiliiiiil
    .private_segment_fixed_size: 16
    .sgpr_count:     38
    .sgpr_spill_count: 0
    .symbol:         _ZL15flash_attn_tileILi64ELi64ELi8ELi1ELb1EEvPKcS1_S1_S1_S1_PKiPfP15HIP_vector_typeIfLj2EEffffjfiS5_IjLj3EEiiiiiiiiiiiliiliiiiil.kd
    .uniform_work_group_size: 1
    .uses_dynamic_stack: false
    .vgpr_count:     41
    .vgpr_spill_count: 0
    .wavefront_size: 64
  - .args:
      - .address_space:  global
        .offset:         0
        .size:           8
        .value_kind:     global_buffer
      - .address_space:  global
        .offset:         8
        .size:           8
        .value_kind:     global_buffer
      - .address_space:  global
        .offset:         16
        .size:           8
        .value_kind:     global_buffer
      - .address_space:  global
        .offset:         24
        .size:           8
        .value_kind:     global_buffer
      - .address_space:  global
        .offset:         32
        .size:           8
        .value_kind:     global_buffer
      - .address_space:  global
        .offset:         40
        .size:           8
        .value_kind:     global_buffer
      - .address_space:  global
        .offset:         48
        .size:           8
        .value_kind:     global_buffer
      - .address_space:  global
        .offset:         56
        .size:           8
        .value_kind:     global_buffer
      - .offset:         64
        .size:           4
        .value_kind:     by_value
      - .offset:         68
        .size:           4
        .value_kind:     by_value
      - .offset:         72
        .size:           4
        .value_kind:     by_value
      - .offset:         76
        .size:           4
        .value_kind:     by_value
      - .offset:         80
        .size:           4
        .value_kind:     by_value
      - .offset:         84
        .size:           4
        .value_kind:     by_value
      - .offset:         88
        .size:           4
        .value_kind:     by_value
      - .offset:         92
        .size:           12
        .value_kind:     by_value
      - .offset:         104
        .size:           4
        .value_kind:     by_value
      - .offset:         108
        .size:           4
        .value_kind:     by_value
      - .offset:         112
        .size:           4
        .value_kind:     by_value
      - .offset:         116
        .size:           4
        .value_kind:     by_value
      - .offset:         120
        .size:           4
        .value_kind:     by_value
      - .offset:         124
        .size:           4
        .value_kind:     by_value
      - .offset:         128
        .size:           4
        .value_kind:     by_value
      - .offset:         132
        .size:           4
        .value_kind:     by_value
      - .offset:         136
        .size:           4
        .value_kind:     by_value
      - .offset:         140
        .size:           4
        .value_kind:     by_value
      - .offset:         144
        .size:           4
        .value_kind:     by_value
      - .offset:         152
        .size:           8
        .value_kind:     by_value
      - .offset:         160
        .size:           4
        .value_kind:     by_value
      - .offset:         164
        .size:           4
        .value_kind:     by_value
      - .offset:         168
        .size:           8
        .value_kind:     by_value
      - .offset:         176
        .size:           4
        .value_kind:     by_value
      - .offset:         180
        .size:           4
        .value_kind:     by_value
      - .offset:         184
        .size:           4
        .value_kind:     by_value
      - .offset:         188
        .size:           4
        .value_kind:     by_value
      - .offset:         192
        .size:           4
        .value_kind:     by_value
      - .offset:         200
        .size:           8
        .value_kind:     by_value
      - .offset:         208
        .size:           4
        .value_kind:     hidden_block_count_x
      - .offset:         212
        .size:           4
        .value_kind:     hidden_block_count_y
      - .offset:         216
        .size:           4
        .value_kind:     hidden_block_count_z
      - .offset:         220
        .size:           2
        .value_kind:     hidden_group_size_x
      - .offset:         222
        .size:           2
        .value_kind:     hidden_group_size_y
      - .offset:         224
        .size:           2
        .value_kind:     hidden_group_size_z
      - .offset:         226
        .size:           2
        .value_kind:     hidden_remainder_x
      - .offset:         228
        .size:           2
        .value_kind:     hidden_remainder_y
      - .offset:         230
        .size:           2
        .value_kind:     hidden_remainder_z
      - .offset:         248
        .size:           8
        .value_kind:     hidden_global_offset_x
      - .offset:         256
        .size:           8
        .value_kind:     hidden_global_offset_y
      - .offset:         264
        .size:           8
        .value_kind:     hidden_global_offset_z
      - .offset:         272
        .size:           2
        .value_kind:     hidden_grid_dims
      - .offset:         288
        .size:           8
        .value_kind:     hidden_hostcall_buffer
    .group_segment_fixed_size: 0
    .kernarg_segment_align: 8
    .kernarg_segment_size: 464
    .language:       OpenCL C
    .language_version:
      - 2
      - 0
    .max_flat_workgroup_size: 128
    .name:           _ZL15flash_attn_tileILi64ELi64ELi4ELi1ELb1EEvPKcS1_S1_S1_S1_PKiPfP15HIP_vector_typeIfLj2EEffffjfiS5_IjLj3EEiiiiiiiiiiiliiliiiiil
    .private_segment_fixed_size: 16
    .sgpr_count:     38
    .sgpr_spill_count: 0
    .symbol:         _ZL15flash_attn_tileILi64ELi64ELi4ELi1ELb1EEvPKcS1_S1_S1_S1_PKiPfP15HIP_vector_typeIfLj2EEffffjfiS5_IjLj3EEiiiiiiiiiiiliiliiiiil.kd
    .uniform_work_group_size: 1
    .uses_dynamic_stack: false
    .vgpr_count:     41
    .vgpr_spill_count: 0
    .wavefront_size: 64
  - .args:
      - .address_space:  global
        .offset:         0
        .size:           8
        .value_kind:     global_buffer
      - .address_space:  global
        .offset:         8
        .size:           8
        .value_kind:     global_buffer
      - .address_space:  global
        .offset:         16
        .size:           8
        .value_kind:     global_buffer
      - .address_space:  global
        .offset:         24
        .size:           8
        .value_kind:     global_buffer
      - .address_space:  global
        .offset:         32
        .size:           8
        .value_kind:     global_buffer
      - .address_space:  global
        .offset:         40
        .size:           8
        .value_kind:     global_buffer
      - .address_space:  global
        .offset:         48
        .size:           8
        .value_kind:     global_buffer
      - .address_space:  global
        .offset:         56
        .size:           8
        .value_kind:     global_buffer
      - .offset:         64
        .size:           4
        .value_kind:     by_value
      - .offset:         68
        .size:           4
        .value_kind:     by_value
      - .offset:         72
        .size:           4
        .value_kind:     by_value
      - .offset:         76
        .size:           4
        .value_kind:     by_value
      - .offset:         80
        .size:           4
        .value_kind:     by_value
      - .offset:         84
        .size:           4
        .value_kind:     by_value
      - .offset:         88
        .size:           4
        .value_kind:     by_value
      - .offset:         92
        .size:           12
        .value_kind:     by_value
      - .offset:         104
        .size:           4
        .value_kind:     by_value
      - .offset:         108
        .size:           4
        .value_kind:     by_value
      - .offset:         112
        .size:           4
        .value_kind:     by_value
      - .offset:         116
        .size:           4
        .value_kind:     by_value
      - .offset:         120
        .size:           4
        .value_kind:     by_value
      - .offset:         124
        .size:           4
        .value_kind:     by_value
      - .offset:         128
        .size:           4
        .value_kind:     by_value
      - .offset:         132
        .size:           4
        .value_kind:     by_value
      - .offset:         136
        .size:           4
        .value_kind:     by_value
      - .offset:         140
        .size:           4
        .value_kind:     by_value
      - .offset:         144
        .size:           4
        .value_kind:     by_value
      - .offset:         152
        .size:           8
        .value_kind:     by_value
      - .offset:         160
        .size:           4
        .value_kind:     by_value
      - .offset:         164
        .size:           4
        .value_kind:     by_value
      - .offset:         168
        .size:           8
        .value_kind:     by_value
      - .offset:         176
        .size:           4
        .value_kind:     by_value
      - .offset:         180
        .size:           4
        .value_kind:     by_value
      - .offset:         184
        .size:           4
        .value_kind:     by_value
      - .offset:         188
        .size:           4
        .value_kind:     by_value
      - .offset:         192
        .size:           4
        .value_kind:     by_value
      - .offset:         200
        .size:           8
        .value_kind:     by_value
      - .offset:         208
        .size:           4
        .value_kind:     hidden_block_count_x
      - .offset:         212
        .size:           4
        .value_kind:     hidden_block_count_y
      - .offset:         216
        .size:           4
        .value_kind:     hidden_block_count_z
      - .offset:         220
        .size:           2
        .value_kind:     hidden_group_size_x
      - .offset:         222
        .size:           2
        .value_kind:     hidden_group_size_y
      - .offset:         224
        .size:           2
        .value_kind:     hidden_group_size_z
      - .offset:         226
        .size:           2
        .value_kind:     hidden_remainder_x
      - .offset:         228
        .size:           2
        .value_kind:     hidden_remainder_y
      - .offset:         230
        .size:           2
        .value_kind:     hidden_remainder_z
      - .offset:         248
        .size:           8
        .value_kind:     hidden_global_offset_x
      - .offset:         256
        .size:           8
        .value_kind:     hidden_global_offset_y
      - .offset:         264
        .size:           8
        .value_kind:     hidden_global_offset_z
      - .offset:         272
        .size:           2
        .value_kind:     hidden_grid_dims
      - .offset:         288
        .size:           8
        .value_kind:     hidden_hostcall_buffer
    .group_segment_fixed_size: 0
    .kernarg_segment_align: 8
    .kernarg_segment_size: 464
    .language:       OpenCL C
    .language_version:
      - 2
      - 0
    .max_flat_workgroup_size: 64
    .name:           _ZL15flash_attn_tileILi64ELi64ELi2ELi1ELb1EEvPKcS1_S1_S1_S1_PKiPfP15HIP_vector_typeIfLj2EEffffjfiS5_IjLj3EEiiiiiiiiiiiliiliiiiil
    .private_segment_fixed_size: 16
    .sgpr_count:     38
    .sgpr_spill_count: 0
    .symbol:         _ZL15flash_attn_tileILi64ELi64ELi2ELi1ELb1EEvPKcS1_S1_S1_S1_PKiPfP15HIP_vector_typeIfLj2EEffffjfiS5_IjLj3EEiiiiiiiiiiiliiliiiiil.kd
    .uniform_work_group_size: 1
    .uses_dynamic_stack: false
    .vgpr_count:     41
    .vgpr_spill_count: 0
    .wavefront_size: 64
amdhsa.target:   amdgcn-amd-amdhsa--gfx906
amdhsa.version:
  - 1
  - 2
...

	.end_amdgpu_metadata
